;; amdgpu-corpus repo=pytorch/pytorch kind=compiled arch=gfx1030 opt=O3
	.amdgcn_target "amdgcn-amd-amdhsa--gfx1030"
	.amdhsa_code_object_version 6
	.text
	.p2align	2                               ; -- Begin function _ZN2at6native25elementwise_kernel_helperILb0EZZZNS0_12_GLOBAL__N_130modified_bessel_k1_kernel_cudaERNS_18TensorIteratorBaseEENKUlvE_clEvENKUlvE_clEvEUldE_NS0_6memory8policies11unroll_baseILi256ESt5arrayIPcLm2EE23TrivialOffsetCalculatorILi1EjESF_NS8_15LoadWithoutCastENS8_16StoreWithoutCastELi4ELi1EEEEEvT0_T1_
	.type	_ZN2at6native25elementwise_kernel_helperILb0EZZZNS0_12_GLOBAL__N_130modified_bessel_k1_kernel_cudaERNS_18TensorIteratorBaseEENKUlvE_clEvENKUlvE_clEvEUldE_NS0_6memory8policies11unroll_baseILi256ESt5arrayIPcLm2EE23TrivialOffsetCalculatorILi1EjESF_NS8_15LoadWithoutCastENS8_16StoreWithoutCastELi4ELi1EEEEEvT0_T1_,@function
_ZN2at6native25elementwise_kernel_helperILb0EZZZNS0_12_GLOBAL__N_130modified_bessel_k1_kernel_cudaERNS_18TensorIteratorBaseEENKUlvE_clEvENKUlvE_clEvEUldE_NS0_6memory8policies11unroll_baseILi256ESt5arrayIPcLm2EE23TrivialOffsetCalculatorILi1EjESF_NS8_15LoadWithoutCastENS8_16StoreWithoutCastELi4ELi1EEEEEvT0_T1_: ; @_ZN2at6native25elementwise_kernel_helperILb0EZZZNS0_12_GLOBAL__N_130modified_bessel_k1_kernel_cudaERNS_18TensorIteratorBaseEENKUlvE_clEvENKUlvE_clEvEUldE_NS0_6memory8policies11unroll_baseILi256ESt5arrayIPcLm2EE23TrivialOffsetCalculatorILi1EjESF_NS8_15LoadWithoutCastENS8_16StoreWithoutCastELi4ELi1EEEEEvT0_T1_
; %bb.0:
	s_waitcnt vmcnt(0) expcnt(0) lgkmcnt(0)
	v_and_b32_e32 v20, 0x3ff, v31
	s_lshl_b32 s8, s12, 10
	v_mov_b32_e32 v16, 0
	v_mov_b32_e32 v18, 0
	;; [unrolled: 1-line block ×3, first 2 shown]
	v_cmp_lt_i32_e64 s4, v20, v4
	v_or_b32_e32 v5, s8, v20
	v_add_nc_u32_e32 v21, 0x100, v20
	v_mov_b32_e32 v19, 0
	v_mov_b32_e32 v10, v20
	s_and_saveexec_b32 s5, s4
	s_cbranch_execz .LBB0_2
; %bb.1:
	v_mov_b32_e32 v6, 0
	v_add_nc_u32_e32 v10, 0x100, v20
	v_lshlrev_b64 v[6:7], 3, v[5:6]
	v_add_co_u32 v6, vcc_lo, v2, v6
	v_add_co_ci_u32_e64 v7, null, v3, v7, vcc_lo
	flat_load_dwordx2 v[18:19], v[6:7]
.LBB0_2:
	s_or_b32 exec_lo, exec_lo, s5
	s_mov_b32 s5, exec_lo
	v_cmpx_lt_i32_e64 v10, v4
	s_cbranch_execz .LBB0_4
; %bb.3:
	v_add_nc_u32_e32 v6, s8, v10
	v_mov_b32_e32 v7, 0
	v_add_nc_u32_e32 v10, 0x100, v10
	v_lshlrev_b64 v[6:7], 3, v[6:7]
	v_add_co_u32 v6, vcc_lo, v2, v6
	v_add_co_ci_u32_e64 v7, null, v3, v7, vcc_lo
	flat_load_dwordx2 v[16:17], v[6:7]
.LBB0_4:
	s_or_b32 exec_lo, exec_lo, s5
	v_mov_b32_e32 v6, 0
	v_mov_b32_e32 v8, 0
	;; [unrolled: 1-line block ×4, first 2 shown]
	s_mov_b32 s5, exec_lo
	v_cmpx_lt_i32_e64 v10, v4
	s_cbranch_execz .LBB0_6
; %bb.5:
	v_add_nc_u32_e32 v8, s8, v10
	v_mov_b32_e32 v9, 0
	v_add_nc_u32_e32 v10, 0x100, v10
	v_lshlrev_b64 v[8:9], 3, v[8:9]
	v_add_co_u32 v8, vcc_lo, v2, v8
	v_add_co_ci_u32_e64 v9, null, v3, v9, vcc_lo
	flat_load_dwordx2 v[8:9], v[8:9]
.LBB0_6:
	s_or_b32 exec_lo, exec_lo, s5
	s_mov_b32 s5, exec_lo
	v_cmpx_lt_i32_e64 v10, v4
	s_cbranch_execz .LBB0_8
; %bb.7:
	v_add_nc_u32_e32 v6, s8, v10
	v_mov_b32_e32 v7, 0
	v_lshlrev_b64 v[6:7], 3, v[6:7]
	v_add_co_u32 v2, vcc_lo, v2, v6
	v_add_co_ci_u32_e64 v3, null, v3, v7, vcc_lo
	flat_load_dwordx2 v[6:7], v[2:3]
.LBB0_8:
	s_or_b32 exec_lo, exec_lo, s5
	v_mov_b32_e32 v2, 0
	v_mov_b32_e32 v3, v2
	;; [unrolled: 1-line block ×8, first 2 shown]
	s_and_saveexec_b32 s9, s4
	s_cbranch_execz .LBB0_18
; %bb.9:
	v_mov_b32_e32 v2, 0
	v_mov_b32_e32 v3, 0x7ff00000
	s_mov_b32 s10, exec_lo
	s_waitcnt vmcnt(0) lgkmcnt(0)
	v_cmpx_neq_f64_e32 0, v[18:19]
	s_cbranch_execz .LBB0_17
; %bb.10:
	v_mov_b32_e32 v2, 0
	v_mov_b32_e32 v3, 0x7ff80000
	s_mov_b32 s11, exec_lo
	v_cmpx_ngt_f64_e32 0, v[18:19]
	s_cbranch_execz .LBB0_16
; %bb.11:
                                        ; implicit-def: $vgpr2_vgpr3
	s_mov_b32 s5, exec_lo
	v_cmpx_ge_f64_e32 2.0, v[18:19]
	s_xor_b32 s12, exec_lo, s5
	s_cbranch_execz .LBB0_13
; %bb.12:
	v_fma_f64 v[2:3], v[18:19], 0.5, -2.0
	s_mov_b32 s6, 0xc38a0576
	s_mov_b32 s7, 0xbc7857d0
	s_mov_b32 s15, 0x3c499f2a
	s_mov_b32 s14, 0xc3c4014
	v_mul_f64 v[14:15], v[18:19], 0.5
	v_fma_f64 v[36:37], v[18:19], v[18:19], -2.0
	s_mov_b32 s17, 0xbc603228
	s_mov_b32 s16, 0x3d3cda56
	;; [unrolled: 1-line block ×4, first 2 shown]
	v_fma_f64 v[10:11], v[2:3], s[14:15], s[6:7]
	s_mov_b32 s15, 0xbc499f2a
	s_mov_b32 s6, 0xe593bfac
	;; [unrolled: 1-line block ×3, first 2 shown]
	v_frexp_mant_f64_e32 v[22:23], v[14:15]
	v_frexp_exp_i32_f64_e32 v48, v[14:15]
	v_cmp_neq_f64_e64 s5, 0, v[14:15]
	v_fma_f64 v[12:13], v[2:3], v[10:11], s[14:15]
	s_mov_b32 s14, 0x97eb07de
	s_mov_b32 s15, 0xbdd25103
	v_add_f64 v[12:13], v[12:13], s[6:7]
	s_mov_b32 s6, 0x7e0d1573
	s_mov_b32 s7, 0xbcd3eaaa
	v_fma_f64 v[10:11], v[2:3], v[12:13], -v[10:11]
	v_add_f64 v[10:11], v[10:11], s[6:7]
	s_mov_b32 s6, 0x615290c
	s_mov_b32 s7, 0x3d011d7f
	v_fma_f64 v[12:13], v[2:3], v[10:11], -v[12:13]
	;; [unrolled: 4-line block ×6, first 2 shown]
	v_add_f64 v[12:13], v[12:13], s[6:7]
	s_mov_b32 s7, 0x3fe55555
	s_mov_b32 s6, 0x55555555
	v_cmp_gt_f64_e32 vcc_lo, s[6:7], v[22:23]
	s_mov_b32 s6, 0x55555780
	v_fma_f64 v[10:11], v[2:3], v[12:13], -v[10:11]
	v_cndmask_b32_e64 v24, 0, 1, vcc_lo
	v_ldexp_f64 v[22:23], v[22:23], v24
	v_add_f64 v[10:11], v[10:11], s[14:15]
	s_mov_b32 s14, 0xb43fdf6c
	s_mov_b32 s15, 0x3df8ea34
	v_add_f64 v[24:25], v[22:23], 1.0
	v_add_f64 v[30:31], v[22:23], -1.0
	v_fma_f64 v[12:13], v[2:3], v[10:11], -v[12:13]
	v_rcp_f64_e32 v[26:27], v[24:25]
	v_add_f64 v[32:33], v[24:25], -1.0
	v_add_f64 v[12:13], v[12:13], s[14:15]
	s_mov_b32 s14, 0x28ea67e6
	s_mov_b32 s15, 0xbe20361b
	v_add_f64 v[22:23], v[22:23], -v[32:33]
	v_fma_f64 v[28:29], -v[24:25], v[26:27], 1.0
	v_fma_f64 v[10:11], v[2:3], v[12:13], -v[10:11]
	v_fma_f64 v[26:27], v[28:29], v[26:27], v[26:27]
	v_add_f64 v[10:11], v[10:11], s[14:15]
	s_mov_b32 s14, 0x2395010
	s_mov_b32 s15, 0x3e44258e
	v_fma_f64 v[28:29], -v[24:25], v[26:27], 1.0
	v_fma_f64 v[12:13], v[2:3], v[10:11], -v[12:13]
	v_fma_f64 v[26:27], v[28:29], v[26:27], v[26:27]
	v_add_f64 v[12:13], v[12:13], s[14:15]
	s_mov_b32 s14, 0x24b8c3e8
	s_mov_b32 s15, 0xbe67dd3e
	v_mul_f64 v[28:29], v[30:31], v[26:27]
	v_fma_f64 v[10:11], v[2:3], v[12:13], -v[10:11]
	v_mul_f64 v[34:35], v[24:25], v[28:29]
	v_add_f64 v[10:11], v[10:11], s[14:15]
	s_mov_b32 s14, 0xb347d108
	s_mov_b32 s15, 0x3e8ae344
	v_fma_f64 v[24:25], v[28:29], v[24:25], -v[34:35]
	v_fma_f64 v[12:13], v[2:3], v[10:11], -v[12:13]
	v_fma_f64 v[22:23], v[28:29], v[22:23], v[24:25]
	v_add_f64 v[12:13], v[12:13], s[14:15]
	s_mov_b32 s14, 0x7a0399e0
	s_mov_b32 s15, 0xbce5dd51
	v_fma_f64 v[38:39], v[36:37], s[16:17], s[14:15]
	s_mov_b32 s17, 0x3c603228
	s_mov_b32 s14, 0xddd0e045
	;; [unrolled: 1-line block ×3, first 2 shown]
	v_add_f64 v[24:25], v[34:35], v[22:23]
	v_fma_f64 v[10:11], v[2:3], v[12:13], -v[10:11]
	v_add_f64 v[32:33], v[30:31], -v[24:25]
	v_add_f64 v[34:35], v[24:25], -v[34:35]
	v_add_f64 v[10:11], v[10:11], s[18:19]
	s_mov_b32 s18, 0xd3d694fe
	s_mov_b32 s19, 0xbf2533ca
	v_add_f64 v[30:31], v[30:31], -v[32:33]
	v_add_f64 v[22:23], v[34:35], -v[22:23]
	v_fma_f64 v[12:13], v[2:3], v[10:11], -v[12:13]
	v_add_f64 v[24:25], v[30:31], -v[24:25]
	v_fma_f64 v[30:31], v[36:37], v[38:39], s[16:17]
	s_mov_b32 s16, 0xd511afc5
	s_mov_b32 s17, 0x3ecd1c4e
	v_add_f64 v[12:13], v[12:13], s[16:17]
	s_mov_b32 s16, 0xb8debbcf
	s_mov_b32 s17, 0xbeebd5f9
	v_add_f64 v[22:23], v[22:23], v[24:25]
	v_add_f64 v[24:25], v[30:31], s[14:15]
	s_mov_b32 s14, 0xb84626ca
	s_mov_b32 s15, 0xbde3663b
	v_fma_f64 v[10:11], v[2:3], v[12:13], -v[10:11]
	v_add_f64 v[22:23], v[32:33], v[22:23]
	v_fma_f64 v[30:31], v[36:37], v[24:25], -v[38:39]
	v_add_f64 v[10:11], v[10:11], s[16:17]
	s_mov_b32 s16, 0x42c70d0b
	s_mov_b32 s17, 0x3f0911b5
	v_mul_f64 v[22:23], v[26:27], v[22:23]
	v_add_f64 v[26:27], v[30:31], s[14:15]
	s_mov_b32 s14, 0x145c31d0
	s_mov_b32 s15, 0xbe57c41d
	v_fma_f64 v[12:13], v[2:3], v[10:11], -v[12:13]
	v_add_f64 v[30:31], v[28:29], v[22:23]
	v_fma_f64 v[24:25], v[36:37], v[26:27], -v[24:25]
	v_add_f64 v[12:13], v[12:13], s[16:17]
	s_mov_b32 s16, 0xbf559e2b
	s_mov_b32 s17, 0x3fc3ab76
	v_mul_f64 v[32:33], v[30:31], v[30:31]
	v_add_f64 v[24:25], v[24:25], s[14:15]
	s_mov_b32 s14, 0x6b47b09a
	s_mov_b32 s15, 0x3fc38538
	v_add_f64 v[28:29], v[30:31], -v[28:29]
	v_fma_f64 v[10:11], v[2:3], v[12:13], -v[10:11]
	v_fma_f64 v[34:35], v[32:33], s[16:17], s[14:15]
	v_fma_f64 v[26:27], v[36:37], v[24:25], -v[26:27]
	s_mov_b32 s14, 0x2c832e3a
	s_mov_b32 s15, 0xbec469b3
	;; [unrolled: 1-line block ×4, first 2 shown]
	v_mul_f64 v[38:39], v[30:31], v[32:33]
	v_add_f64 v[22:23], v[22:23], -v[28:29]
	v_add_f64 v[10:11], v[10:11], s[18:19]
	s_mov_b32 s18, 0xb6c6df7d
	s_mov_b32 s19, 0x3f40c95d
	v_fma_f64 v[34:35], v[32:33], v[34:35], s[16:17]
	v_add_f64 v[26:27], v[26:27], s[14:15]
	s_mov_b32 s14, 0x16291751
	s_mov_b32 s15, 0x3fcc71c0
	;; [unrolled: 1-line block ×4, first 2 shown]
	v_ldexp_f64 v[22:23], v[22:23], 1
	v_fma_f64 v[12:13], v[2:3], v[10:11], -v[12:13]
	v_fma_f64 v[34:35], v[32:33], v[34:35], s[14:15]
	v_fma_f64 v[24:25], v[36:37], v[26:27], -v[24:25]
	s_mov_b32 s14, 0xe5a3bd02
	s_mov_b32 s15, 0xbf26ade2
	v_add_f64 v[12:13], v[12:13], s[18:19]
	s_mov_b32 s18, 0xe7bb2349
	s_mov_b32 s19, 0x3f9951e3
	v_fma_f64 v[34:35], v[32:33], v[34:35], s[16:17]
	v_add_f64 v[24:25], v[24:25], s[14:15]
	s_mov_b32 s14, 0x998ef7b6
	s_mov_b32 s15, 0x3fd99999
	;; [unrolled: 1-line block ×4, first 2 shown]
	v_fma_f64 v[10:11], v[2:3], v[12:13], -v[10:11]
	v_fma_f64 v[34:35], v[32:33], v[34:35], s[14:15]
	v_fma_f64 v[26:27], v[36:37], v[24:25], -v[26:27]
	s_mov_b32 s14, 0x9d7d4192
	s_mov_b32 s15, 0xbf7c9293
	v_add_f64 v[10:11], v[10:11], s[16:17]
	s_mov_b32 s16, 0x49d3a1b4
	s_mov_b32 s17, 0x3f710653
	v_fma_f64 v[32:33], v[32:33], v[34:35], s[6:7]
	v_add_f64 v[26:27], v[26:27], s[14:15]
	v_ldexp_f64 v[34:35], v[30:31], 1
	s_mov_b32 s6, 0x43c1db74
	s_mov_b32 s7, 0xbfbf6372
	;; [unrolled: 1-line block ×4, first 2 shown]
	v_fma_f64 v[12:13], v[2:3], v[10:11], -v[12:13]
	v_mul_f64 v[32:33], v[38:39], v[32:33]
	v_fma_f64 v[24:25], v[36:37], v[26:27], -v[24:25]
	v_subrev_co_ci_u32_e64 v38, null, 0, v48, vcc_lo
	v_mul_f64 v[48:49], v[18:19], s[14:15]
	s_mov_b32 s14, 0x757b0dd4
	s_mov_b32 s15, 0xbfd69a1b
	v_cvt_f64_i32_e32 v[38:39], v38
	v_add_f64 v[12:13], v[12:13], s[16:17]
	s_mov_b32 s16, 0x7913a26a
	s_mov_b32 s17, 0xbf85a29f
	v_add_f64 v[30:31], v[34:35], v[32:33]
	v_add_f64 v[24:25], v[24:25], s[6:7]
	s_mov_b32 s7, 0x3fe62e42
	s_mov_b32 s6, 0xfefa39ef
	v_mul_f64 v[50:51], v[38:39], s[6:7]
	v_fma_f64 v[10:11], v[2:3], v[12:13], -v[10:11]
	v_add_f64 v[28:29], v[30:31], -v[34:35]
	v_fma_f64 v[26:27], v[36:37], v[24:25], -v[26:27]
	v_rndne_f64_e32 v[34:35], v[48:49]
	v_fma_f64 v[48:49], v[38:39], s[6:7], -v[50:51]
	s_mov_b32 s7, 0xbfe62e42
	v_add_f64 v[10:11], v[10:11], s[16:17]
	s_mov_b32 s16, 0x6a5dcb37
	s_mov_b32 s17, 0x3e5ade15
	v_add_f64 v[28:29], v[32:33], -v[28:29]
	v_add_f64 v[26:27], v[26:27], s[14:15]
	v_fma_f64 v[32:33], v[34:35], s[6:7], v[18:19]
	s_mov_b32 s7, 0x3c7abc9e
	s_mov_b32 s6, 0x3b39803f
	;; [unrolled: 1-line block ×4, first 2 shown]
	v_fma_f64 v[38:39], v[38:39], s[6:7], v[48:49]
	s_mov_b32 s7, 0xbc7abc9e
	v_fma_f64 v[12:13], v[2:3], v[10:11], -v[12:13]
	v_add_f64 v[22:23], v[22:23], v[28:29]
	v_fma_f64 v[26:27], v[36:37], v[26:27], -v[24:25]
	v_fma_f64 v[28:29], v[34:35], s[6:7], v[32:33]
	s_mov_b32 s6, 0x361008ca
	s_mov_b32 s7, 0x3ff867a1
	v_add_f64 v[32:33], v[50:51], v[38:39]
	v_add_f64 v[12:13], v[12:13], s[18:19]
	;; [unrolled: 1-line block ×4, first 2 shown]
	v_fma_f64 v[48:49], v[28:29], s[16:17], s[14:15]
	s_mov_b32 s6, 0x623fde64
	s_mov_b32 s7, 0x3ec71dee
	;; [unrolled: 1-line block ×4, first 2 shown]
	v_add_f64 v[50:51], v[32:33], -v[50:51]
	v_fma_f64 v[10:11], v[2:3], v[12:13], -v[10:11]
	v_add_f64 v[52:53], v[32:33], v[36:37]
	v_add_f64 v[24:25], v[26:27], -v[24:25]
	v_fma_f64 v[48:49], v[28:29], v[48:49], s[6:7]
	s_mov_b32 s6, 0x7c89e6b0
	s_mov_b32 s7, 0x3efa0199
	v_add_f64 v[30:31], v[36:37], -v[30:31]
	v_add_f64 v[38:39], v[38:39], -v[50:51]
	v_add_f64 v[10:11], v[10:11], s[14:15]
	s_mov_b32 s14, 0xd536f53c
	s_mov_b32 s15, 0x3fba46da
	v_add_f64 v[26:27], v[52:53], -v[32:33]
	v_mul_f64 v[24:25], v[24:25], 0.5
	v_fma_f64 v[48:49], v[28:29], v[48:49], s[6:7]
	s_mov_b32 s6, 0x14761f6e
	s_mov_b32 s7, 0x3f2a01a0
	v_add_f64 v[22:23], v[22:23], -v[30:31]
	v_fma_f64 v[12:13], v[2:3], v[10:11], -v[12:13]
	v_add_f64 v[54:55], v[52:53], -v[26:27]
	v_div_scale_f64 v[64:65], null, v[18:19], v[18:19], v[24:25]
	v_fma_f64 v[48:49], v[28:29], v[48:49], s[6:7]
	s_mov_b32 s6, 0x1852b7b0
	s_mov_b32 s7, 0x3f56c16c
	v_add_f64 v[26:27], v[36:37], -v[26:27]
	v_add_f64 v[12:13], v[12:13], s[14:15]
	s_mov_b32 s14, 0x469192e
	s_mov_b32 s15, 0xbfc694d1
	v_add_f64 v[30:31], v[32:33], -v[54:55]
	v_rcp_f64_e32 v[36:37], v[64:65]
	v_fma_f64 v[32:33], v[28:29], v[48:49], s[6:7]
	s_mov_b32 s6, 0x11122322
	s_mov_b32 s7, 0x3f811111
	v_add_f64 v[48:49], v[38:39], v[22:23]
	v_fma_f64 v[10:11], v[2:3], v[12:13], -v[10:11]
	v_add_f64 v[26:27], v[26:27], v[30:31]
	v_fma_f64 v[30:31], v[28:29], v[32:33], s[6:7]
	v_fma_f64 v[32:33], -v[64:65], v[36:37], 1.0
	s_mov_b32 s6, 0x555502a1
	s_mov_b32 s7, 0x3fa55555
	v_add_f64 v[50:51], v[48:49], -v[38:39]
	v_add_f64 v[10:11], v[10:11], s[14:15]
	s_mov_b32 s14, 0x724a7ffa
	s_mov_b32 s15, 0x3fd02a63
	v_add_f64 v[26:27], v[48:49], v[26:27]
	v_fma_f64 v[30:31], v[28:29], v[30:31], s[6:7]
	v_fma_f64 v[32:33], v[36:37], v[32:33], v[36:37]
	s_mov_b32 s6, 0x55555511
	s_mov_b32 s7, 0x3fc55555
	v_add_f64 v[36:37], v[48:49], -v[50:51]
	v_add_f64 v[22:23], v[22:23], -v[50:51]
	v_div_scale_f64 v[50:51], vcc_lo, v[24:25], v[18:19], v[24:25]
	v_fma_f64 v[2:3], v[2:3], v[10:11], -v[12:13]
	v_add_f64 v[48:49], v[52:53], v[26:27]
	v_fma_f64 v[30:31], v[28:29], v[30:31], s[6:7]
	v_fma_f64 v[10:11], -v[64:65], v[32:33], 1.0
	s_mov_b32 s6, 11
	s_mov_b32 s7, 0x3fe00000
	v_add_f64 v[36:37], v[38:39], -v[36:37]
	v_add_f64 v[2:3], v[2:3], s[14:15]
	v_add_f64 v[38:39], v[48:49], -v[52:53]
	v_fma_f64 v[30:31], v[28:29], v[30:31], s[6:7]
	v_fma_f64 v[10:11], v[32:33], v[10:11], v[32:33]
	v_cvt_i32_f64_e32 v32, v[34:35]
	v_add_f64 v[22:23], v[22:23], v[36:37]
	v_add_f64 v[2:3], v[2:3], -v[12:13]
	v_add_f64 v[26:27], v[26:27], -v[38:39]
	v_fma_f64 v[30:31], v[28:29], v[30:31], 1.0
	v_mul_f64 v[12:13], v[50:51], v[10:11]
	v_mul_f64 v[2:3], v[2:3], 0.5
	v_add_f64 v[22:23], v[22:23], v[26:27]
	v_fma_f64 v[26:27], v[28:29], v[30:31], 1.0
	v_fma_f64 v[28:29], -v[64:65], v[12:13], v[50:51]
	v_mul_f64 v[2:3], v[18:19], v[2:3]
	v_add_f64 v[22:23], v[48:49], v[22:23]
	v_ldexp_f64 v[26:27], v[26:27], v32
	v_div_fmas_f64 v[10:11], v[28:29], v[10:11], v[12:13]
	v_cmp_neq_f64_e32 vcc_lo, 0x7ff00000, v[14:15]
	v_mul_f64 v[2:3], v[26:27], v[2:3]
	v_div_fixup_f64 v[10:11], v[10:11], v[18:19], v[24:25]
	v_cndmask_b32_e32 v12, 0x7ff00000, v23, vcc_lo
	s_and_b32 vcc_lo, s5, vcc_lo
                                        ; implicit-def: $vgpr18_vgpr19
	v_cndmask_b32_e64 v13, 0xfff00000, v12, s5
	v_cndmask_b32_e32 v12, 0, v22, vcc_lo
	v_fma_f64 v[2:3], v[12:13], v[2:3], v[10:11]
.LBB0_13:
	s_andn2_saveexec_b32 s6, s12
	s_cbranch_execz .LBB0_15
; %bb.14:
	v_div_scale_f64 v[2:3], null, v[18:19], v[18:19], 0x40200000
	v_div_scale_f64 v[14:15], vcc_lo, 0x40200000, v[18:19], 0x40200000
	s_mov_b32 s12, 0x838f5ed3
	s_mov_b32 s13, 0x3c74af1a
	;; [unrolled: 1-line block ×4, first 2 shown]
	v_cmp_nlt_f64_e64 s5, 0x4090cc00, v[18:19]
	v_rcp_f64_e32 v[10:11], v[2:3]
	v_fma_f64 v[12:13], -v[2:3], v[10:11], 1.0
	v_fma_f64 v[10:11], v[10:11], v[12:13], v[10:11]
	v_fma_f64 v[12:13], -v[2:3], v[10:11], 1.0
	v_fma_f64 v[10:11], v[10:11], v[12:13], v[10:11]
	v_mul_f64 v[12:13], v[14:15], v[10:11]
	v_fma_f64 v[2:3], -v[2:3], v[12:13], v[14:15]
	v_div_fmas_f64 v[2:3], v[2:3], v[10:11], v[12:13]
	v_cmp_gt_f64_e32 vcc_lo, 0x10000000, v[18:19]
	v_div_fixup_f64 v[2:3], v[2:3], v[18:19], 0x40200000
	v_cndmask_b32_e64 v26, 0, 0x100, vcc_lo
	v_ldexp_f64 v[26:27], v[18:19], v26
	v_add_f64 v[2:3], v[2:3], -2.0
	v_rsq_f64_e32 v[28:29], v[26:27]
	v_fma_f64 v[10:11], v[2:3], s[14:15], s[12:13]
	s_mov_b32 s15, 0x3c5a8c5d
	s_mov_b32 s12, 0x17771d52
	s_mov_b32 s13, 0xbc906615
	v_mul_f64 v[30:31], v[26:27], v[28:29]
	v_mul_f64 v[28:29], v[28:29], 0.5
	v_fma_f64 v[12:13], v[2:3], v[10:11], s[14:15]
	s_mov_b32 s14, 0x6a5dcb37
	s_mov_b32 s15, 0x3e5ade15
	v_fma_f64 v[32:33], -v[28:29], v[30:31], 0.5
	v_add_f64 v[12:13], v[12:13], s[12:13]
	s_mov_b32 s12, 0x44ee2c0b
	s_mov_b32 s13, 0x3caa7d5e
	v_fma_f64 v[30:31], v[30:31], v[32:33], v[30:31]
	v_fma_f64 v[28:29], v[28:29], v[32:33], v[28:29]
	v_fma_f64 v[10:11], v[2:3], v[12:13], -v[10:11]
	v_fma_f64 v[32:33], -v[30:31], v[30:31], v[26:27]
	v_add_f64 v[10:11], v[10:11], s[12:13]
	s_mov_b32 s12, 0xd8758ef2
	s_mov_b32 s13, 0xbcc5d2a3
	v_fma_f64 v[12:13], v[2:3], v[10:11], -v[12:13]
	v_add_f64 v[12:13], v[12:13], s[12:13]
	s_mov_b32 s12, 0xefee81bd
	s_mov_b32 s13, 0x3ce25ced
	v_fma_f64 v[10:11], v[2:3], v[12:13], -v[10:11]
	;; [unrolled: 4-line block ×14, first 2 shown]
	v_add_f64 v[10:11], v[10:11], s[12:13]
	s_mov_b32 s12, 0x652b82fe
	s_mov_b32 s13, 0xbff71547
	v_mul_f64 v[14:15], v[18:19], s[12:13]
	s_mov_b32 s12, 0x8fada5c6
	s_mov_b32 s13, 0xbe978052
	v_fma_f64 v[12:13], v[2:3], v[10:11], -v[12:13]
	v_rndne_f64_e32 v[14:15], v[14:15]
	v_add_f64 v[12:13], v[12:13], s[12:13]
	s_mov_b32 s12, 0xfefa39ef
	s_mov_b32 s13, 0xbfe62e42
	v_fma_f64 v[22:23], v[14:15], s[12:13], -v[18:19]
	s_mov_b32 s12, 0x3b39803f
	s_mov_b32 s13, 0xbc7abc9e
	v_fma_f64 v[10:11], v[2:3], v[12:13], -v[10:11]
	v_fma_f64 v[22:23], v[14:15], s[12:13], v[22:23]
	s_mov_b32 s12, 0x1752d1b6
	s_mov_b32 s13, 0x3ec42fe3
	v_add_f64 v[10:11], v[10:11], s[12:13]
	s_mov_b32 s12, 0xfca7ab0c
	s_mov_b32 s13, 0x3e928af3
	v_fma_f64 v[24:25], v[22:23], s[14:15], s[12:13]
	s_mov_b32 s12, 0x623fde64
	s_mov_b32 s13, 0x3ec71dee
	v_fma_f64 v[12:13], v[2:3], v[10:11], -v[12:13]
	v_fma_f64 v[24:25], v[22:23], v[24:25], s[12:13]
	s_mov_b32 s12, 0x1dcdb2e5
	s_mov_b32 s13, 0xbef44d71
	v_add_f64 v[12:13], v[12:13], s[12:13]
	s_mov_b32 s12, 0x7c89e6b0
	s_mov_b32 s13, 0x3efa0199
	v_fma_f64 v[24:25], v[22:23], v[24:25], s[12:13]
	;; [unrolled: 10-line block ×5, first 2 shown]
	s_mov_b32 s12, 0xaa062c8a
	s_mov_b32 s13, 0x4005c3d7
	v_fma_f64 v[2:3], v[2:3], v[10:11], -v[12:13]
	v_fma_f64 v[10:11], v[32:33], v[28:29], v[30:31]
	v_cvt_i32_f64_e32 v32, v[14:15]
	v_fma_f64 v[24:25], v[22:23], v[24:25], 1.0
	v_add_f64 v[2:3], v[2:3], s[12:13]
	v_fma_f64 v[30:31], -v[10:11], v[10:11], v[26:27]
	v_fma_f64 v[14:15], v[22:23], v[24:25], 1.0
	v_add_f64 v[2:3], v[2:3], -v[12:13]
	v_fma_f64 v[10:11], v[30:31], v[28:29], v[10:11]
	v_ldexp_f64 v[12:13], v[14:15], v32
	v_cndmask_b32_e64 v14, 0, 0xffffff80, vcc_lo
	v_cmp_class_f64_e64 vcc_lo, v[26:27], 0x260
	v_mul_f64 v[2:3], v[2:3], 0.5
	v_ldexp_f64 v[10:11], v[10:11], v14
	v_cndmask_b32_e64 v13, 0, v13, s5
	v_cndmask_b32_e64 v12, 0, v12, s5
	v_mul_f64 v[2:3], v[12:13], v[2:3]
	v_cndmask_b32_e32 v11, v11, v27, vcc_lo
	v_cndmask_b32_e32 v10, v10, v26, vcc_lo
	v_div_scale_f64 v[12:13], null, v[10:11], v[10:11], v[2:3]
	v_rcp_f64_e32 v[14:15], v[12:13]
	v_fma_f64 v[18:19], -v[12:13], v[14:15], 1.0
	v_fma_f64 v[14:15], v[14:15], v[18:19], v[14:15]
	v_fma_f64 v[18:19], -v[12:13], v[14:15], 1.0
	v_fma_f64 v[14:15], v[14:15], v[18:19], v[14:15]
	v_div_scale_f64 v[18:19], vcc_lo, v[2:3], v[10:11], v[2:3]
	v_mul_f64 v[22:23], v[18:19], v[14:15]
	v_fma_f64 v[12:13], -v[12:13], v[22:23], v[18:19]
	v_div_fmas_f64 v[12:13], v[12:13], v[14:15], v[22:23]
	v_div_fixup_f64 v[2:3], v[12:13], v[10:11], v[2:3]
.LBB0_15:
	s_or_b32 exec_lo, exec_lo, s6
.LBB0_16:
	s_or_b32 exec_lo, exec_lo, s11
.LBB0_17:
	s_or_b32 exec_lo, exec_lo, s10
	v_mov_b32_e32 v14, 0
	v_mov_b32_e32 v15, v14
	;; [unrolled: 1-line block ×6, first 2 shown]
.LBB0_18:
	s_or_b32 exec_lo, exec_lo, s9
	s_mov_b32 s9, exec_lo
	v_cmpx_lt_i32_e64 v21, v4
	s_cbranch_execz .LBB0_28
; %bb.19:
	v_mov_b32_e32 v14, 0
	v_mov_b32_e32 v15, 0x7ff00000
	s_mov_b32 s10, exec_lo
	s_waitcnt vmcnt(0) lgkmcnt(0)
	v_cmpx_neq_f64_e32 0, v[16:17]
	s_cbranch_execz .LBB0_27
; %bb.20:
	v_mov_b32_e32 v14, 0
	v_mov_b32_e32 v15, 0x7ff80000
	s_mov_b32 s11, exec_lo
	v_cmpx_ngt_f64_e32 0, v[16:17]
	s_cbranch_execz .LBB0_26
; %bb.21:
	s_mov_b32 s5, exec_lo
	v_cmpx_ge_f64_e32 2.0, v[16:17]
	s_xor_b32 s12, exec_lo, s5
                                        ; implicit-def: $vgpr14_vgpr15
	s_cbranch_execz .LBB0_23
; %bb.22:
	v_fma_f64 v[14:15], v[16:17], 0.5, -2.0
	s_mov_b32 s6, 0xc38a0576
	s_mov_b32 s7, 0xbc7857d0
	;; [unrolled: 1-line block ×4, first 2 shown]
	v_mul_f64 v[24:25], v[16:17], 0.5
	v_fma_f64 v[48:49], v[16:17], v[16:17], -2.0
	s_mov_b32 s17, 0xbc603228
	s_mov_b32 s16, 0x3d3cda56
	;; [unrolled: 1-line block ×4, first 2 shown]
	v_fma_f64 v[18:19], v[14:15], s[14:15], s[6:7]
	s_mov_b32 s15, 0xbc499f2a
	s_mov_b32 s6, 0xe593bfac
	s_mov_b32 s7, 0x3ca663e3
	v_frexp_mant_f64_e32 v[26:27], v[24:25]
	v_frexp_exp_i32_f64_e32 v52, v[24:25]
	v_cmp_neq_f64_e64 s5, 0, v[24:25]
	v_fma_f64 v[22:23], v[14:15], v[18:19], s[14:15]
	s_mov_b32 s14, 0x97eb07de
	s_mov_b32 s15, 0xbdd25103
	v_add_f64 v[22:23], v[22:23], s[6:7]
	s_mov_b32 s6, 0x7e0d1573
	s_mov_b32 s7, 0xbcd3eaaa
	v_fma_f64 v[18:19], v[14:15], v[22:23], -v[18:19]
	v_add_f64 v[18:19], v[18:19], s[6:7]
	s_mov_b32 s6, 0x615290c
	s_mov_b32 s7, 0x3d011d7f
	v_fma_f64 v[22:23], v[14:15], v[18:19], -v[22:23]
	;; [unrolled: 4-line block ×6, first 2 shown]
	v_add_f64 v[22:23], v[22:23], s[6:7]
	s_mov_b32 s7, 0x3fe55555
	s_mov_b32 s6, 0x55555555
	v_cmp_gt_f64_e32 vcc_lo, s[6:7], v[26:27]
	s_mov_b32 s6, 0x55555780
	v_fma_f64 v[18:19], v[14:15], v[22:23], -v[18:19]
	v_cndmask_b32_e64 v28, 0, 1, vcc_lo
	v_ldexp_f64 v[26:27], v[26:27], v28
	v_add_f64 v[18:19], v[18:19], s[14:15]
	s_mov_b32 s14, 0xb43fdf6c
	s_mov_b32 s15, 0x3df8ea34
	v_add_f64 v[28:29], v[26:27], 1.0
	v_add_f64 v[34:35], v[26:27], -1.0
	v_fma_f64 v[22:23], v[14:15], v[18:19], -v[22:23]
	v_rcp_f64_e32 v[30:31], v[28:29]
	v_add_f64 v[36:37], v[28:29], -1.0
	v_add_f64 v[22:23], v[22:23], s[14:15]
	s_mov_b32 s14, 0x28ea67e6
	s_mov_b32 s15, 0xbe20361b
	v_add_f64 v[26:27], v[26:27], -v[36:37]
	v_fma_f64 v[32:33], -v[28:29], v[30:31], 1.0
	v_fma_f64 v[18:19], v[14:15], v[22:23], -v[18:19]
	v_fma_f64 v[30:31], v[32:33], v[30:31], v[30:31]
	v_add_f64 v[18:19], v[18:19], s[14:15]
	s_mov_b32 s14, 0x2395010
	s_mov_b32 s15, 0x3e44258e
	v_fma_f64 v[32:33], -v[28:29], v[30:31], 1.0
	v_fma_f64 v[22:23], v[14:15], v[18:19], -v[22:23]
	v_fma_f64 v[30:31], v[32:33], v[30:31], v[30:31]
	v_add_f64 v[22:23], v[22:23], s[14:15]
	s_mov_b32 s14, 0x24b8c3e8
	s_mov_b32 s15, 0xbe67dd3e
	v_mul_f64 v[32:33], v[34:35], v[30:31]
	v_fma_f64 v[18:19], v[14:15], v[22:23], -v[18:19]
	v_mul_f64 v[38:39], v[28:29], v[32:33]
	v_add_f64 v[18:19], v[18:19], s[14:15]
	s_mov_b32 s14, 0xb347d108
	s_mov_b32 s15, 0x3e8ae344
	v_fma_f64 v[28:29], v[32:33], v[28:29], -v[38:39]
	v_fma_f64 v[22:23], v[14:15], v[18:19], -v[22:23]
	v_fma_f64 v[26:27], v[32:33], v[26:27], v[28:29]
	v_add_f64 v[22:23], v[22:23], s[14:15]
	s_mov_b32 s14, 0x7a0399e0
	s_mov_b32 s15, 0xbce5dd51
	v_fma_f64 v[50:51], v[48:49], s[16:17], s[14:15]
	s_mov_b32 s17, 0x3c603228
	s_mov_b32 s14, 0xddd0e045
	;; [unrolled: 1-line block ×3, first 2 shown]
	v_add_f64 v[28:29], v[38:39], v[26:27]
	v_fma_f64 v[18:19], v[14:15], v[22:23], -v[18:19]
	v_add_f64 v[36:37], v[34:35], -v[28:29]
	v_add_f64 v[38:39], v[28:29], -v[38:39]
	v_add_f64 v[18:19], v[18:19], s[18:19]
	s_mov_b32 s18, 0xd3d694fe
	s_mov_b32 s19, 0xbf2533ca
	v_add_f64 v[34:35], v[34:35], -v[36:37]
	v_add_f64 v[26:27], v[38:39], -v[26:27]
	v_fma_f64 v[22:23], v[14:15], v[18:19], -v[22:23]
	v_add_f64 v[28:29], v[34:35], -v[28:29]
	v_fma_f64 v[34:35], v[48:49], v[50:51], s[16:17]
	s_mov_b32 s16, 0xd511afc5
	s_mov_b32 s17, 0x3ecd1c4e
	v_add_f64 v[22:23], v[22:23], s[16:17]
	s_mov_b32 s16, 0xb8debbcf
	s_mov_b32 s17, 0xbeebd5f9
	v_add_f64 v[26:27], v[26:27], v[28:29]
	v_add_f64 v[28:29], v[34:35], s[14:15]
	s_mov_b32 s14, 0xb84626ca
	s_mov_b32 s15, 0xbde3663b
	v_fma_f64 v[18:19], v[14:15], v[22:23], -v[18:19]
	v_add_f64 v[26:27], v[36:37], v[26:27]
	v_fma_f64 v[34:35], v[48:49], v[28:29], -v[50:51]
	v_add_f64 v[18:19], v[18:19], s[16:17]
	s_mov_b32 s16, 0x42c70d0b
	s_mov_b32 s17, 0x3f0911b5
	v_mul_f64 v[26:27], v[30:31], v[26:27]
	v_add_f64 v[30:31], v[34:35], s[14:15]
	s_mov_b32 s14, 0x145c31d0
	s_mov_b32 s15, 0xbe57c41d
	v_fma_f64 v[22:23], v[14:15], v[18:19], -v[22:23]
	v_add_f64 v[34:35], v[32:33], v[26:27]
	v_fma_f64 v[28:29], v[48:49], v[30:31], -v[28:29]
	v_add_f64 v[22:23], v[22:23], s[16:17]
	s_mov_b32 s16, 0xbf559e2b
	s_mov_b32 s17, 0x3fc3ab76
	v_mul_f64 v[36:37], v[34:35], v[34:35]
	v_add_f64 v[28:29], v[28:29], s[14:15]
	s_mov_b32 s14, 0x6b47b09a
	s_mov_b32 s15, 0x3fc38538
	v_add_f64 v[32:33], v[34:35], -v[32:33]
	v_fma_f64 v[18:19], v[14:15], v[22:23], -v[18:19]
	v_fma_f64 v[38:39], v[36:37], s[16:17], s[14:15]
	v_fma_f64 v[30:31], v[48:49], v[28:29], -v[30:31]
	s_mov_b32 s14, 0x2c832e3a
	s_mov_b32 s15, 0xbec469b3
	;; [unrolled: 1-line block ×4, first 2 shown]
	v_mul_f64 v[50:51], v[34:35], v[36:37]
	v_add_f64 v[26:27], v[26:27], -v[32:33]
	v_add_f64 v[18:19], v[18:19], s[18:19]
	s_mov_b32 s18, 0xb6c6df7d
	s_mov_b32 s19, 0x3f40c95d
	v_fma_f64 v[38:39], v[36:37], v[38:39], s[16:17]
	v_add_f64 v[30:31], v[30:31], s[14:15]
	s_mov_b32 s14, 0x16291751
	s_mov_b32 s15, 0x3fcc71c0
	s_mov_b32 s16, 0x9b27acf1
	s_mov_b32 s17, 0x3fd24924
	v_ldexp_f64 v[26:27], v[26:27], 1
	v_fma_f64 v[22:23], v[14:15], v[18:19], -v[22:23]
	v_fma_f64 v[38:39], v[36:37], v[38:39], s[14:15]
	v_fma_f64 v[28:29], v[48:49], v[30:31], -v[28:29]
	s_mov_b32 s14, 0xe5a3bd02
	s_mov_b32 s15, 0xbf26ade2
	v_add_f64 v[22:23], v[22:23], s[18:19]
	s_mov_b32 s18, 0xe7bb2349
	s_mov_b32 s19, 0x3f9951e3
	v_fma_f64 v[38:39], v[36:37], v[38:39], s[16:17]
	v_add_f64 v[28:29], v[28:29], s[14:15]
	s_mov_b32 s14, 0x998ef7b6
	s_mov_b32 s15, 0x3fd99999
	;; [unrolled: 1-line block ×4, first 2 shown]
	v_fma_f64 v[18:19], v[14:15], v[22:23], -v[18:19]
	v_fma_f64 v[38:39], v[36:37], v[38:39], s[14:15]
	v_fma_f64 v[30:31], v[48:49], v[28:29], -v[30:31]
	s_mov_b32 s14, 0x9d7d4192
	s_mov_b32 s15, 0xbf7c9293
	v_add_f64 v[18:19], v[18:19], s[16:17]
	s_mov_b32 s16, 0x49d3a1b4
	s_mov_b32 s17, 0x3f710653
	v_fma_f64 v[36:37], v[36:37], v[38:39], s[6:7]
	v_add_f64 v[30:31], v[30:31], s[14:15]
	v_ldexp_f64 v[38:39], v[34:35], 1
	s_mov_b32 s6, 0x43c1db74
	s_mov_b32 s7, 0xbfbf6372
	;; [unrolled: 1-line block ×4, first 2 shown]
	v_fma_f64 v[22:23], v[14:15], v[18:19], -v[22:23]
	v_mul_f64 v[36:37], v[50:51], v[36:37]
	v_fma_f64 v[28:29], v[48:49], v[30:31], -v[28:29]
	v_subrev_co_ci_u32_e64 v50, null, 0, v52, vcc_lo
	v_mul_f64 v[52:53], v[16:17], s[14:15]
	s_mov_b32 s14, 0x757b0dd4
	s_mov_b32 s15, 0xbfd69a1b
	v_cvt_f64_i32_e32 v[50:51], v50
	v_add_f64 v[22:23], v[22:23], s[16:17]
	s_mov_b32 s16, 0x7913a26a
	s_mov_b32 s17, 0xbf85a29f
	v_add_f64 v[34:35], v[38:39], v[36:37]
	v_add_f64 v[28:29], v[28:29], s[6:7]
	s_mov_b32 s7, 0x3fe62e42
	s_mov_b32 s6, 0xfefa39ef
	v_mul_f64 v[54:55], v[50:51], s[6:7]
	v_fma_f64 v[18:19], v[14:15], v[22:23], -v[18:19]
	v_add_f64 v[32:33], v[34:35], -v[38:39]
	v_fma_f64 v[30:31], v[48:49], v[28:29], -v[30:31]
	v_rndne_f64_e32 v[38:39], v[52:53]
	v_fma_f64 v[52:53], v[50:51], s[6:7], -v[54:55]
	s_mov_b32 s7, 0xbfe62e42
	v_add_f64 v[18:19], v[18:19], s[16:17]
	s_mov_b32 s16, 0x6a5dcb37
	s_mov_b32 s17, 0x3e5ade15
	v_add_f64 v[32:33], v[36:37], -v[32:33]
	v_add_f64 v[30:31], v[30:31], s[14:15]
	v_fma_f64 v[36:37], v[38:39], s[6:7], v[16:17]
	s_mov_b32 s7, 0x3c7abc9e
	s_mov_b32 s6, 0x3b39803f
	s_mov_b32 s14, 0xfca7ab0c
	s_mov_b32 s15, 0x3e928af3
	v_fma_f64 v[50:51], v[50:51], s[6:7], v[52:53]
	s_mov_b32 s7, 0xbc7abc9e
	v_fma_f64 v[22:23], v[14:15], v[18:19], -v[22:23]
	v_add_f64 v[26:27], v[26:27], v[32:33]
	v_fma_f64 v[30:31], v[48:49], v[30:31], -v[28:29]
	v_fma_f64 v[32:33], v[38:39], s[6:7], v[36:37]
	s_mov_b32 s6, 0x361008ca
	s_mov_b32 s7, 0x3ff867a1
	v_add_f64 v[36:37], v[54:55], v[50:51]
	v_add_f64 v[22:23], v[22:23], s[18:19]
	;; [unrolled: 1-line block ×4, first 2 shown]
	v_fma_f64 v[52:53], v[32:33], s[16:17], s[14:15]
	s_mov_b32 s6, 0x623fde64
	s_mov_b32 s7, 0x3ec71dee
	;; [unrolled: 1-line block ×4, first 2 shown]
	v_add_f64 v[54:55], v[36:37], -v[54:55]
	v_fma_f64 v[18:19], v[14:15], v[22:23], -v[18:19]
	v_add_f64 v[64:65], v[36:37], v[48:49]
	v_add_f64 v[28:29], v[30:31], -v[28:29]
	v_fma_f64 v[52:53], v[32:33], v[52:53], s[6:7]
	s_mov_b32 s6, 0x7c89e6b0
	s_mov_b32 s7, 0x3efa0199
	v_add_f64 v[34:35], v[48:49], -v[34:35]
	v_add_f64 v[50:51], v[50:51], -v[54:55]
	v_add_f64 v[18:19], v[18:19], s[14:15]
	s_mov_b32 s14, 0xd536f53c
	s_mov_b32 s15, 0x3fba46da
	v_add_f64 v[30:31], v[64:65], -v[36:37]
	v_mul_f64 v[28:29], v[28:29], 0.5
	v_fma_f64 v[52:53], v[32:33], v[52:53], s[6:7]
	s_mov_b32 s6, 0x14761f6e
	s_mov_b32 s7, 0x3f2a01a0
	v_add_f64 v[26:27], v[26:27], -v[34:35]
	v_fma_f64 v[22:23], v[14:15], v[18:19], -v[22:23]
	v_add_f64 v[66:67], v[64:65], -v[30:31]
	v_div_scale_f64 v[68:69], null, v[16:17], v[16:17], v[28:29]
	v_fma_f64 v[52:53], v[32:33], v[52:53], s[6:7]
	s_mov_b32 s6, 0x1852b7b0
	s_mov_b32 s7, 0x3f56c16c
	v_add_f64 v[30:31], v[48:49], -v[30:31]
	v_add_f64 v[22:23], v[22:23], s[14:15]
	s_mov_b32 s14, 0x469192e
	s_mov_b32 s15, 0xbfc694d1
	v_add_f64 v[34:35], v[36:37], -v[66:67]
	v_rcp_f64_e32 v[48:49], v[68:69]
	v_fma_f64 v[36:37], v[32:33], v[52:53], s[6:7]
	s_mov_b32 s6, 0x11122322
	s_mov_b32 s7, 0x3f811111
	v_add_f64 v[52:53], v[50:51], v[26:27]
	v_fma_f64 v[18:19], v[14:15], v[22:23], -v[18:19]
	v_add_f64 v[30:31], v[30:31], v[34:35]
	v_fma_f64 v[34:35], v[32:33], v[36:37], s[6:7]
	v_fma_f64 v[36:37], -v[68:69], v[48:49], 1.0
	s_mov_b32 s6, 0x555502a1
	s_mov_b32 s7, 0x3fa55555
	v_add_f64 v[54:55], v[52:53], -v[50:51]
	v_add_f64 v[18:19], v[18:19], s[14:15]
	s_mov_b32 s14, 0x724a7ffa
	s_mov_b32 s15, 0x3fd02a63
	v_add_f64 v[30:31], v[52:53], v[30:31]
	v_fma_f64 v[34:35], v[32:33], v[34:35], s[6:7]
	v_fma_f64 v[36:37], v[48:49], v[36:37], v[48:49]
	s_mov_b32 s6, 0x55555511
	s_mov_b32 s7, 0x3fc55555
	v_add_f64 v[48:49], v[52:53], -v[54:55]
	v_add_f64 v[26:27], v[26:27], -v[54:55]
	v_div_scale_f64 v[54:55], vcc_lo, v[28:29], v[16:17], v[28:29]
	v_fma_f64 v[14:15], v[14:15], v[18:19], -v[22:23]
	v_add_f64 v[52:53], v[64:65], v[30:31]
	v_fma_f64 v[34:35], v[32:33], v[34:35], s[6:7]
	v_fma_f64 v[18:19], -v[68:69], v[36:37], 1.0
	s_mov_b32 s6, 11
	s_mov_b32 s7, 0x3fe00000
	v_add_f64 v[48:49], v[50:51], -v[48:49]
	v_add_f64 v[14:15], v[14:15], s[14:15]
	v_add_f64 v[50:51], v[52:53], -v[64:65]
	v_fma_f64 v[34:35], v[32:33], v[34:35], s[6:7]
	v_fma_f64 v[18:19], v[36:37], v[18:19], v[36:37]
	v_cvt_i32_f64_e32 v36, v[38:39]
	v_add_f64 v[26:27], v[26:27], v[48:49]
	v_add_f64 v[14:15], v[14:15], -v[22:23]
	v_add_f64 v[30:31], v[30:31], -v[50:51]
	v_fma_f64 v[34:35], v[32:33], v[34:35], 1.0
	v_mul_f64 v[22:23], v[54:55], v[18:19]
	v_mul_f64 v[14:15], v[14:15], 0.5
	v_add_f64 v[26:27], v[26:27], v[30:31]
	v_fma_f64 v[30:31], v[32:33], v[34:35], 1.0
	v_fma_f64 v[32:33], -v[68:69], v[22:23], v[54:55]
	v_mul_f64 v[14:15], v[16:17], v[14:15]
	v_add_f64 v[26:27], v[52:53], v[26:27]
	v_ldexp_f64 v[30:31], v[30:31], v36
	v_div_fmas_f64 v[18:19], v[32:33], v[18:19], v[22:23]
	v_cmp_neq_f64_e32 vcc_lo, 0x7ff00000, v[24:25]
	v_mul_f64 v[14:15], v[30:31], v[14:15]
	v_div_fixup_f64 v[16:17], v[18:19], v[16:17], v[28:29]
	v_cndmask_b32_e32 v22, 0x7ff00000, v27, vcc_lo
	s_and_b32 vcc_lo, s5, vcc_lo
	v_cndmask_b32_e32 v18, 0, v26, vcc_lo
	v_cndmask_b32_e64 v19, 0xfff00000, v22, s5
	v_fma_f64 v[14:15], v[18:19], v[14:15], v[16:17]
                                        ; implicit-def: $vgpr16_vgpr17
.LBB0_23:
	s_andn2_saveexec_b32 s6, s12
	s_cbranch_execz .LBB0_25
; %bb.24:
	v_div_scale_f64 v[14:15], null, v[16:17], v[16:17], 0x40200000
	v_div_scale_f64 v[24:25], vcc_lo, 0x40200000, v[16:17], 0x40200000
	s_mov_b32 s12, 0x838f5ed3
	s_mov_b32 s13, 0x3c74af1a
	;; [unrolled: 1-line block ×4, first 2 shown]
	v_cmp_nlt_f64_e64 s5, 0x4090cc00, v[16:17]
	v_rcp_f64_e32 v[18:19], v[14:15]
	v_fma_f64 v[22:23], -v[14:15], v[18:19], 1.0
	v_fma_f64 v[18:19], v[18:19], v[22:23], v[18:19]
	v_fma_f64 v[22:23], -v[14:15], v[18:19], 1.0
	v_fma_f64 v[18:19], v[18:19], v[22:23], v[18:19]
	v_mul_f64 v[22:23], v[24:25], v[18:19]
	v_fma_f64 v[14:15], -v[14:15], v[22:23], v[24:25]
	v_div_fmas_f64 v[14:15], v[14:15], v[18:19], v[22:23]
	v_cmp_gt_f64_e32 vcc_lo, 0x10000000, v[16:17]
	v_div_fixup_f64 v[14:15], v[14:15], v[16:17], 0x40200000
	v_cndmask_b32_e64 v30, 0, 0x100, vcc_lo
	v_ldexp_f64 v[30:31], v[16:17], v30
	v_add_f64 v[14:15], v[14:15], -2.0
	v_rsq_f64_e32 v[32:33], v[30:31]
	v_fma_f64 v[18:19], v[14:15], s[14:15], s[12:13]
	s_mov_b32 s15, 0x3c5a8c5d
	s_mov_b32 s12, 0x17771d52
	;; [unrolled: 1-line block ×3, first 2 shown]
	v_mul_f64 v[34:35], v[30:31], v[32:33]
	v_mul_f64 v[32:33], v[32:33], 0.5
	v_fma_f64 v[22:23], v[14:15], v[18:19], s[14:15]
	s_mov_b32 s14, 0x6a5dcb37
	s_mov_b32 s15, 0x3e5ade15
	v_fma_f64 v[36:37], -v[32:33], v[34:35], 0.5
	v_add_f64 v[22:23], v[22:23], s[12:13]
	s_mov_b32 s12, 0x44ee2c0b
	s_mov_b32 s13, 0x3caa7d5e
	v_fma_f64 v[34:35], v[34:35], v[36:37], v[34:35]
	v_fma_f64 v[32:33], v[32:33], v[36:37], v[32:33]
	v_fma_f64 v[18:19], v[14:15], v[22:23], -v[18:19]
	v_fma_f64 v[36:37], -v[34:35], v[34:35], v[30:31]
	v_add_f64 v[18:19], v[18:19], s[12:13]
	s_mov_b32 s12, 0xd8758ef2
	s_mov_b32 s13, 0xbcc5d2a3
	v_fma_f64 v[22:23], v[14:15], v[18:19], -v[22:23]
	v_add_f64 v[22:23], v[22:23], s[12:13]
	s_mov_b32 s12, 0xefee81bd
	s_mov_b32 s13, 0x3ce25ced
	v_fma_f64 v[18:19], v[14:15], v[22:23], -v[18:19]
	;; [unrolled: 4-line block ×14, first 2 shown]
	v_add_f64 v[18:19], v[18:19], s[12:13]
	s_mov_b32 s12, 0x652b82fe
	s_mov_b32 s13, 0xbff71547
	v_mul_f64 v[24:25], v[16:17], s[12:13]
	s_mov_b32 s12, 0x8fada5c6
	s_mov_b32 s13, 0xbe978052
	v_fma_f64 v[22:23], v[14:15], v[18:19], -v[22:23]
	v_rndne_f64_e32 v[24:25], v[24:25]
	v_add_f64 v[22:23], v[22:23], s[12:13]
	s_mov_b32 s12, 0xfefa39ef
	s_mov_b32 s13, 0xbfe62e42
	v_fma_f64 v[26:27], v[24:25], s[12:13], -v[16:17]
	s_mov_b32 s12, 0x3b39803f
	s_mov_b32 s13, 0xbc7abc9e
	v_cndmask_b32_e64 v16, 0, 0xffffff80, vcc_lo
	v_cmp_class_f64_e64 vcc_lo, v[30:31], 0x260
	v_fma_f64 v[18:19], v[14:15], v[22:23], -v[18:19]
	v_fma_f64 v[26:27], v[24:25], s[12:13], v[26:27]
	s_mov_b32 s12, 0x1752d1b6
	s_mov_b32 s13, 0x3ec42fe3
	v_add_f64 v[18:19], v[18:19], s[12:13]
	s_mov_b32 s12, 0xfca7ab0c
	s_mov_b32 s13, 0x3e928af3
	v_fma_f64 v[28:29], v[26:27], s[14:15], s[12:13]
	s_mov_b32 s12, 0x623fde64
	s_mov_b32 s13, 0x3ec71dee
	v_fma_f64 v[22:23], v[14:15], v[18:19], -v[22:23]
	v_fma_f64 v[28:29], v[26:27], v[28:29], s[12:13]
	s_mov_b32 s12, 0x1dcdb2e5
	s_mov_b32 s13, 0xbef44d71
	v_add_f64 v[22:23], v[22:23], s[12:13]
	s_mov_b32 s12, 0x7c89e6b0
	s_mov_b32 s13, 0x3efa0199
	v_fma_f64 v[28:29], v[26:27], v[28:29], s[12:13]
	s_mov_b32 s12, 0x14761f6e
	s_mov_b32 s13, 0x3f2a01a0
	;; [unrolled: 10-line block ×5, first 2 shown]
	v_fma_f64 v[14:15], v[14:15], v[18:19], -v[22:23]
	v_fma_f64 v[18:19], v[36:37], v[32:33], v[34:35]
	v_cvt_i32_f64_e32 v36, v[24:25]
	v_fma_f64 v[28:29], v[26:27], v[28:29], 1.0
	v_add_f64 v[14:15], v[14:15], s[12:13]
	v_fma_f64 v[34:35], -v[18:19], v[18:19], v[30:31]
	v_fma_f64 v[24:25], v[26:27], v[28:29], 1.0
	v_add_f64 v[14:15], v[14:15], -v[22:23]
	v_fma_f64 v[18:19], v[34:35], v[32:33], v[18:19]
	v_ldexp_f64 v[22:23], v[24:25], v36
	v_mul_f64 v[14:15], v[14:15], 0.5
	v_ldexp_f64 v[16:17], v[18:19], v16
	v_cndmask_b32_e64 v19, 0, v23, s5
	v_cndmask_b32_e64 v18, 0, v22, s5
	v_mul_f64 v[14:15], v[18:19], v[14:15]
	v_cndmask_b32_e32 v17, v17, v31, vcc_lo
	v_cndmask_b32_e32 v16, v16, v30, vcc_lo
	v_div_scale_f64 v[18:19], null, v[16:17], v[16:17], v[14:15]
	v_rcp_f64_e32 v[22:23], v[18:19]
	v_fma_f64 v[24:25], -v[18:19], v[22:23], 1.0
	v_fma_f64 v[22:23], v[22:23], v[24:25], v[22:23]
	v_fma_f64 v[24:25], -v[18:19], v[22:23], 1.0
	v_fma_f64 v[22:23], v[22:23], v[24:25], v[22:23]
	v_div_scale_f64 v[24:25], vcc_lo, v[14:15], v[16:17], v[14:15]
	v_mul_f64 v[26:27], v[24:25], v[22:23]
	v_fma_f64 v[18:19], -v[18:19], v[26:27], v[24:25]
	v_div_fmas_f64 v[18:19], v[18:19], v[22:23], v[26:27]
	v_div_fixup_f64 v[14:15], v[18:19], v[16:17], v[14:15]
.LBB0_25:
	s_or_b32 exec_lo, exec_lo, s6
.LBB0_26:
	s_or_b32 exec_lo, exec_lo, s11
.LBB0_27:
	s_or_b32 exec_lo, exec_lo, s10
.LBB0_28:
	s_or_b32 exec_lo, exec_lo, s9
	s_waitcnt vmcnt(0) lgkmcnt(0)
	v_add_nc_u32_e32 v16, 0x200, v20
	s_mov_b32 s9, exec_lo
	v_cmpx_lt_i32_e64 v16, v4
	s_cbranch_execz .LBB0_38
; %bb.29:
	v_mov_b32_e32 v12, 0
	v_mov_b32_e32 v13, 0x7ff00000
	s_mov_b32 s10, exec_lo
	v_cmpx_neq_f64_e32 0, v[8:9]
	s_cbranch_execz .LBB0_37
; %bb.30:
	v_mov_b32_e32 v12, 0
	v_mov_b32_e32 v13, 0x7ff80000
	s_mov_b32 s11, exec_lo
	v_cmpx_ngt_f64_e32 0, v[8:9]
	s_cbranch_execz .LBB0_36
; %bb.31:
	s_mov_b32 s5, exec_lo
	v_cmpx_ge_f64_e32 2.0, v[8:9]
	s_xor_b32 s12, exec_lo, s5
                                        ; implicit-def: $vgpr12_vgpr13
	s_cbranch_execz .LBB0_33
; %bb.32:
	v_fma_f64 v[12:13], v[8:9], 0.5, -2.0
	s_mov_b32 s6, 0xc38a0576
	s_mov_b32 s7, 0xbc7857d0
	;; [unrolled: 1-line block ×4, first 2 shown]
	v_mul_f64 v[22:23], v[8:9], 0.5
	v_fma_f64 v[38:39], v[8:9], v[8:9], -2.0
	s_mov_b32 s17, 0xbc603228
	s_mov_b32 s16, 0x3d3cda56
	;; [unrolled: 1-line block ×4, first 2 shown]
	v_fma_f64 v[16:17], v[12:13], s[14:15], s[6:7]
	s_mov_b32 s15, 0xbc499f2a
	s_mov_b32 s6, 0xe593bfac
	;; [unrolled: 1-line block ×3, first 2 shown]
	v_frexp_mant_f64_e32 v[24:25], v[22:23]
	v_frexp_exp_i32_f64_e32 v50, v[22:23]
	v_cmp_neq_f64_e64 s5, 0, v[22:23]
	v_fma_f64 v[18:19], v[12:13], v[16:17], s[14:15]
	s_mov_b32 s14, 0x97eb07de
	s_mov_b32 s15, 0xbdd25103
	v_add_f64 v[18:19], v[18:19], s[6:7]
	s_mov_b32 s6, 0x7e0d1573
	s_mov_b32 s7, 0xbcd3eaaa
	v_fma_f64 v[16:17], v[12:13], v[18:19], -v[16:17]
	v_add_f64 v[16:17], v[16:17], s[6:7]
	s_mov_b32 s6, 0x615290c
	s_mov_b32 s7, 0x3d011d7f
	v_fma_f64 v[18:19], v[12:13], v[16:17], -v[18:19]
	;; [unrolled: 4-line block ×6, first 2 shown]
	v_add_f64 v[18:19], v[18:19], s[6:7]
	s_mov_b32 s7, 0x3fe55555
	s_mov_b32 s6, 0x55555555
	v_cmp_gt_f64_e32 vcc_lo, s[6:7], v[24:25]
	s_mov_b32 s6, 0x55555780
	v_fma_f64 v[16:17], v[12:13], v[18:19], -v[16:17]
	v_cndmask_b32_e64 v26, 0, 1, vcc_lo
	v_ldexp_f64 v[24:25], v[24:25], v26
	v_add_f64 v[16:17], v[16:17], s[14:15]
	s_mov_b32 s14, 0xb43fdf6c
	s_mov_b32 s15, 0x3df8ea34
	v_add_f64 v[26:27], v[24:25], 1.0
	v_add_f64 v[32:33], v[24:25], -1.0
	v_fma_f64 v[18:19], v[12:13], v[16:17], -v[18:19]
	v_rcp_f64_e32 v[28:29], v[26:27]
	v_add_f64 v[34:35], v[26:27], -1.0
	v_add_f64 v[18:19], v[18:19], s[14:15]
	s_mov_b32 s14, 0x28ea67e6
	s_mov_b32 s15, 0xbe20361b
	v_add_f64 v[24:25], v[24:25], -v[34:35]
	v_fma_f64 v[30:31], -v[26:27], v[28:29], 1.0
	v_fma_f64 v[16:17], v[12:13], v[18:19], -v[16:17]
	v_fma_f64 v[28:29], v[30:31], v[28:29], v[28:29]
	v_add_f64 v[16:17], v[16:17], s[14:15]
	s_mov_b32 s14, 0x2395010
	s_mov_b32 s15, 0x3e44258e
	v_fma_f64 v[30:31], -v[26:27], v[28:29], 1.0
	v_fma_f64 v[18:19], v[12:13], v[16:17], -v[18:19]
	v_fma_f64 v[28:29], v[30:31], v[28:29], v[28:29]
	v_add_f64 v[18:19], v[18:19], s[14:15]
	s_mov_b32 s14, 0x24b8c3e8
	s_mov_b32 s15, 0xbe67dd3e
	v_mul_f64 v[30:31], v[32:33], v[28:29]
	v_fma_f64 v[16:17], v[12:13], v[18:19], -v[16:17]
	v_mul_f64 v[36:37], v[26:27], v[30:31]
	v_add_f64 v[16:17], v[16:17], s[14:15]
	s_mov_b32 s14, 0xb347d108
	s_mov_b32 s15, 0x3e8ae344
	v_fma_f64 v[26:27], v[30:31], v[26:27], -v[36:37]
	v_fma_f64 v[18:19], v[12:13], v[16:17], -v[18:19]
	v_fma_f64 v[24:25], v[30:31], v[24:25], v[26:27]
	v_add_f64 v[18:19], v[18:19], s[14:15]
	s_mov_b32 s14, 0x7a0399e0
	s_mov_b32 s15, 0xbce5dd51
	v_fma_f64 v[48:49], v[38:39], s[16:17], s[14:15]
	s_mov_b32 s17, 0x3c603228
	s_mov_b32 s14, 0xddd0e045
	;; [unrolled: 1-line block ×3, first 2 shown]
	v_add_f64 v[26:27], v[36:37], v[24:25]
	v_fma_f64 v[16:17], v[12:13], v[18:19], -v[16:17]
	v_add_f64 v[34:35], v[32:33], -v[26:27]
	v_add_f64 v[36:37], v[26:27], -v[36:37]
	v_add_f64 v[16:17], v[16:17], s[18:19]
	s_mov_b32 s18, 0xd3d694fe
	s_mov_b32 s19, 0xbf2533ca
	v_add_f64 v[32:33], v[32:33], -v[34:35]
	v_add_f64 v[24:25], v[36:37], -v[24:25]
	v_fma_f64 v[18:19], v[12:13], v[16:17], -v[18:19]
	v_add_f64 v[26:27], v[32:33], -v[26:27]
	v_fma_f64 v[32:33], v[38:39], v[48:49], s[16:17]
	s_mov_b32 s16, 0xd511afc5
	s_mov_b32 s17, 0x3ecd1c4e
	v_add_f64 v[18:19], v[18:19], s[16:17]
	s_mov_b32 s16, 0xb8debbcf
	s_mov_b32 s17, 0xbeebd5f9
	v_add_f64 v[24:25], v[24:25], v[26:27]
	v_add_f64 v[26:27], v[32:33], s[14:15]
	s_mov_b32 s14, 0xb84626ca
	s_mov_b32 s15, 0xbde3663b
	v_fma_f64 v[16:17], v[12:13], v[18:19], -v[16:17]
	v_add_f64 v[24:25], v[34:35], v[24:25]
	v_fma_f64 v[32:33], v[38:39], v[26:27], -v[48:49]
	v_add_f64 v[16:17], v[16:17], s[16:17]
	s_mov_b32 s16, 0x42c70d0b
	s_mov_b32 s17, 0x3f0911b5
	v_mul_f64 v[24:25], v[28:29], v[24:25]
	v_add_f64 v[28:29], v[32:33], s[14:15]
	s_mov_b32 s14, 0x145c31d0
	s_mov_b32 s15, 0xbe57c41d
	v_fma_f64 v[18:19], v[12:13], v[16:17], -v[18:19]
	v_add_f64 v[32:33], v[30:31], v[24:25]
	v_fma_f64 v[26:27], v[38:39], v[28:29], -v[26:27]
	v_add_f64 v[18:19], v[18:19], s[16:17]
	s_mov_b32 s16, 0xbf559e2b
	s_mov_b32 s17, 0x3fc3ab76
	v_mul_f64 v[34:35], v[32:33], v[32:33]
	v_add_f64 v[26:27], v[26:27], s[14:15]
	s_mov_b32 s14, 0x6b47b09a
	s_mov_b32 s15, 0x3fc38538
	v_add_f64 v[30:31], v[32:33], -v[30:31]
	v_fma_f64 v[16:17], v[12:13], v[18:19], -v[16:17]
	v_fma_f64 v[36:37], v[34:35], s[16:17], s[14:15]
	v_fma_f64 v[28:29], v[38:39], v[26:27], -v[28:29]
	s_mov_b32 s14, 0x2c832e3a
	s_mov_b32 s15, 0xbec469b3
	;; [unrolled: 1-line block ×4, first 2 shown]
	v_mul_f64 v[48:49], v[32:33], v[34:35]
	v_add_f64 v[24:25], v[24:25], -v[30:31]
	v_add_f64 v[16:17], v[16:17], s[18:19]
	s_mov_b32 s18, 0xb6c6df7d
	s_mov_b32 s19, 0x3f40c95d
	v_fma_f64 v[36:37], v[34:35], v[36:37], s[16:17]
	v_add_f64 v[28:29], v[28:29], s[14:15]
	s_mov_b32 s14, 0x16291751
	s_mov_b32 s15, 0x3fcc71c0
	;; [unrolled: 1-line block ×4, first 2 shown]
	v_ldexp_f64 v[24:25], v[24:25], 1
	v_fma_f64 v[18:19], v[12:13], v[16:17], -v[18:19]
	v_fma_f64 v[36:37], v[34:35], v[36:37], s[14:15]
	v_fma_f64 v[26:27], v[38:39], v[28:29], -v[26:27]
	s_mov_b32 s14, 0xe5a3bd02
	s_mov_b32 s15, 0xbf26ade2
	v_add_f64 v[18:19], v[18:19], s[18:19]
	s_mov_b32 s18, 0xe7bb2349
	s_mov_b32 s19, 0x3f9951e3
	v_fma_f64 v[36:37], v[34:35], v[36:37], s[16:17]
	v_add_f64 v[26:27], v[26:27], s[14:15]
	s_mov_b32 s14, 0x998ef7b6
	s_mov_b32 s15, 0x3fd99999
	;; [unrolled: 1-line block ×4, first 2 shown]
	v_fma_f64 v[16:17], v[12:13], v[18:19], -v[16:17]
	v_fma_f64 v[36:37], v[34:35], v[36:37], s[14:15]
	v_fma_f64 v[28:29], v[38:39], v[26:27], -v[28:29]
	s_mov_b32 s14, 0x9d7d4192
	s_mov_b32 s15, 0xbf7c9293
	v_add_f64 v[16:17], v[16:17], s[16:17]
	s_mov_b32 s16, 0x49d3a1b4
	s_mov_b32 s17, 0x3f710653
	v_fma_f64 v[34:35], v[34:35], v[36:37], s[6:7]
	v_add_f64 v[28:29], v[28:29], s[14:15]
	v_ldexp_f64 v[36:37], v[32:33], 1
	s_mov_b32 s6, 0x43c1db74
	s_mov_b32 s7, 0xbfbf6372
	;; [unrolled: 1-line block ×4, first 2 shown]
	v_fma_f64 v[18:19], v[12:13], v[16:17], -v[18:19]
	v_mul_f64 v[34:35], v[48:49], v[34:35]
	v_fma_f64 v[26:27], v[38:39], v[28:29], -v[26:27]
	v_subrev_co_ci_u32_e64 v48, null, 0, v50, vcc_lo
	v_mul_f64 v[50:51], v[8:9], s[14:15]
	s_mov_b32 s14, 0x757b0dd4
	s_mov_b32 s15, 0xbfd69a1b
	v_cvt_f64_i32_e32 v[48:49], v48
	v_add_f64 v[18:19], v[18:19], s[16:17]
	s_mov_b32 s16, 0x7913a26a
	s_mov_b32 s17, 0xbf85a29f
	v_add_f64 v[32:33], v[36:37], v[34:35]
	v_add_f64 v[26:27], v[26:27], s[6:7]
	s_mov_b32 s7, 0x3fe62e42
	s_mov_b32 s6, 0xfefa39ef
	v_mul_f64 v[52:53], v[48:49], s[6:7]
	v_fma_f64 v[16:17], v[12:13], v[18:19], -v[16:17]
	v_add_f64 v[30:31], v[32:33], -v[36:37]
	v_fma_f64 v[28:29], v[38:39], v[26:27], -v[28:29]
	v_rndne_f64_e32 v[36:37], v[50:51]
	v_fma_f64 v[50:51], v[48:49], s[6:7], -v[52:53]
	s_mov_b32 s7, 0xbfe62e42
	v_add_f64 v[16:17], v[16:17], s[16:17]
	s_mov_b32 s16, 0x6a5dcb37
	s_mov_b32 s17, 0x3e5ade15
	v_add_f64 v[30:31], v[34:35], -v[30:31]
	v_add_f64 v[28:29], v[28:29], s[14:15]
	v_fma_f64 v[34:35], v[36:37], s[6:7], v[8:9]
	s_mov_b32 s7, 0x3c7abc9e
	s_mov_b32 s6, 0x3b39803f
	;; [unrolled: 1-line block ×4, first 2 shown]
	v_fma_f64 v[48:49], v[48:49], s[6:7], v[50:51]
	s_mov_b32 s7, 0xbc7abc9e
	v_fma_f64 v[18:19], v[12:13], v[16:17], -v[18:19]
	v_add_f64 v[24:25], v[24:25], v[30:31]
	v_fma_f64 v[28:29], v[38:39], v[28:29], -v[26:27]
	v_fma_f64 v[30:31], v[36:37], s[6:7], v[34:35]
	s_mov_b32 s6, 0x361008ca
	s_mov_b32 s7, 0x3ff867a1
	v_add_f64 v[34:35], v[52:53], v[48:49]
	v_add_f64 v[18:19], v[18:19], s[18:19]
	;; [unrolled: 1-line block ×4, first 2 shown]
	v_fma_f64 v[50:51], v[30:31], s[16:17], s[14:15]
	s_mov_b32 s6, 0x623fde64
	s_mov_b32 s7, 0x3ec71dee
	;; [unrolled: 1-line block ×4, first 2 shown]
	v_add_f64 v[52:53], v[34:35], -v[52:53]
	v_fma_f64 v[16:17], v[12:13], v[18:19], -v[16:17]
	v_add_f64 v[54:55], v[34:35], v[38:39]
	v_add_f64 v[26:27], v[28:29], -v[26:27]
	v_fma_f64 v[50:51], v[30:31], v[50:51], s[6:7]
	s_mov_b32 s6, 0x7c89e6b0
	s_mov_b32 s7, 0x3efa0199
	v_add_f64 v[32:33], v[38:39], -v[32:33]
	v_add_f64 v[48:49], v[48:49], -v[52:53]
	v_add_f64 v[16:17], v[16:17], s[14:15]
	s_mov_b32 s14, 0xd536f53c
	s_mov_b32 s15, 0x3fba46da
	v_add_f64 v[28:29], v[54:55], -v[34:35]
	v_mul_f64 v[26:27], v[26:27], 0.5
	v_fma_f64 v[50:51], v[30:31], v[50:51], s[6:7]
	s_mov_b32 s6, 0x14761f6e
	s_mov_b32 s7, 0x3f2a01a0
	v_add_f64 v[24:25], v[24:25], -v[32:33]
	v_fma_f64 v[18:19], v[12:13], v[16:17], -v[18:19]
	v_add_f64 v[64:65], v[54:55], -v[28:29]
	v_div_scale_f64 v[66:67], null, v[8:9], v[8:9], v[26:27]
	v_fma_f64 v[50:51], v[30:31], v[50:51], s[6:7]
	s_mov_b32 s6, 0x1852b7b0
	s_mov_b32 s7, 0x3f56c16c
	v_add_f64 v[28:29], v[38:39], -v[28:29]
	v_add_f64 v[18:19], v[18:19], s[14:15]
	s_mov_b32 s14, 0x469192e
	s_mov_b32 s15, 0xbfc694d1
	v_add_f64 v[32:33], v[34:35], -v[64:65]
	v_rcp_f64_e32 v[38:39], v[66:67]
	v_fma_f64 v[34:35], v[30:31], v[50:51], s[6:7]
	s_mov_b32 s6, 0x11122322
	s_mov_b32 s7, 0x3f811111
	v_add_f64 v[50:51], v[48:49], v[24:25]
	v_fma_f64 v[16:17], v[12:13], v[18:19], -v[16:17]
	v_add_f64 v[28:29], v[28:29], v[32:33]
	v_fma_f64 v[32:33], v[30:31], v[34:35], s[6:7]
	v_fma_f64 v[34:35], -v[66:67], v[38:39], 1.0
	s_mov_b32 s6, 0x555502a1
	s_mov_b32 s7, 0x3fa55555
	v_add_f64 v[52:53], v[50:51], -v[48:49]
	v_add_f64 v[16:17], v[16:17], s[14:15]
	s_mov_b32 s14, 0x724a7ffa
	s_mov_b32 s15, 0x3fd02a63
	v_add_f64 v[28:29], v[50:51], v[28:29]
	v_fma_f64 v[32:33], v[30:31], v[32:33], s[6:7]
	v_fma_f64 v[34:35], v[38:39], v[34:35], v[38:39]
	s_mov_b32 s6, 0x55555511
	s_mov_b32 s7, 0x3fc55555
	v_add_f64 v[38:39], v[50:51], -v[52:53]
	v_add_f64 v[24:25], v[24:25], -v[52:53]
	v_div_scale_f64 v[52:53], vcc_lo, v[26:27], v[8:9], v[26:27]
	v_fma_f64 v[12:13], v[12:13], v[16:17], -v[18:19]
	v_add_f64 v[50:51], v[54:55], v[28:29]
	v_fma_f64 v[32:33], v[30:31], v[32:33], s[6:7]
	v_fma_f64 v[16:17], -v[66:67], v[34:35], 1.0
	s_mov_b32 s6, 11
	s_mov_b32 s7, 0x3fe00000
	v_add_f64 v[38:39], v[48:49], -v[38:39]
	v_add_f64 v[12:13], v[12:13], s[14:15]
	v_add_f64 v[48:49], v[50:51], -v[54:55]
	v_fma_f64 v[32:33], v[30:31], v[32:33], s[6:7]
	v_fma_f64 v[16:17], v[34:35], v[16:17], v[34:35]
	v_cvt_i32_f64_e32 v34, v[36:37]
	v_add_f64 v[24:25], v[24:25], v[38:39]
	v_add_f64 v[12:13], v[12:13], -v[18:19]
	v_add_f64 v[28:29], v[28:29], -v[48:49]
	v_fma_f64 v[32:33], v[30:31], v[32:33], 1.0
	v_mul_f64 v[18:19], v[52:53], v[16:17]
	v_mul_f64 v[12:13], v[12:13], 0.5
	v_add_f64 v[24:25], v[24:25], v[28:29]
	v_fma_f64 v[28:29], v[30:31], v[32:33], 1.0
	v_fma_f64 v[30:31], -v[66:67], v[18:19], v[52:53]
	v_mul_f64 v[12:13], v[8:9], v[12:13]
	v_add_f64 v[24:25], v[50:51], v[24:25]
	v_ldexp_f64 v[28:29], v[28:29], v34
	v_div_fmas_f64 v[16:17], v[30:31], v[16:17], v[18:19]
	v_cmp_neq_f64_e32 vcc_lo, 0x7ff00000, v[22:23]
	v_mul_f64 v[12:13], v[28:29], v[12:13]
	v_div_fixup_f64 v[8:9], v[16:17], v[8:9], v[26:27]
	v_cndmask_b32_e32 v18, 0x7ff00000, v25, vcc_lo
	s_and_b32 vcc_lo, s5, vcc_lo
	v_cndmask_b32_e32 v16, 0, v24, vcc_lo
	v_cndmask_b32_e64 v17, 0xfff00000, v18, s5
	v_fma_f64 v[12:13], v[16:17], v[12:13], v[8:9]
                                        ; implicit-def: $vgpr8_vgpr9
.LBB0_33:
	s_andn2_saveexec_b32 s6, s12
	s_cbranch_execz .LBB0_35
; %bb.34:
	v_div_scale_f64 v[12:13], null, v[8:9], v[8:9], 0x40200000
	v_div_scale_f64 v[22:23], vcc_lo, 0x40200000, v[8:9], 0x40200000
	s_mov_b32 s12, 0x838f5ed3
	s_mov_b32 s13, 0x3c74af1a
	;; [unrolled: 1-line block ×4, first 2 shown]
	v_cmp_nlt_f64_e64 s5, 0x4090cc00, v[8:9]
	v_rcp_f64_e32 v[16:17], v[12:13]
	v_fma_f64 v[18:19], -v[12:13], v[16:17], 1.0
	v_fma_f64 v[16:17], v[16:17], v[18:19], v[16:17]
	v_fma_f64 v[18:19], -v[12:13], v[16:17], 1.0
	v_fma_f64 v[16:17], v[16:17], v[18:19], v[16:17]
	v_mul_f64 v[18:19], v[22:23], v[16:17]
	v_fma_f64 v[12:13], -v[12:13], v[18:19], v[22:23]
	v_div_fmas_f64 v[12:13], v[12:13], v[16:17], v[18:19]
	v_cmp_gt_f64_e32 vcc_lo, 0x10000000, v[8:9]
	v_div_fixup_f64 v[12:13], v[12:13], v[8:9], 0x40200000
	v_cndmask_b32_e64 v28, 0, 0x100, vcc_lo
	v_ldexp_f64 v[28:29], v[8:9], v28
	v_add_f64 v[12:13], v[12:13], -2.0
	v_rsq_f64_e32 v[30:31], v[28:29]
	v_fma_f64 v[16:17], v[12:13], s[14:15], s[12:13]
	s_mov_b32 s15, 0x3c5a8c5d
	s_mov_b32 s12, 0x17771d52
	;; [unrolled: 1-line block ×3, first 2 shown]
	v_mul_f64 v[32:33], v[28:29], v[30:31]
	v_mul_f64 v[30:31], v[30:31], 0.5
	v_fma_f64 v[18:19], v[12:13], v[16:17], s[14:15]
	s_mov_b32 s14, 0x6a5dcb37
	s_mov_b32 s15, 0x3e5ade15
	v_fma_f64 v[34:35], -v[30:31], v[32:33], 0.5
	v_add_f64 v[18:19], v[18:19], s[12:13]
	s_mov_b32 s12, 0x44ee2c0b
	s_mov_b32 s13, 0x3caa7d5e
	v_fma_f64 v[32:33], v[32:33], v[34:35], v[32:33]
	v_fma_f64 v[30:31], v[30:31], v[34:35], v[30:31]
	v_fma_f64 v[16:17], v[12:13], v[18:19], -v[16:17]
	v_fma_f64 v[34:35], -v[32:33], v[32:33], v[28:29]
	v_add_f64 v[16:17], v[16:17], s[12:13]
	s_mov_b32 s12, 0xd8758ef2
	s_mov_b32 s13, 0xbcc5d2a3
	v_fma_f64 v[18:19], v[12:13], v[16:17], -v[18:19]
	v_add_f64 v[18:19], v[18:19], s[12:13]
	s_mov_b32 s12, 0xefee81bd
	s_mov_b32 s13, 0x3ce25ced
	v_fma_f64 v[16:17], v[12:13], v[18:19], -v[16:17]
	;; [unrolled: 4-line block ×14, first 2 shown]
	v_add_f64 v[16:17], v[16:17], s[12:13]
	s_mov_b32 s12, 0x652b82fe
	s_mov_b32 s13, 0xbff71547
	v_mul_f64 v[22:23], v[8:9], s[12:13]
	s_mov_b32 s12, 0x8fada5c6
	s_mov_b32 s13, 0xbe978052
	v_fma_f64 v[18:19], v[12:13], v[16:17], -v[18:19]
	v_rndne_f64_e32 v[22:23], v[22:23]
	v_add_f64 v[18:19], v[18:19], s[12:13]
	s_mov_b32 s12, 0xfefa39ef
	s_mov_b32 s13, 0xbfe62e42
	v_fma_f64 v[24:25], v[22:23], s[12:13], -v[8:9]
	s_mov_b32 s12, 0x3b39803f
	s_mov_b32 s13, 0xbc7abc9e
	v_fma_f64 v[16:17], v[12:13], v[18:19], -v[16:17]
	v_fma_f64 v[24:25], v[22:23], s[12:13], v[24:25]
	s_mov_b32 s12, 0x1752d1b6
	s_mov_b32 s13, 0x3ec42fe3
	v_add_f64 v[16:17], v[16:17], s[12:13]
	s_mov_b32 s12, 0xfca7ab0c
	s_mov_b32 s13, 0x3e928af3
	v_fma_f64 v[26:27], v[24:25], s[14:15], s[12:13]
	s_mov_b32 s12, 0x623fde64
	s_mov_b32 s13, 0x3ec71dee
	v_fma_f64 v[18:19], v[12:13], v[16:17], -v[18:19]
	v_fma_f64 v[26:27], v[24:25], v[26:27], s[12:13]
	s_mov_b32 s12, 0x1dcdb2e5
	s_mov_b32 s13, 0xbef44d71
	v_add_f64 v[18:19], v[18:19], s[12:13]
	s_mov_b32 s12, 0x7c89e6b0
	s_mov_b32 s13, 0x3efa0199
	v_fma_f64 v[26:27], v[24:25], v[26:27], s[12:13]
	s_mov_b32 s12, 0x14761f6e
	s_mov_b32 s13, 0x3f2a01a0
	v_fma_f64 v[16:17], v[12:13], v[18:19], -v[16:17]
	v_fma_f64 v[26:27], v[24:25], v[26:27], s[12:13]
	s_mov_b32 s12, 0x88f6908e
	s_mov_b32 s13, 0x3f299658
	v_add_f64 v[16:17], v[16:17], s[12:13]
	s_mov_b32 s12, 0x1852b7b0
	s_mov_b32 s13, 0x3f56c16c
	v_fma_f64 v[26:27], v[24:25], v[26:27], s[12:13]
	s_mov_b32 s12, 0x11122322
	s_mov_b32 s13, 0x3f811111
	v_fma_f64 v[18:19], v[12:13], v[16:17], -v[18:19]
	v_fma_f64 v[26:27], v[24:25], v[26:27], s[12:13]
	s_mov_b32 s12, 0xbe66b48a
	s_mov_b32 s13, 0xbf676946
	v_add_f64 v[18:19], v[18:19], s[12:13]
	s_mov_b32 s12, 0x555502a1
	s_mov_b32 s13, 0x3fa55555
	v_fma_f64 v[26:27], v[24:25], v[26:27], s[12:13]
	s_mov_b32 s12, 0x55555511
	s_mov_b32 s13, 0x3fc55555
	v_fma_f64 v[16:17], v[12:13], v[18:19], -v[16:17]
	v_fma_f64 v[26:27], v[24:25], v[26:27], s[12:13]
	s_mov_b32 s12, 0xf9e023fb
	s_mov_b32 s13, 0x3fba9abe
	v_add_f64 v[16:17], v[16:17], s[12:13]
	s_mov_b32 s12, 11
	s_mov_b32 s13, 0x3fe00000
	v_fma_f64 v[26:27], v[24:25], v[26:27], s[12:13]
	s_mov_b32 s12, 0xaa062c8a
	s_mov_b32 s13, 0x4005c3d7
	v_fma_f64 v[12:13], v[12:13], v[16:17], -v[18:19]
	v_fma_f64 v[16:17], v[34:35], v[30:31], v[32:33]
	v_cvt_i32_f64_e32 v34, v[22:23]
	v_fma_f64 v[26:27], v[24:25], v[26:27], 1.0
	v_add_f64 v[12:13], v[12:13], s[12:13]
	v_fma_f64 v[32:33], -v[16:17], v[16:17], v[28:29]
	v_fma_f64 v[22:23], v[24:25], v[26:27], 1.0
	v_add_f64 v[12:13], v[12:13], -v[18:19]
	v_fma_f64 v[16:17], v[32:33], v[30:31], v[16:17]
	v_ldexp_f64 v[18:19], v[22:23], v34
	v_mul_f64 v[8:9], v[12:13], 0.5
	v_cndmask_b32_e64 v12, 0, 0xffffff80, vcc_lo
	v_cmp_class_f64_e64 vcc_lo, v[28:29], 0x260
	v_ldexp_f64 v[12:13], v[16:17], v12
	v_cndmask_b32_e64 v17, 0, v19, s5
	v_cndmask_b32_e64 v16, 0, v18, s5
	v_mul_f64 v[8:9], v[16:17], v[8:9]
	v_cndmask_b32_e32 v13, v13, v29, vcc_lo
	v_cndmask_b32_e32 v12, v12, v28, vcc_lo
	v_div_scale_f64 v[16:17], null, v[12:13], v[12:13], v[8:9]
	v_rcp_f64_e32 v[18:19], v[16:17]
	v_fma_f64 v[22:23], -v[16:17], v[18:19], 1.0
	v_fma_f64 v[18:19], v[18:19], v[22:23], v[18:19]
	v_fma_f64 v[22:23], -v[16:17], v[18:19], 1.0
	v_fma_f64 v[18:19], v[18:19], v[22:23], v[18:19]
	v_div_scale_f64 v[22:23], vcc_lo, v[8:9], v[12:13], v[8:9]
	v_mul_f64 v[24:25], v[22:23], v[18:19]
	v_fma_f64 v[16:17], -v[16:17], v[24:25], v[22:23]
	v_div_fmas_f64 v[16:17], v[16:17], v[18:19], v[24:25]
	v_div_fixup_f64 v[12:13], v[16:17], v[12:13], v[8:9]
.LBB0_35:
	s_or_b32 exec_lo, exec_lo, s6
.LBB0_36:
	s_or_b32 exec_lo, exec_lo, s11
.LBB0_37:
	s_or_b32 exec_lo, exec_lo, s10
.LBB0_38:
	s_or_b32 exec_lo, exec_lo, s9
	v_add_nc_u32_e32 v8, 0x300, v20
	s_mov_b32 s9, exec_lo
	v_cmpx_lt_i32_e64 v8, v4
	s_cbranch_execnz .LBB0_44
; %bb.39:
	s_or_b32 exec_lo, exec_lo, s9
	s_and_saveexec_b32 s5, s4
	s_xor_b32 s4, exec_lo, s5
	s_cbranch_execnz .LBB0_53
.LBB0_40:
	s_or_b32 exec_lo, exec_lo, s4
	s_mov_b32 s4, exec_lo
	v_cmpx_lt_i32_e64 v20, v4
	s_cbranch_execnz .LBB0_54
.LBB0_41:
	s_or_b32 exec_lo, exec_lo, s4
	s_mov_b32 s4, exec_lo
	v_cmpx_lt_i32_e64 v20, v4
	s_cbranch_execnz .LBB0_55
.LBB0_42:
	s_or_b32 exec_lo, exec_lo, s4
	s_mov_b32 s4, exec_lo
	v_cmpx_lt_i32_e64 v20, v4
	s_cbranch_execnz .LBB0_56
.LBB0_43:
	s_or_b32 exec_lo, exec_lo, s4
	s_waitcnt lgkmcnt(0)
	s_setpc_b64 s[30:31]
.LBB0_44:
	v_mov_b32_e32 v10, 0
	v_mov_b32_e32 v11, 0x7ff00000
	s_mov_b32 s10, exec_lo
	v_cmpx_neq_f64_e32 0, v[6:7]
	s_cbranch_execz .LBB0_52
; %bb.45:
	v_mov_b32_e32 v10, 0
	v_mov_b32_e32 v11, 0x7ff80000
	s_mov_b32 s11, exec_lo
	v_cmpx_ngt_f64_e32 0, v[6:7]
	s_cbranch_execz .LBB0_51
; %bb.46:
	s_mov_b32 s5, exec_lo
	v_cmpx_ge_f64_e32 2.0, v[6:7]
	s_xor_b32 s12, exec_lo, s5
                                        ; implicit-def: $vgpr10_vgpr11
	s_cbranch_execz .LBB0_48
; %bb.47:
	v_fma_f64 v[8:9], v[6:7], 0.5, -2.0
	s_mov_b32 s6, 0xc38a0576
	s_mov_b32 s7, 0xbc7857d0
	;; [unrolled: 1-line block ×4, first 2 shown]
	v_mul_f64 v[18:19], v[6:7], 0.5
	v_fma_f64 v[36:37], v[6:7], v[6:7], -2.0
	s_mov_b32 s17, 0xbc603228
	s_mov_b32 s16, 0x3d3cda56
	;; [unrolled: 1-line block ×4, first 2 shown]
	v_fma_f64 v[10:11], v[8:9], s[14:15], s[6:7]
	s_mov_b32 s15, 0xbc499f2a
	s_mov_b32 s6, 0xe593bfac
	;; [unrolled: 1-line block ×3, first 2 shown]
	v_frexp_mant_f64_e32 v[22:23], v[18:19]
	v_frexp_exp_i32_f64_e32 v48, v[18:19]
	v_cmp_neq_f64_e64 s5, 0, v[18:19]
	v_fma_f64 v[16:17], v[8:9], v[10:11], s[14:15]
	s_mov_b32 s14, 0x97eb07de
	s_mov_b32 s15, 0xbdd25103
	v_add_f64 v[16:17], v[16:17], s[6:7]
	s_mov_b32 s6, 0x7e0d1573
	s_mov_b32 s7, 0xbcd3eaaa
	v_fma_f64 v[10:11], v[8:9], v[16:17], -v[10:11]
	v_add_f64 v[10:11], v[10:11], s[6:7]
	s_mov_b32 s6, 0x615290c
	s_mov_b32 s7, 0x3d011d7f
	v_fma_f64 v[16:17], v[8:9], v[10:11], -v[16:17]
	;; [unrolled: 4-line block ×6, first 2 shown]
	v_add_f64 v[16:17], v[16:17], s[6:7]
	s_mov_b32 s7, 0x3fe55555
	s_mov_b32 s6, 0x55555555
	v_cmp_gt_f64_e32 vcc_lo, s[6:7], v[22:23]
	s_mov_b32 s6, 0x55555780
	v_fma_f64 v[10:11], v[8:9], v[16:17], -v[10:11]
	v_cndmask_b32_e64 v24, 0, 1, vcc_lo
	v_ldexp_f64 v[22:23], v[22:23], v24
	v_add_f64 v[10:11], v[10:11], s[14:15]
	s_mov_b32 s14, 0xb43fdf6c
	s_mov_b32 s15, 0x3df8ea34
	v_add_f64 v[24:25], v[22:23], 1.0
	v_add_f64 v[30:31], v[22:23], -1.0
	v_fma_f64 v[16:17], v[8:9], v[10:11], -v[16:17]
	v_rcp_f64_e32 v[26:27], v[24:25]
	v_add_f64 v[32:33], v[24:25], -1.0
	v_add_f64 v[16:17], v[16:17], s[14:15]
	s_mov_b32 s14, 0x28ea67e6
	s_mov_b32 s15, 0xbe20361b
	v_add_f64 v[22:23], v[22:23], -v[32:33]
	v_fma_f64 v[28:29], -v[24:25], v[26:27], 1.0
	v_fma_f64 v[10:11], v[8:9], v[16:17], -v[10:11]
	v_fma_f64 v[26:27], v[28:29], v[26:27], v[26:27]
	v_add_f64 v[10:11], v[10:11], s[14:15]
	s_mov_b32 s14, 0x2395010
	s_mov_b32 s15, 0x3e44258e
	v_fma_f64 v[28:29], -v[24:25], v[26:27], 1.0
	v_fma_f64 v[16:17], v[8:9], v[10:11], -v[16:17]
	v_fma_f64 v[26:27], v[28:29], v[26:27], v[26:27]
	v_add_f64 v[16:17], v[16:17], s[14:15]
	s_mov_b32 s14, 0x24b8c3e8
	s_mov_b32 s15, 0xbe67dd3e
	v_mul_f64 v[28:29], v[30:31], v[26:27]
	v_fma_f64 v[10:11], v[8:9], v[16:17], -v[10:11]
	v_mul_f64 v[34:35], v[24:25], v[28:29]
	v_add_f64 v[10:11], v[10:11], s[14:15]
	s_mov_b32 s14, 0xb347d108
	s_mov_b32 s15, 0x3e8ae344
	v_fma_f64 v[24:25], v[28:29], v[24:25], -v[34:35]
	v_fma_f64 v[16:17], v[8:9], v[10:11], -v[16:17]
	v_fma_f64 v[22:23], v[28:29], v[22:23], v[24:25]
	v_add_f64 v[16:17], v[16:17], s[14:15]
	s_mov_b32 s14, 0x7a0399e0
	s_mov_b32 s15, 0xbce5dd51
	v_fma_f64 v[38:39], v[36:37], s[16:17], s[14:15]
	s_mov_b32 s17, 0x3c603228
	s_mov_b32 s14, 0xddd0e045
	;; [unrolled: 1-line block ×3, first 2 shown]
	v_add_f64 v[24:25], v[34:35], v[22:23]
	v_fma_f64 v[10:11], v[8:9], v[16:17], -v[10:11]
	v_add_f64 v[32:33], v[30:31], -v[24:25]
	v_add_f64 v[34:35], v[24:25], -v[34:35]
	v_add_f64 v[10:11], v[10:11], s[18:19]
	s_mov_b32 s18, 0xd3d694fe
	s_mov_b32 s19, 0xbf2533ca
	v_add_f64 v[30:31], v[30:31], -v[32:33]
	v_add_f64 v[22:23], v[34:35], -v[22:23]
	v_fma_f64 v[16:17], v[8:9], v[10:11], -v[16:17]
	v_add_f64 v[24:25], v[30:31], -v[24:25]
	v_fma_f64 v[30:31], v[36:37], v[38:39], s[16:17]
	s_mov_b32 s16, 0xd511afc5
	s_mov_b32 s17, 0x3ecd1c4e
	v_add_f64 v[16:17], v[16:17], s[16:17]
	s_mov_b32 s16, 0xb8debbcf
	s_mov_b32 s17, 0xbeebd5f9
	v_add_f64 v[22:23], v[22:23], v[24:25]
	v_add_f64 v[24:25], v[30:31], s[14:15]
	s_mov_b32 s14, 0xb84626ca
	s_mov_b32 s15, 0xbde3663b
	v_fma_f64 v[10:11], v[8:9], v[16:17], -v[10:11]
	v_add_f64 v[22:23], v[32:33], v[22:23]
	v_fma_f64 v[30:31], v[36:37], v[24:25], -v[38:39]
	v_add_f64 v[10:11], v[10:11], s[16:17]
	s_mov_b32 s16, 0x42c70d0b
	s_mov_b32 s17, 0x3f0911b5
	v_mul_f64 v[22:23], v[26:27], v[22:23]
	v_add_f64 v[26:27], v[30:31], s[14:15]
	s_mov_b32 s14, 0x145c31d0
	s_mov_b32 s15, 0xbe57c41d
	v_fma_f64 v[16:17], v[8:9], v[10:11], -v[16:17]
	v_add_f64 v[30:31], v[28:29], v[22:23]
	v_fma_f64 v[24:25], v[36:37], v[26:27], -v[24:25]
	v_add_f64 v[16:17], v[16:17], s[16:17]
	s_mov_b32 s16, 0xbf559e2b
	s_mov_b32 s17, 0x3fc3ab76
	v_mul_f64 v[32:33], v[30:31], v[30:31]
	v_add_f64 v[24:25], v[24:25], s[14:15]
	s_mov_b32 s14, 0x6b47b09a
	s_mov_b32 s15, 0x3fc38538
	v_add_f64 v[28:29], v[30:31], -v[28:29]
	v_fma_f64 v[10:11], v[8:9], v[16:17], -v[10:11]
	v_fma_f64 v[34:35], v[32:33], s[16:17], s[14:15]
	v_fma_f64 v[26:27], v[36:37], v[24:25], -v[26:27]
	s_mov_b32 s14, 0x2c832e3a
	s_mov_b32 s15, 0xbec469b3
	;; [unrolled: 1-line block ×4, first 2 shown]
	v_mul_f64 v[38:39], v[30:31], v[32:33]
	v_add_f64 v[22:23], v[22:23], -v[28:29]
	v_add_f64 v[10:11], v[10:11], s[18:19]
	s_mov_b32 s18, 0xb6c6df7d
	s_mov_b32 s19, 0x3f40c95d
	v_fma_f64 v[34:35], v[32:33], v[34:35], s[16:17]
	v_add_f64 v[26:27], v[26:27], s[14:15]
	s_mov_b32 s14, 0x16291751
	s_mov_b32 s15, 0x3fcc71c0
	;; [unrolled: 1-line block ×4, first 2 shown]
	v_ldexp_f64 v[22:23], v[22:23], 1
	v_fma_f64 v[16:17], v[8:9], v[10:11], -v[16:17]
	v_fma_f64 v[34:35], v[32:33], v[34:35], s[14:15]
	v_fma_f64 v[24:25], v[36:37], v[26:27], -v[24:25]
	s_mov_b32 s14, 0xe5a3bd02
	s_mov_b32 s15, 0xbf26ade2
	v_add_f64 v[16:17], v[16:17], s[18:19]
	s_mov_b32 s18, 0xe7bb2349
	s_mov_b32 s19, 0x3f9951e3
	v_fma_f64 v[34:35], v[32:33], v[34:35], s[16:17]
	v_add_f64 v[24:25], v[24:25], s[14:15]
	s_mov_b32 s14, 0x998ef7b6
	s_mov_b32 s15, 0x3fd99999
	;; [unrolled: 1-line block ×4, first 2 shown]
	v_fma_f64 v[10:11], v[8:9], v[16:17], -v[10:11]
	v_fma_f64 v[34:35], v[32:33], v[34:35], s[14:15]
	v_fma_f64 v[26:27], v[36:37], v[24:25], -v[26:27]
	s_mov_b32 s14, 0x9d7d4192
	s_mov_b32 s15, 0xbf7c9293
	v_add_f64 v[10:11], v[10:11], s[16:17]
	s_mov_b32 s16, 0x49d3a1b4
	s_mov_b32 s17, 0x3f710653
	v_fma_f64 v[32:33], v[32:33], v[34:35], s[6:7]
	v_add_f64 v[26:27], v[26:27], s[14:15]
	v_ldexp_f64 v[34:35], v[30:31], 1
	s_mov_b32 s6, 0x43c1db74
	s_mov_b32 s7, 0xbfbf6372
	s_mov_b32 s14, 0x652b82fe
	s_mov_b32 s15, 0x3ff71547
	v_fma_f64 v[16:17], v[8:9], v[10:11], -v[16:17]
	v_mul_f64 v[32:33], v[38:39], v[32:33]
	v_fma_f64 v[24:25], v[36:37], v[26:27], -v[24:25]
	v_subrev_co_ci_u32_e64 v38, null, 0, v48, vcc_lo
	v_mul_f64 v[48:49], v[6:7], s[14:15]
	s_mov_b32 s14, 0x757b0dd4
	s_mov_b32 s15, 0xbfd69a1b
	v_cvt_f64_i32_e32 v[38:39], v38
	v_add_f64 v[16:17], v[16:17], s[16:17]
	s_mov_b32 s16, 0x7913a26a
	s_mov_b32 s17, 0xbf85a29f
	v_add_f64 v[30:31], v[34:35], v[32:33]
	v_add_f64 v[24:25], v[24:25], s[6:7]
	s_mov_b32 s7, 0x3fe62e42
	s_mov_b32 s6, 0xfefa39ef
	v_mul_f64 v[50:51], v[38:39], s[6:7]
	v_fma_f64 v[10:11], v[8:9], v[16:17], -v[10:11]
	v_add_f64 v[28:29], v[30:31], -v[34:35]
	v_fma_f64 v[26:27], v[36:37], v[24:25], -v[26:27]
	v_rndne_f64_e32 v[34:35], v[48:49]
	v_fma_f64 v[48:49], v[38:39], s[6:7], -v[50:51]
	s_mov_b32 s7, 0xbfe62e42
	v_add_f64 v[10:11], v[10:11], s[16:17]
	s_mov_b32 s16, 0x6a5dcb37
	s_mov_b32 s17, 0x3e5ade15
	v_add_f64 v[28:29], v[32:33], -v[28:29]
	v_add_f64 v[26:27], v[26:27], s[14:15]
	v_fma_f64 v[32:33], v[34:35], s[6:7], v[6:7]
	s_mov_b32 s7, 0x3c7abc9e
	s_mov_b32 s6, 0x3b39803f
	;; [unrolled: 1-line block ×4, first 2 shown]
	v_fma_f64 v[38:39], v[38:39], s[6:7], v[48:49]
	s_mov_b32 s7, 0xbc7abc9e
	v_fma_f64 v[16:17], v[8:9], v[10:11], -v[16:17]
	v_add_f64 v[22:23], v[22:23], v[28:29]
	v_fma_f64 v[26:27], v[36:37], v[26:27], -v[24:25]
	v_fma_f64 v[28:29], v[34:35], s[6:7], v[32:33]
	s_mov_b32 s6, 0x361008ca
	s_mov_b32 s7, 0x3ff867a1
	v_add_f64 v[32:33], v[50:51], v[38:39]
	v_add_f64 v[16:17], v[16:17], s[18:19]
	;; [unrolled: 1-line block ×4, first 2 shown]
	v_fma_f64 v[48:49], v[28:29], s[16:17], s[14:15]
	s_mov_b32 s6, 0x623fde64
	s_mov_b32 s7, 0x3ec71dee
	;; [unrolled: 1-line block ×4, first 2 shown]
	v_add_f64 v[50:51], v[32:33], -v[50:51]
	v_fma_f64 v[10:11], v[8:9], v[16:17], -v[10:11]
	v_add_f64 v[52:53], v[32:33], v[36:37]
	v_add_f64 v[24:25], v[26:27], -v[24:25]
	v_fma_f64 v[48:49], v[28:29], v[48:49], s[6:7]
	s_mov_b32 s6, 0x7c89e6b0
	s_mov_b32 s7, 0x3efa0199
	v_add_f64 v[30:31], v[36:37], -v[30:31]
	v_add_f64 v[38:39], v[38:39], -v[50:51]
	v_add_f64 v[10:11], v[10:11], s[14:15]
	s_mov_b32 s14, 0xd536f53c
	s_mov_b32 s15, 0x3fba46da
	v_add_f64 v[26:27], v[52:53], -v[32:33]
	v_mul_f64 v[24:25], v[24:25], 0.5
	v_fma_f64 v[48:49], v[28:29], v[48:49], s[6:7]
	s_mov_b32 s6, 0x14761f6e
	s_mov_b32 s7, 0x3f2a01a0
	v_add_f64 v[22:23], v[22:23], -v[30:31]
	v_fma_f64 v[16:17], v[8:9], v[10:11], -v[16:17]
	v_add_f64 v[54:55], v[52:53], -v[26:27]
	v_div_scale_f64 v[64:65], null, v[6:7], v[6:7], v[24:25]
	v_fma_f64 v[48:49], v[28:29], v[48:49], s[6:7]
	s_mov_b32 s6, 0x1852b7b0
	s_mov_b32 s7, 0x3f56c16c
	v_add_f64 v[26:27], v[36:37], -v[26:27]
	v_add_f64 v[16:17], v[16:17], s[14:15]
	s_mov_b32 s14, 0x469192e
	s_mov_b32 s15, 0xbfc694d1
	v_add_f64 v[30:31], v[32:33], -v[54:55]
	v_rcp_f64_e32 v[36:37], v[64:65]
	v_fma_f64 v[32:33], v[28:29], v[48:49], s[6:7]
	s_mov_b32 s6, 0x11122322
	s_mov_b32 s7, 0x3f811111
	v_add_f64 v[48:49], v[38:39], v[22:23]
	v_fma_f64 v[10:11], v[8:9], v[16:17], -v[10:11]
	v_add_f64 v[26:27], v[26:27], v[30:31]
	v_fma_f64 v[30:31], v[28:29], v[32:33], s[6:7]
	v_fma_f64 v[32:33], -v[64:65], v[36:37], 1.0
	s_mov_b32 s6, 0x555502a1
	s_mov_b32 s7, 0x3fa55555
	v_add_f64 v[50:51], v[48:49], -v[38:39]
	v_add_f64 v[10:11], v[10:11], s[14:15]
	s_mov_b32 s14, 0x724a7ffa
	s_mov_b32 s15, 0x3fd02a63
	v_add_f64 v[26:27], v[48:49], v[26:27]
	v_fma_f64 v[30:31], v[28:29], v[30:31], s[6:7]
	v_fma_f64 v[32:33], v[36:37], v[32:33], v[36:37]
	s_mov_b32 s6, 0x55555511
	s_mov_b32 s7, 0x3fc55555
	v_add_f64 v[36:37], v[48:49], -v[50:51]
	v_add_f64 v[22:23], v[22:23], -v[50:51]
	v_div_scale_f64 v[50:51], vcc_lo, v[24:25], v[6:7], v[24:25]
	v_fma_f64 v[8:9], v[8:9], v[10:11], -v[16:17]
	v_add_f64 v[48:49], v[52:53], v[26:27]
	v_fma_f64 v[30:31], v[28:29], v[30:31], s[6:7]
	v_fma_f64 v[10:11], -v[64:65], v[32:33], 1.0
	s_mov_b32 s6, 11
	s_mov_b32 s7, 0x3fe00000
	v_add_f64 v[36:37], v[38:39], -v[36:37]
	v_add_f64 v[8:9], v[8:9], s[14:15]
	v_add_f64 v[38:39], v[48:49], -v[52:53]
	v_fma_f64 v[30:31], v[28:29], v[30:31], s[6:7]
	v_fma_f64 v[10:11], v[32:33], v[10:11], v[32:33]
	v_cvt_i32_f64_e32 v32, v[34:35]
	v_add_f64 v[22:23], v[22:23], v[36:37]
	v_add_f64 v[8:9], v[8:9], -v[16:17]
	v_add_f64 v[26:27], v[26:27], -v[38:39]
	v_fma_f64 v[30:31], v[28:29], v[30:31], 1.0
	v_mul_f64 v[16:17], v[50:51], v[10:11]
	v_mul_f64 v[8:9], v[8:9], 0.5
	v_add_f64 v[22:23], v[22:23], v[26:27]
	v_fma_f64 v[26:27], v[28:29], v[30:31], 1.0
	v_fma_f64 v[28:29], -v[64:65], v[16:17], v[50:51]
	v_mul_f64 v[8:9], v[6:7], v[8:9]
	v_add_f64 v[22:23], v[48:49], v[22:23]
	v_ldexp_f64 v[26:27], v[26:27], v32
	v_div_fmas_f64 v[10:11], v[28:29], v[10:11], v[16:17]
	v_cmp_neq_f64_e32 vcc_lo, 0x7ff00000, v[18:19]
	v_mul_f64 v[8:9], v[26:27], v[8:9]
	v_div_fixup_f64 v[6:7], v[10:11], v[6:7], v[24:25]
	v_cndmask_b32_e32 v16, 0x7ff00000, v23, vcc_lo
	s_and_b32 vcc_lo, s5, vcc_lo
	v_cndmask_b32_e32 v10, 0, v22, vcc_lo
	v_cndmask_b32_e64 v11, 0xfff00000, v16, s5
	v_fma_f64 v[10:11], v[10:11], v[8:9], v[6:7]
                                        ; implicit-def: $vgpr6_vgpr7
.LBB0_48:
	s_andn2_saveexec_b32 s6, s12
	s_cbranch_execz .LBB0_50
; %bb.49:
	v_div_scale_f64 v[8:9], null, v[6:7], v[6:7], 0x40200000
	v_div_scale_f64 v[18:19], vcc_lo, 0x40200000, v[6:7], 0x40200000
	s_mov_b32 s12, 0x838f5ed3
	s_mov_b32 s13, 0x3c74af1a
	;; [unrolled: 1-line block ×4, first 2 shown]
	v_cmp_nlt_f64_e64 s5, 0x4090cc00, v[6:7]
	v_rcp_f64_e32 v[10:11], v[8:9]
	v_fma_f64 v[16:17], -v[8:9], v[10:11], 1.0
	v_fma_f64 v[10:11], v[10:11], v[16:17], v[10:11]
	v_fma_f64 v[16:17], -v[8:9], v[10:11], 1.0
	v_fma_f64 v[10:11], v[10:11], v[16:17], v[10:11]
	v_mul_f64 v[16:17], v[18:19], v[10:11]
	v_fma_f64 v[8:9], -v[8:9], v[16:17], v[18:19]
	v_div_fmas_f64 v[8:9], v[8:9], v[10:11], v[16:17]
	v_cmp_gt_f64_e32 vcc_lo, 0x10000000, v[6:7]
	v_div_fixup_f64 v[8:9], v[8:9], v[6:7], 0x40200000
	v_cndmask_b32_e64 v26, 0, 0x100, vcc_lo
	v_ldexp_f64 v[26:27], v[6:7], v26
	v_add_f64 v[8:9], v[8:9], -2.0
	v_rsq_f64_e32 v[28:29], v[26:27]
	v_fma_f64 v[10:11], v[8:9], s[14:15], s[12:13]
	s_mov_b32 s15, 0x3c5a8c5d
	s_mov_b32 s12, 0x17771d52
	;; [unrolled: 1-line block ×3, first 2 shown]
	v_mul_f64 v[30:31], v[26:27], v[28:29]
	v_mul_f64 v[28:29], v[28:29], 0.5
	v_fma_f64 v[16:17], v[8:9], v[10:11], s[14:15]
	s_mov_b32 s14, 0x6a5dcb37
	s_mov_b32 s15, 0x3e5ade15
	v_fma_f64 v[32:33], -v[28:29], v[30:31], 0.5
	v_add_f64 v[16:17], v[16:17], s[12:13]
	s_mov_b32 s12, 0x44ee2c0b
	s_mov_b32 s13, 0x3caa7d5e
	v_fma_f64 v[30:31], v[30:31], v[32:33], v[30:31]
	v_fma_f64 v[28:29], v[28:29], v[32:33], v[28:29]
	v_fma_f64 v[10:11], v[8:9], v[16:17], -v[10:11]
	v_fma_f64 v[32:33], -v[30:31], v[30:31], v[26:27]
	v_add_f64 v[10:11], v[10:11], s[12:13]
	s_mov_b32 s12, 0xd8758ef2
	s_mov_b32 s13, 0xbcc5d2a3
	v_fma_f64 v[16:17], v[8:9], v[10:11], -v[16:17]
	v_add_f64 v[16:17], v[16:17], s[12:13]
	s_mov_b32 s12, 0xefee81bd
	s_mov_b32 s13, 0x3ce25ced
	v_fma_f64 v[10:11], v[8:9], v[16:17], -v[10:11]
	;; [unrolled: 4-line block ×14, first 2 shown]
	v_add_f64 v[10:11], v[10:11], s[12:13]
	s_mov_b32 s12, 0x652b82fe
	s_mov_b32 s13, 0xbff71547
	v_mul_f64 v[18:19], v[6:7], s[12:13]
	s_mov_b32 s12, 0x8fada5c6
	s_mov_b32 s13, 0xbe978052
	v_fma_f64 v[16:17], v[8:9], v[10:11], -v[16:17]
	v_rndne_f64_e32 v[18:19], v[18:19]
	v_add_f64 v[16:17], v[16:17], s[12:13]
	s_mov_b32 s12, 0xfefa39ef
	s_mov_b32 s13, 0xbfe62e42
	v_fma_f64 v[22:23], v[18:19], s[12:13], -v[6:7]
	s_mov_b32 s12, 0x3b39803f
	s_mov_b32 s13, 0xbc7abc9e
	v_fma_f64 v[10:11], v[8:9], v[16:17], -v[10:11]
	v_fma_f64 v[22:23], v[18:19], s[12:13], v[22:23]
	s_mov_b32 s12, 0x1752d1b6
	s_mov_b32 s13, 0x3ec42fe3
	v_add_f64 v[10:11], v[10:11], s[12:13]
	s_mov_b32 s12, 0xfca7ab0c
	s_mov_b32 s13, 0x3e928af3
	v_fma_f64 v[24:25], v[22:23], s[14:15], s[12:13]
	s_mov_b32 s12, 0x623fde64
	s_mov_b32 s13, 0x3ec71dee
	v_fma_f64 v[16:17], v[8:9], v[10:11], -v[16:17]
	v_fma_f64 v[24:25], v[22:23], v[24:25], s[12:13]
	s_mov_b32 s12, 0x1dcdb2e5
	s_mov_b32 s13, 0xbef44d71
	v_add_f64 v[16:17], v[16:17], s[12:13]
	s_mov_b32 s12, 0x7c89e6b0
	s_mov_b32 s13, 0x3efa0199
	v_fma_f64 v[24:25], v[22:23], v[24:25], s[12:13]
	;; [unrolled: 10-line block ×5, first 2 shown]
	s_mov_b32 s12, 0xaa062c8a
	s_mov_b32 s13, 0x4005c3d7
	v_fma_f64 v[8:9], v[8:9], v[10:11], -v[16:17]
	v_fma_f64 v[10:11], v[32:33], v[28:29], v[30:31]
	v_cvt_i32_f64_e32 v32, v[18:19]
	v_fma_f64 v[24:25], v[22:23], v[24:25], 1.0
	v_add_f64 v[8:9], v[8:9], s[12:13]
	v_fma_f64 v[30:31], -v[10:11], v[10:11], v[26:27]
	v_fma_f64 v[18:19], v[22:23], v[24:25], 1.0
	v_add_f64 v[8:9], v[8:9], -v[16:17]
	v_fma_f64 v[10:11], v[30:31], v[28:29], v[10:11]
	v_ldexp_f64 v[16:17], v[18:19], v32
	v_mul_f64 v[6:7], v[8:9], 0.5
	v_cndmask_b32_e64 v8, 0, 0xffffff80, vcc_lo
	v_cmp_class_f64_e64 vcc_lo, v[26:27], 0x260
	v_ldexp_f64 v[8:9], v[10:11], v8
	v_cndmask_b32_e64 v11, 0, v17, s5
	v_cndmask_b32_e64 v10, 0, v16, s5
	v_mul_f64 v[6:7], v[10:11], v[6:7]
	v_cndmask_b32_e32 v9, v9, v27, vcc_lo
	v_cndmask_b32_e32 v8, v8, v26, vcc_lo
	v_div_scale_f64 v[10:11], null, v[8:9], v[8:9], v[6:7]
	v_rcp_f64_e32 v[16:17], v[10:11]
	v_fma_f64 v[18:19], -v[10:11], v[16:17], 1.0
	v_fma_f64 v[16:17], v[16:17], v[18:19], v[16:17]
	v_fma_f64 v[18:19], -v[10:11], v[16:17], 1.0
	v_fma_f64 v[16:17], v[16:17], v[18:19], v[16:17]
	v_div_scale_f64 v[18:19], vcc_lo, v[6:7], v[8:9], v[6:7]
	v_mul_f64 v[22:23], v[18:19], v[16:17]
	v_fma_f64 v[10:11], -v[10:11], v[22:23], v[18:19]
	v_div_fmas_f64 v[10:11], v[10:11], v[16:17], v[22:23]
	v_div_fixup_f64 v[10:11], v[10:11], v[8:9], v[6:7]
.LBB0_50:
	s_or_b32 exec_lo, exec_lo, s6
.LBB0_51:
	s_or_b32 exec_lo, exec_lo, s11
.LBB0_52:
	s_or_b32 exec_lo, exec_lo, s10
	s_or_b32 exec_lo, exec_lo, s9
	s_and_saveexec_b32 s5, s4
	s_xor_b32 s4, exec_lo, s5
	s_cbranch_execz .LBB0_40
.LBB0_53:
	v_mov_b32_e32 v6, 0
	v_mov_b32_e32 v20, v21
	v_lshlrev_b64 v[5:6], 3, v[5:6]
	v_add_co_u32 v5, vcc_lo, v0, v5
	v_add_co_ci_u32_e64 v6, null, v1, v6, vcc_lo
	flat_store_dwordx2 v[5:6], v[2:3]
	s_or_b32 exec_lo, exec_lo, s4
	s_mov_b32 s4, exec_lo
	v_cmpx_lt_i32_e64 v20, v4
	s_cbranch_execz .LBB0_41
.LBB0_54:
	v_add_nc_u32_e32 v2, s8, v20
	v_mov_b32_e32 v3, 0
	v_add_nc_u32_e32 v20, 0x100, v20
	v_lshlrev_b64 v[2:3], 3, v[2:3]
	v_add_co_u32 v2, vcc_lo, v0, v2
	v_add_co_ci_u32_e64 v3, null, v1, v3, vcc_lo
	flat_store_dwordx2 v[2:3], v[14:15]
	s_or_b32 exec_lo, exec_lo, s4
	s_mov_b32 s4, exec_lo
	v_cmpx_lt_i32_e64 v20, v4
	s_cbranch_execz .LBB0_42
.LBB0_55:
	v_add_nc_u32_e32 v2, s8, v20
	v_mov_b32_e32 v3, 0
	v_add_nc_u32_e32 v20, 0x100, v20
	v_lshlrev_b64 v[2:3], 3, v[2:3]
	v_add_co_u32 v2, vcc_lo, v0, v2
	v_add_co_ci_u32_e64 v3, null, v1, v3, vcc_lo
	flat_store_dwordx2 v[2:3], v[12:13]
	s_or_b32 exec_lo, exec_lo, s4
	s_mov_b32 s4, exec_lo
	v_cmpx_lt_i32_e64 v20, v4
	s_cbranch_execz .LBB0_43
.LBB0_56:
	v_add_nc_u32_e32 v2, s8, v20
	v_mov_b32_e32 v3, 0
	v_lshlrev_b64 v[2:3], 3, v[2:3]
	v_add_co_u32 v0, vcc_lo, v0, v2
	v_add_co_ci_u32_e64 v1, null, v1, v3, vcc_lo
	flat_store_dwordx2 v[0:1], v[10:11]
	s_or_b32 exec_lo, exec_lo, s4
	s_waitcnt lgkmcnt(0)
	s_setpc_b64 s[30:31]
.Lfunc_end0:
	.size	_ZN2at6native25elementwise_kernel_helperILb0EZZZNS0_12_GLOBAL__N_130modified_bessel_k1_kernel_cudaERNS_18TensorIteratorBaseEENKUlvE_clEvENKUlvE_clEvEUldE_NS0_6memory8policies11unroll_baseILi256ESt5arrayIPcLm2EE23TrivialOffsetCalculatorILi1EjESF_NS8_15LoadWithoutCastENS8_16StoreWithoutCastELi4ELi1EEEEEvT0_T1_, .Lfunc_end0-_ZN2at6native25elementwise_kernel_helperILb0EZZZNS0_12_GLOBAL__N_130modified_bessel_k1_kernel_cudaERNS_18TensorIteratorBaseEENKUlvE_clEvENKUlvE_clEvEUldE_NS0_6memory8policies11unroll_baseILi256ESt5arrayIPcLm2EE23TrivialOffsetCalculatorILi1EjESF_NS8_15LoadWithoutCastENS8_16StoreWithoutCastELi4ELi1EEEEEvT0_T1_
                                        ; -- End function
	.set .L_ZN2at6native25elementwise_kernel_helperILb0EZZZNS0_12_GLOBAL__N_130modified_bessel_k1_kernel_cudaERNS_18TensorIteratorBaseEENKUlvE_clEvENKUlvE_clEvEUldE_NS0_6memory8policies11unroll_baseILi256ESt5arrayIPcLm2EE23TrivialOffsetCalculatorILi1EjESF_NS8_15LoadWithoutCastENS8_16StoreWithoutCastELi4ELi1EEEEEvT0_T1_.num_vgpr, 70
	.set .L_ZN2at6native25elementwise_kernel_helperILb0EZZZNS0_12_GLOBAL__N_130modified_bessel_k1_kernel_cudaERNS_18TensorIteratorBaseEENKUlvE_clEvENKUlvE_clEvEUldE_NS0_6memory8policies11unroll_baseILi256ESt5arrayIPcLm2EE23TrivialOffsetCalculatorILi1EjESF_NS8_15LoadWithoutCastENS8_16StoreWithoutCastELi4ELi1EEEEEvT0_T1_.num_agpr, 0
	.set .L_ZN2at6native25elementwise_kernel_helperILb0EZZZNS0_12_GLOBAL__N_130modified_bessel_k1_kernel_cudaERNS_18TensorIteratorBaseEENKUlvE_clEvENKUlvE_clEvEUldE_NS0_6memory8policies11unroll_baseILi256ESt5arrayIPcLm2EE23TrivialOffsetCalculatorILi1EjESF_NS8_15LoadWithoutCastENS8_16StoreWithoutCastELi4ELi1EEEEEvT0_T1_.numbered_sgpr, 32
	.set .L_ZN2at6native25elementwise_kernel_helperILb0EZZZNS0_12_GLOBAL__N_130modified_bessel_k1_kernel_cudaERNS_18TensorIteratorBaseEENKUlvE_clEvENKUlvE_clEvEUldE_NS0_6memory8policies11unroll_baseILi256ESt5arrayIPcLm2EE23TrivialOffsetCalculatorILi1EjESF_NS8_15LoadWithoutCastENS8_16StoreWithoutCastELi4ELi1EEEEEvT0_T1_.num_named_barrier, 0
	.set .L_ZN2at6native25elementwise_kernel_helperILb0EZZZNS0_12_GLOBAL__N_130modified_bessel_k1_kernel_cudaERNS_18TensorIteratorBaseEENKUlvE_clEvENKUlvE_clEvEUldE_NS0_6memory8policies11unroll_baseILi256ESt5arrayIPcLm2EE23TrivialOffsetCalculatorILi1EjESF_NS8_15LoadWithoutCastENS8_16StoreWithoutCastELi4ELi1EEEEEvT0_T1_.private_seg_size, 0
	.set .L_ZN2at6native25elementwise_kernel_helperILb0EZZZNS0_12_GLOBAL__N_130modified_bessel_k1_kernel_cudaERNS_18TensorIteratorBaseEENKUlvE_clEvENKUlvE_clEvEUldE_NS0_6memory8policies11unroll_baseILi256ESt5arrayIPcLm2EE23TrivialOffsetCalculatorILi1EjESF_NS8_15LoadWithoutCastENS8_16StoreWithoutCastELi4ELi1EEEEEvT0_T1_.uses_vcc, 1
	.set .L_ZN2at6native25elementwise_kernel_helperILb0EZZZNS0_12_GLOBAL__N_130modified_bessel_k1_kernel_cudaERNS_18TensorIteratorBaseEENKUlvE_clEvENKUlvE_clEvEUldE_NS0_6memory8policies11unroll_baseILi256ESt5arrayIPcLm2EE23TrivialOffsetCalculatorILi1EjESF_NS8_15LoadWithoutCastENS8_16StoreWithoutCastELi4ELi1EEEEEvT0_T1_.uses_flat_scratch, 0
	.set .L_ZN2at6native25elementwise_kernel_helperILb0EZZZNS0_12_GLOBAL__N_130modified_bessel_k1_kernel_cudaERNS_18TensorIteratorBaseEENKUlvE_clEvENKUlvE_clEvEUldE_NS0_6memory8policies11unroll_baseILi256ESt5arrayIPcLm2EE23TrivialOffsetCalculatorILi1EjESF_NS8_15LoadWithoutCastENS8_16StoreWithoutCastELi4ELi1EEEEEvT0_T1_.has_dyn_sized_stack, 0
	.set .L_ZN2at6native25elementwise_kernel_helperILb0EZZZNS0_12_GLOBAL__N_130modified_bessel_k1_kernel_cudaERNS_18TensorIteratorBaseEENKUlvE_clEvENKUlvE_clEvEUldE_NS0_6memory8policies11unroll_baseILi256ESt5arrayIPcLm2EE23TrivialOffsetCalculatorILi1EjESF_NS8_15LoadWithoutCastENS8_16StoreWithoutCastELi4ELi1EEEEEvT0_T1_.has_recursion, 0
	.set .L_ZN2at6native25elementwise_kernel_helperILb0EZZZNS0_12_GLOBAL__N_130modified_bessel_k1_kernel_cudaERNS_18TensorIteratorBaseEENKUlvE_clEvENKUlvE_clEvEUldE_NS0_6memory8policies11unroll_baseILi256ESt5arrayIPcLm2EE23TrivialOffsetCalculatorILi1EjESF_NS8_15LoadWithoutCastENS8_16StoreWithoutCastELi4ELi1EEEEEvT0_T1_.has_indirect_call, 0
	.section	.AMDGPU.csdata,"",@progbits
; Function info:
; codeLenInByte = 17148
; TotalNumSgprs: 34
; NumVgprs: 70
; ScratchSize: 0
; MemoryBound: 0
	.text
	.p2align	2                               ; -- Begin function _ZN2at6native25elementwise_kernel_helperILb0EZZZNS0_12_GLOBAL__N_130modified_bessel_k1_kernel_cudaERNS_18TensorIteratorBaseEENKUlvE_clEvENKUlvE_clEvEUldE_NS0_6memory8policies10vectorizedILi4ESt5arrayIPcLm2EELi4EEEEEvT0_T1_
	.type	_ZN2at6native25elementwise_kernel_helperILb0EZZZNS0_12_GLOBAL__N_130modified_bessel_k1_kernel_cudaERNS_18TensorIteratorBaseEENKUlvE_clEvENKUlvE_clEvEUldE_NS0_6memory8policies10vectorizedILi4ESt5arrayIPcLm2EELi4EEEEEvT0_T1_,@function
_ZN2at6native25elementwise_kernel_helperILb0EZZZNS0_12_GLOBAL__N_130modified_bessel_k1_kernel_cudaERNS_18TensorIteratorBaseEENKUlvE_clEvENKUlvE_clEvEUldE_NS0_6memory8policies10vectorizedILi4ESt5arrayIPcLm2EELi4EEEEEvT0_T1_: ; @_ZN2at6native25elementwise_kernel_helperILb0EZZZNS0_12_GLOBAL__N_130modified_bessel_k1_kernel_cudaERNS_18TensorIteratorBaseEENKUlvE_clEvENKUlvE_clEvEUldE_NS0_6memory8policies10vectorizedILi4ESt5arrayIPcLm2EELi4EEEEEvT0_T1_
; %bb.0:
	s_waitcnt vmcnt(0) expcnt(0) lgkmcnt(0)
	s_lshl_b32 s4, s12, 10
	v_and_b32_e32 v4, 0x3ff, v31
	s_ashr_i32 s5, s4, 31
	s_mov_b32 s8, exec_lo
	s_lshl_b64 s[6:7], s[4:5], 3
	v_lshlrev_b32_e32 v14, 5, v4
	v_add_co_u32 v2, vcc_lo, v2, s6
	v_add_co_ci_u32_e64 v3, null, s7, v3, vcc_lo
	v_mov_b32_e32 v4, 0
	v_add_co_u32 v2, vcc_lo, v2, v14
	v_add_co_ci_u32_e64 v3, null, 0, v3, vcc_lo
	v_mov_b32_e32 v5, 0x7ff00000
	s_clause 0x1
	flat_load_dwordx4 v[10:13], v[2:3]
	flat_load_dwordx4 v[6:9], v[2:3] offset:16
	v_mov_b32_e32 v2, 0
	v_mov_b32_e32 v3, 0x7ff00000
	s_waitcnt vmcnt(1) lgkmcnt(1)
	v_cmpx_neq_f64_e32 0, v[10:11]
	s_cbranch_execz .LBB1_8
; %bb.1:
	v_mov_b32_e32 v2, 0
	v_mov_b32_e32 v3, 0x7ff80000
	s_mov_b32 s9, exec_lo
	v_cmpx_ngt_f64_e32 0, v[10:11]
	s_cbranch_execz .LBB1_7
; %bb.2:
	s_mov_b32 s4, exec_lo
	v_cmpx_ge_f64_e32 2.0, v[10:11]
	s_xor_b32 s10, exec_lo, s4
	s_cbranch_execz .LBB1_4
; %bb.3:
	v_fma_f64 v[2:3], v[10:11], 0.5, -2.0
	s_mov_b32 s4, 0xc38a0576
	s_mov_b32 s5, 0xbc7857d0
	;; [unrolled: 1-line block ×4, first 2 shown]
	v_mul_f64 v[19:20], v[10:11], 0.5
	v_fma_f64 v[35:36], v[10:11], v[10:11], -2.0
	s_mov_b32 s15, 0xbc603228
	s_mov_b32 s14, 0x3d3cda56
	;; [unrolled: 1-line block ×4, first 2 shown]
	v_fma_f64 v[15:16], v[2:3], s[12:13], s[4:5]
	s_mov_b32 s13, 0xbc499f2a
	s_mov_b32 s4, 0xe593bfac
	;; [unrolled: 1-line block ×3, first 2 shown]
	v_frexp_mant_f64_e32 v[21:22], v[19:20]
	v_frexp_exp_i32_f64_e32 v39, v[19:20]
	v_fma_f64 v[17:18], v[2:3], v[15:16], s[12:13]
	s_mov_b32 s12, 0x97eb07de
	s_mov_b32 s13, 0xbdd25103
	v_add_f64 v[17:18], v[17:18], s[4:5]
	s_mov_b32 s4, 0x7e0d1573
	s_mov_b32 s5, 0xbcd3eaaa
	v_fma_f64 v[15:16], v[2:3], v[17:18], -v[15:16]
	v_add_f64 v[15:16], v[15:16], s[4:5]
	s_mov_b32 s4, 0x615290c
	s_mov_b32 s5, 0x3d011d7f
	v_fma_f64 v[17:18], v[2:3], v[15:16], -v[17:18]
	;; [unrolled: 4-line block ×6, first 2 shown]
	v_add_f64 v[17:18], v[17:18], s[4:5]
	s_mov_b32 s5, 0x3fe55555
	s_mov_b32 s4, 0x55555555
	v_cmp_gt_f64_e32 vcc_lo, s[4:5], v[21:22]
	s_mov_b32 s4, 0x55555780
	v_fma_f64 v[15:16], v[2:3], v[17:18], -v[15:16]
	v_cndmask_b32_e64 v23, 0, 1, vcc_lo
	v_ldexp_f64 v[21:22], v[21:22], v23
	v_add_f64 v[15:16], v[15:16], s[12:13]
	s_mov_b32 s12, 0xb43fdf6c
	s_mov_b32 s13, 0x3df8ea34
	v_add_f64 v[23:24], v[21:22], 1.0
	v_add_f64 v[29:30], v[21:22], -1.0
	v_fma_f64 v[17:18], v[2:3], v[15:16], -v[17:18]
	v_rcp_f64_e32 v[25:26], v[23:24]
	v_add_f64 v[31:32], v[23:24], -1.0
	v_add_f64 v[17:18], v[17:18], s[12:13]
	s_mov_b32 s12, 0x28ea67e6
	s_mov_b32 s13, 0xbe20361b
	v_add_f64 v[21:22], v[21:22], -v[31:32]
	v_fma_f64 v[27:28], -v[23:24], v[25:26], 1.0
	v_fma_f64 v[15:16], v[2:3], v[17:18], -v[15:16]
	v_fma_f64 v[25:26], v[27:28], v[25:26], v[25:26]
	v_add_f64 v[15:16], v[15:16], s[12:13]
	s_mov_b32 s12, 0x2395010
	s_mov_b32 s13, 0x3e44258e
	v_fma_f64 v[27:28], -v[23:24], v[25:26], 1.0
	v_fma_f64 v[17:18], v[2:3], v[15:16], -v[17:18]
	v_fma_f64 v[25:26], v[27:28], v[25:26], v[25:26]
	v_add_f64 v[17:18], v[17:18], s[12:13]
	s_mov_b32 s12, 0x24b8c3e8
	s_mov_b32 s13, 0xbe67dd3e
	v_mul_f64 v[27:28], v[29:30], v[25:26]
	v_fma_f64 v[15:16], v[2:3], v[17:18], -v[15:16]
	v_mul_f64 v[33:34], v[23:24], v[27:28]
	v_add_f64 v[15:16], v[15:16], s[12:13]
	s_mov_b32 s12, 0xb347d108
	s_mov_b32 s13, 0x3e8ae344
	v_fma_f64 v[23:24], v[27:28], v[23:24], -v[33:34]
	v_fma_f64 v[17:18], v[2:3], v[15:16], -v[17:18]
	v_fma_f64 v[21:22], v[27:28], v[21:22], v[23:24]
	v_add_f64 v[17:18], v[17:18], s[12:13]
	s_mov_b32 s12, 0x7a0399e0
	s_mov_b32 s13, 0xbce5dd51
	v_fma_f64 v[37:38], v[35:36], s[14:15], s[12:13]
	s_mov_b32 s15, 0x3c603228
	s_mov_b32 s12, 0xddd0e045
	;; [unrolled: 1-line block ×3, first 2 shown]
	v_add_f64 v[23:24], v[33:34], v[21:22]
	v_fma_f64 v[15:16], v[2:3], v[17:18], -v[15:16]
	v_add_f64 v[31:32], v[29:30], -v[23:24]
	v_add_f64 v[33:34], v[23:24], -v[33:34]
	v_add_f64 v[15:16], v[15:16], s[16:17]
	s_mov_b32 s16, 0xd3d694fe
	s_mov_b32 s17, 0xbf2533ca
	v_add_f64 v[29:30], v[29:30], -v[31:32]
	v_add_f64 v[21:22], v[33:34], -v[21:22]
	v_fma_f64 v[17:18], v[2:3], v[15:16], -v[17:18]
	v_add_f64 v[23:24], v[29:30], -v[23:24]
	v_fma_f64 v[29:30], v[35:36], v[37:38], s[14:15]
	s_mov_b32 s14, 0xd511afc5
	s_mov_b32 s15, 0x3ecd1c4e
	v_add_f64 v[17:18], v[17:18], s[14:15]
	s_mov_b32 s14, 0xb8debbcf
	s_mov_b32 s15, 0xbeebd5f9
	v_add_f64 v[21:22], v[21:22], v[23:24]
	v_add_f64 v[23:24], v[29:30], s[12:13]
	s_mov_b32 s12, 0xb84626ca
	s_mov_b32 s13, 0xbde3663b
	v_fma_f64 v[15:16], v[2:3], v[17:18], -v[15:16]
	v_add_f64 v[21:22], v[31:32], v[21:22]
	v_fma_f64 v[29:30], v[35:36], v[23:24], -v[37:38]
	v_add_f64 v[15:16], v[15:16], s[14:15]
	s_mov_b32 s14, 0x42c70d0b
	s_mov_b32 s15, 0x3f0911b5
	v_mul_f64 v[21:22], v[25:26], v[21:22]
	v_add_f64 v[25:26], v[29:30], s[12:13]
	s_mov_b32 s12, 0x145c31d0
	s_mov_b32 s13, 0xbe57c41d
	v_fma_f64 v[17:18], v[2:3], v[15:16], -v[17:18]
	v_add_f64 v[29:30], v[27:28], v[21:22]
	v_fma_f64 v[23:24], v[35:36], v[25:26], -v[23:24]
	v_add_f64 v[17:18], v[17:18], s[14:15]
	s_mov_b32 s14, 0xbf559e2b
	s_mov_b32 s15, 0x3fc3ab76
	v_mul_f64 v[31:32], v[29:30], v[29:30]
	v_add_f64 v[23:24], v[23:24], s[12:13]
	s_mov_b32 s12, 0x6b47b09a
	s_mov_b32 s13, 0x3fc38538
	v_add_f64 v[27:28], v[29:30], -v[27:28]
	v_fma_f64 v[15:16], v[2:3], v[17:18], -v[15:16]
	v_fma_f64 v[33:34], v[31:32], s[14:15], s[12:13]
	v_fma_f64 v[25:26], v[35:36], v[23:24], -v[25:26]
	s_mov_b32 s12, 0x2c832e3a
	s_mov_b32 s13, 0xbec469b3
	;; [unrolled: 1-line block ×4, first 2 shown]
	v_mul_f64 v[37:38], v[29:30], v[31:32]
	v_add_f64 v[21:22], v[21:22], -v[27:28]
	v_add_f64 v[15:16], v[15:16], s[16:17]
	s_mov_b32 s16, 0xb6c6df7d
	s_mov_b32 s17, 0x3f40c95d
	v_fma_f64 v[33:34], v[31:32], v[33:34], s[14:15]
	v_add_f64 v[25:26], v[25:26], s[12:13]
	s_mov_b32 s12, 0x16291751
	s_mov_b32 s13, 0x3fcc71c0
	;; [unrolled: 1-line block ×4, first 2 shown]
	v_ldexp_f64 v[21:22], v[21:22], 1
	v_fma_f64 v[17:18], v[2:3], v[15:16], -v[17:18]
	v_fma_f64 v[33:34], v[31:32], v[33:34], s[12:13]
	v_fma_f64 v[23:24], v[35:36], v[25:26], -v[23:24]
	s_mov_b32 s12, 0xe5a3bd02
	s_mov_b32 s13, 0xbf26ade2
	v_add_f64 v[17:18], v[17:18], s[16:17]
	s_mov_b32 s16, 0xe7bb2349
	s_mov_b32 s17, 0x3f9951e3
	v_fma_f64 v[33:34], v[31:32], v[33:34], s[14:15]
	v_add_f64 v[23:24], v[23:24], s[12:13]
	s_mov_b32 s12, 0x998ef7b6
	s_mov_b32 s13, 0x3fd99999
	;; [unrolled: 1-line block ×4, first 2 shown]
	v_fma_f64 v[15:16], v[2:3], v[17:18], -v[15:16]
	v_fma_f64 v[33:34], v[31:32], v[33:34], s[12:13]
	v_fma_f64 v[25:26], v[35:36], v[23:24], -v[25:26]
	s_mov_b32 s12, 0x9d7d4192
	s_mov_b32 s13, 0xbf7c9293
	v_add_f64 v[15:16], v[15:16], s[14:15]
	s_mov_b32 s14, 0x49d3a1b4
	s_mov_b32 s15, 0x3f710653
	v_fma_f64 v[31:32], v[31:32], v[33:34], s[4:5]
	v_add_f64 v[25:26], v[25:26], s[12:13]
	v_ldexp_f64 v[33:34], v[29:30], 1
	s_mov_b32 s4, 0x43c1db74
	s_mov_b32 s5, 0xbfbf6372
	;; [unrolled: 1-line block ×4, first 2 shown]
	v_mul_f64 v[48:49], v[10:11], s[12:13]
	s_mov_b32 s12, 0x757b0dd4
	s_mov_b32 s13, 0xbfd69a1b
	v_fma_f64 v[17:18], v[2:3], v[15:16], -v[17:18]
	v_mul_f64 v[31:32], v[37:38], v[31:32]
	v_fma_f64 v[23:24], v[35:36], v[25:26], -v[23:24]
	v_subrev_co_ci_u32_e64 v37, null, 0, v39, vcc_lo
	v_cvt_f64_i32_e32 v[37:38], v37
	v_add_f64 v[17:18], v[17:18], s[14:15]
	s_mov_b32 s14, 0x7913a26a
	s_mov_b32 s15, 0xbf85a29f
	v_add_f64 v[29:30], v[33:34], v[31:32]
	v_add_f64 v[23:24], v[23:24], s[4:5]
	s_mov_b32 s5, 0x3fe62e42
	s_mov_b32 s4, 0xfefa39ef
	v_mul_f64 v[50:51], v[37:38], s[4:5]
	v_fma_f64 v[15:16], v[2:3], v[17:18], -v[15:16]
	v_add_f64 v[27:28], v[29:30], -v[33:34]
	v_fma_f64 v[25:26], v[35:36], v[23:24], -v[25:26]
	v_rndne_f64_e32 v[33:34], v[48:49]
	v_fma_f64 v[48:49], v[37:38], s[4:5], -v[50:51]
	s_mov_b32 s5, 0xbfe62e42
	v_add_f64 v[15:16], v[15:16], s[14:15]
	s_mov_b32 s14, 0x6a5dcb37
	s_mov_b32 s15, 0x3e5ade15
	v_add_f64 v[27:28], v[31:32], -v[27:28]
	v_add_f64 v[25:26], v[25:26], s[12:13]
	v_fma_f64 v[31:32], v[33:34], s[4:5], v[10:11]
	s_mov_b32 s5, 0x3c7abc9e
	s_mov_b32 s4, 0x3b39803f
	;; [unrolled: 1-line block ×4, first 2 shown]
	v_fma_f64 v[37:38], v[37:38], s[4:5], v[48:49]
	s_mov_b32 s5, 0xbc7abc9e
	v_fma_f64 v[17:18], v[2:3], v[15:16], -v[17:18]
	v_add_f64 v[21:22], v[21:22], v[27:28]
	v_fma_f64 v[25:26], v[35:36], v[25:26], -v[23:24]
	v_fma_f64 v[27:28], v[33:34], s[4:5], v[31:32]
	s_mov_b32 s4, 0x361008ca
	s_mov_b32 s5, 0x3ff867a1
	v_add_f64 v[31:32], v[50:51], v[37:38]
	v_add_f64 v[17:18], v[17:18], s[16:17]
	;; [unrolled: 1-line block ×4, first 2 shown]
	v_fma_f64 v[48:49], v[27:28], s[14:15], s[12:13]
	s_mov_b32 s4, 0x623fde64
	s_mov_b32 s5, 0x3ec71dee
	;; [unrolled: 1-line block ×4, first 2 shown]
	v_add_f64 v[50:51], v[31:32], -v[50:51]
	v_fma_f64 v[15:16], v[2:3], v[17:18], -v[15:16]
	v_add_f64 v[52:53], v[31:32], v[35:36]
	v_add_f64 v[23:24], v[25:26], -v[23:24]
	v_fma_f64 v[48:49], v[27:28], v[48:49], s[4:5]
	s_mov_b32 s4, 0x7c89e6b0
	s_mov_b32 s5, 0x3efa0199
	v_add_f64 v[29:30], v[35:36], -v[29:30]
	v_add_f64 v[37:38], v[37:38], -v[50:51]
	v_add_f64 v[15:16], v[15:16], s[12:13]
	s_mov_b32 s12, 0xd536f53c
	s_mov_b32 s13, 0x3fba46da
	v_add_f64 v[25:26], v[52:53], -v[31:32]
	v_mul_f64 v[23:24], v[23:24], 0.5
	v_fma_f64 v[48:49], v[27:28], v[48:49], s[4:5]
	s_mov_b32 s4, 0x14761f6e
	s_mov_b32 s5, 0x3f2a01a0
	v_add_f64 v[21:22], v[21:22], -v[29:30]
	v_fma_f64 v[17:18], v[2:3], v[15:16], -v[17:18]
	v_add_f64 v[54:55], v[52:53], -v[25:26]
	v_div_scale_f64 v[64:65], null, v[10:11], v[10:11], v[23:24]
	v_fma_f64 v[48:49], v[27:28], v[48:49], s[4:5]
	s_mov_b32 s4, 0x1852b7b0
	s_mov_b32 s5, 0x3f56c16c
	v_add_f64 v[25:26], v[35:36], -v[25:26]
	v_add_f64 v[17:18], v[17:18], s[12:13]
	s_mov_b32 s12, 0x469192e
	s_mov_b32 s13, 0xbfc694d1
	v_add_f64 v[29:30], v[31:32], -v[54:55]
	v_rcp_f64_e32 v[35:36], v[64:65]
	v_fma_f64 v[31:32], v[27:28], v[48:49], s[4:5]
	s_mov_b32 s4, 0x11122322
	s_mov_b32 s5, 0x3f811111
	v_add_f64 v[48:49], v[37:38], v[21:22]
	v_fma_f64 v[15:16], v[2:3], v[17:18], -v[15:16]
	v_add_f64 v[25:26], v[25:26], v[29:30]
	v_fma_f64 v[29:30], v[27:28], v[31:32], s[4:5]
	v_fma_f64 v[31:32], -v[64:65], v[35:36], 1.0
	s_mov_b32 s4, 0x555502a1
	s_mov_b32 s5, 0x3fa55555
	v_add_f64 v[50:51], v[48:49], -v[37:38]
	v_add_f64 v[15:16], v[15:16], s[12:13]
	s_mov_b32 s12, 0x724a7ffa
	s_mov_b32 s13, 0x3fd02a63
	v_add_f64 v[25:26], v[48:49], v[25:26]
	v_fma_f64 v[29:30], v[27:28], v[29:30], s[4:5]
	v_fma_f64 v[31:32], v[35:36], v[31:32], v[35:36]
	s_mov_b32 s4, 0x55555511
	s_mov_b32 s5, 0x3fc55555
	v_add_f64 v[35:36], v[48:49], -v[50:51]
	v_add_f64 v[21:22], v[21:22], -v[50:51]
	v_div_scale_f64 v[50:51], vcc_lo, v[23:24], v[10:11], v[23:24]
	v_fma_f64 v[2:3], v[2:3], v[15:16], -v[17:18]
	v_add_f64 v[48:49], v[52:53], v[25:26]
	v_fma_f64 v[29:30], v[27:28], v[29:30], s[4:5]
	v_fma_f64 v[15:16], -v[64:65], v[31:32], 1.0
	s_mov_b32 s4, 11
	s_mov_b32 s5, 0x3fe00000
	v_add_f64 v[35:36], v[37:38], -v[35:36]
	v_add_f64 v[2:3], v[2:3], s[12:13]
	v_add_f64 v[37:38], v[48:49], -v[52:53]
	v_fma_f64 v[29:30], v[27:28], v[29:30], s[4:5]
	v_fma_f64 v[15:16], v[31:32], v[15:16], v[31:32]
	v_cvt_i32_f64_e32 v31, v[33:34]
	v_cmp_neq_f64_e64 s4, 0, v[19:20]
	v_add_f64 v[21:22], v[21:22], v[35:36]
	v_add_f64 v[2:3], v[2:3], -v[17:18]
	v_add_f64 v[25:26], v[25:26], -v[37:38]
	v_fma_f64 v[29:30], v[27:28], v[29:30], 1.0
	v_mul_f64 v[17:18], v[50:51], v[15:16]
	v_mul_f64 v[2:3], v[2:3], 0.5
	v_add_f64 v[21:22], v[21:22], v[25:26]
	v_fma_f64 v[25:26], v[27:28], v[29:30], 1.0
	v_fma_f64 v[27:28], -v[64:65], v[17:18], v[50:51]
	v_mul_f64 v[2:3], v[10:11], v[2:3]
	v_add_f64 v[21:22], v[48:49], v[21:22]
	v_ldexp_f64 v[25:26], v[25:26], v31
	v_div_fmas_f64 v[15:16], v[27:28], v[15:16], v[17:18]
	v_cmp_neq_f64_e32 vcc_lo, 0x7ff00000, v[19:20]
	v_mul_f64 v[2:3], v[25:26], v[2:3]
	v_div_fixup_f64 v[10:11], v[15:16], v[10:11], v[23:24]
	v_cndmask_b32_e32 v17, 0x7ff00000, v22, vcc_lo
	s_and_b32 vcc_lo, s4, vcc_lo
	v_cndmask_b32_e32 v15, 0, v21, vcc_lo
	v_cndmask_b32_e64 v16, 0xfff00000, v17, s4
	v_fma_f64 v[2:3], v[15:16], v[2:3], v[10:11]
.LBB1_4:
	s_andn2_saveexec_b32 s5, s10
	s_cbranch_execz .LBB1_6
; %bb.5:
	v_div_scale_f64 v[2:3], null, v[10:11], v[10:11], 0x40200000
	v_div_scale_f64 v[19:20], vcc_lo, 0x40200000, v[10:11], 0x40200000
	s_mov_b32 s10, 0x838f5ed3
	s_mov_b32 s11, 0x3c74af1a
	;; [unrolled: 1-line block ×4, first 2 shown]
	v_cmp_nlt_f64_e64 s4, 0x4090cc00, v[10:11]
	v_rcp_f64_e32 v[15:16], v[2:3]
	v_fma_f64 v[17:18], -v[2:3], v[15:16], 1.0
	v_fma_f64 v[15:16], v[15:16], v[17:18], v[15:16]
	v_fma_f64 v[17:18], -v[2:3], v[15:16], 1.0
	v_fma_f64 v[15:16], v[15:16], v[17:18], v[15:16]
	v_mul_f64 v[17:18], v[19:20], v[15:16]
	v_fma_f64 v[2:3], -v[2:3], v[17:18], v[19:20]
	v_div_fmas_f64 v[2:3], v[2:3], v[15:16], v[17:18]
	v_cmp_gt_f64_e32 vcc_lo, 0x10000000, v[10:11]
	v_div_fixup_f64 v[2:3], v[2:3], v[10:11], 0x40200000
	v_cndmask_b32_e64 v25, 0, 0x100, vcc_lo
	v_ldexp_f64 v[25:26], v[10:11], v25
	v_add_f64 v[2:3], v[2:3], -2.0
	v_rsq_f64_e32 v[27:28], v[25:26]
	v_fma_f64 v[15:16], v[2:3], s[12:13], s[10:11]
	s_mov_b32 s13, 0x3c5a8c5d
	s_mov_b32 s10, 0x17771d52
	;; [unrolled: 1-line block ×3, first 2 shown]
	v_mul_f64 v[29:30], v[25:26], v[27:28]
	v_mul_f64 v[27:28], v[27:28], 0.5
	v_fma_f64 v[17:18], v[2:3], v[15:16], s[12:13]
	s_mov_b32 s12, 0x6a5dcb37
	s_mov_b32 s13, 0x3e5ade15
	v_fma_f64 v[31:32], -v[27:28], v[29:30], 0.5
	v_add_f64 v[17:18], v[17:18], s[10:11]
	s_mov_b32 s10, 0x44ee2c0b
	s_mov_b32 s11, 0x3caa7d5e
	v_fma_f64 v[29:30], v[29:30], v[31:32], v[29:30]
	v_fma_f64 v[27:28], v[27:28], v[31:32], v[27:28]
	v_fma_f64 v[15:16], v[2:3], v[17:18], -v[15:16]
	v_fma_f64 v[31:32], -v[29:30], v[29:30], v[25:26]
	v_add_f64 v[15:16], v[15:16], s[10:11]
	s_mov_b32 s10, 0xd8758ef2
	s_mov_b32 s11, 0xbcc5d2a3
	v_fma_f64 v[17:18], v[2:3], v[15:16], -v[17:18]
	v_add_f64 v[17:18], v[17:18], s[10:11]
	s_mov_b32 s10, 0xefee81bd
	s_mov_b32 s11, 0x3ce25ced
	v_fma_f64 v[15:16], v[2:3], v[17:18], -v[15:16]
	v_add_f64 v[15:16], v[15:16], s[10:11]
	s_mov_b32 s10, 0x364185ab
	s_mov_b32 s11, 0xbcff9d52
	v_fma_f64 v[17:18], v[2:3], v[15:16], -v[17:18]
	v_add_f64 v[17:18], v[17:18], s[10:11]
	s_mov_b32 s10, 0x59151f65
	s_mov_b32 s11, 0x3d1be3e9
	v_fma_f64 v[15:16], v[2:3], v[17:18], -v[15:16]
	v_add_f64 v[15:16], v[15:16], s[10:11]
	s_mov_b32 s10, 0xd4cbcfb3
	s_mov_b32 s11, 0xbd394465
	v_fma_f64 v[17:18], v[2:3], v[15:16], -v[17:18]
	v_add_f64 v[17:18], v[17:18], s[10:11]
	s_mov_b32 s10, 0x40ab0b1
	s_mov_b32 s11, 0x3d578ffa
	v_fma_f64 v[15:16], v[2:3], v[17:18], -v[15:16]
	v_add_f64 v[15:16], v[15:16], s[10:11]
	s_mov_b32 s10, 0x61fc88f8
	s_mov_b32 s11, 0xbd76adec
	v_fma_f64 v[17:18], v[2:3], v[15:16], -v[17:18]
	v_add_f64 v[17:18], v[17:18], s[10:11]
	s_mov_b32 s10, 0x46c04f10
	s_mov_b32 s11, 0x3d969ab8
	v_fma_f64 v[15:16], v[2:3], v[17:18], -v[15:16]
	v_add_f64 v[15:16], v[15:16], s[10:11]
	s_mov_b32 s10, 0x9401ce7b
	s_mov_b32 s11, 0xbdb76b53
	v_fma_f64 v[17:18], v[2:3], v[15:16], -v[17:18]
	v_add_f64 v[17:18], v[17:18], s[10:11]
	s_mov_b32 s10, 0x8a42f6a
	s_mov_b32 s11, 0x3dd956d0
	v_fma_f64 v[15:16], v[2:3], v[17:18], -v[15:16]
	v_add_f64 v[15:16], v[15:16], s[10:11]
	s_mov_b32 s10, 0x365cf27
	s_mov_b32 s11, 0xbdfccbc0
	v_fma_f64 v[17:18], v[2:3], v[15:16], -v[17:18]
	v_add_f64 v[17:18], v[17:18], s[10:11]
	s_mov_b32 s10, 0x2a73d24e
	s_mov_b32 s11, 0x3e214f24
	v_fma_f64 v[15:16], v[2:3], v[17:18], -v[15:16]
	v_add_f64 v[15:16], v[15:16], s[10:11]
	s_mov_b32 s10, 0x9fe1e088
	s_mov_b32 s11, 0xbe4637a4
	v_fma_f64 v[17:18], v[2:3], v[15:16], -v[17:18]
	v_add_f64 v[17:18], v[17:18], s[10:11]
	s_mov_b32 s10, 0x668fc461
	s_mov_b32 s11, 0x3e6ed27c
	v_fma_f64 v[15:16], v[2:3], v[17:18], -v[15:16]
	v_add_f64 v[15:16], v[15:16], s[10:11]
	s_mov_b32 s10, 0x652b82fe
	s_mov_b32 s11, 0xbff71547
	v_mul_f64 v[19:20], v[10:11], s[10:11]
	s_mov_b32 s10, 0x8fada5c6
	s_mov_b32 s11, 0xbe978052
	v_fma_f64 v[17:18], v[2:3], v[15:16], -v[17:18]
	v_rndne_f64_e32 v[19:20], v[19:20]
	v_add_f64 v[17:18], v[17:18], s[10:11]
	s_mov_b32 s10, 0xfefa39ef
	s_mov_b32 s11, 0xbfe62e42
	v_fma_f64 v[21:22], v[19:20], s[10:11], -v[10:11]
	s_mov_b32 s10, 0x3b39803f
	s_mov_b32 s11, 0xbc7abc9e
	v_cndmask_b32_e64 v10, 0, 0xffffff80, vcc_lo
	v_cmp_class_f64_e64 vcc_lo, v[25:26], 0x260
	v_fma_f64 v[15:16], v[2:3], v[17:18], -v[15:16]
	v_fma_f64 v[21:22], v[19:20], s[10:11], v[21:22]
	s_mov_b32 s10, 0x1752d1b6
	s_mov_b32 s11, 0x3ec42fe3
	v_add_f64 v[15:16], v[15:16], s[10:11]
	s_mov_b32 s10, 0xfca7ab0c
	s_mov_b32 s11, 0x3e928af3
	v_fma_f64 v[23:24], v[21:22], s[12:13], s[10:11]
	s_mov_b32 s10, 0x623fde64
	s_mov_b32 s11, 0x3ec71dee
	v_fma_f64 v[17:18], v[2:3], v[15:16], -v[17:18]
	v_fma_f64 v[23:24], v[21:22], v[23:24], s[10:11]
	s_mov_b32 s10, 0x1dcdb2e5
	s_mov_b32 s11, 0xbef44d71
	v_add_f64 v[17:18], v[17:18], s[10:11]
	s_mov_b32 s10, 0x7c89e6b0
	s_mov_b32 s11, 0x3efa0199
	v_fma_f64 v[23:24], v[21:22], v[23:24], s[10:11]
	s_mov_b32 s10, 0x14761f6e
	s_mov_b32 s11, 0x3f2a01a0
	;; [unrolled: 10-line block ×5, first 2 shown]
	v_fma_f64 v[2:3], v[2:3], v[15:16], -v[17:18]
	v_fma_f64 v[15:16], v[31:32], v[27:28], v[29:30]
	v_cvt_i32_f64_e32 v31, v[19:20]
	v_fma_f64 v[23:24], v[21:22], v[23:24], 1.0
	v_add_f64 v[2:3], v[2:3], s[10:11]
	v_fma_f64 v[29:30], -v[15:16], v[15:16], v[25:26]
	v_fma_f64 v[19:20], v[21:22], v[23:24], 1.0
	v_add_f64 v[2:3], v[2:3], -v[17:18]
	v_fma_f64 v[15:16], v[29:30], v[27:28], v[15:16]
	v_ldexp_f64 v[17:18], v[19:20], v31
	v_mul_f64 v[2:3], v[2:3], 0.5
	v_ldexp_f64 v[10:11], v[15:16], v10
	v_cndmask_b32_e64 v16, 0, v18, s4
	v_cndmask_b32_e64 v15, 0, v17, s4
	v_mul_f64 v[2:3], v[15:16], v[2:3]
	v_cndmask_b32_e32 v11, v11, v26, vcc_lo
	v_cndmask_b32_e32 v10, v10, v25, vcc_lo
	v_div_scale_f64 v[15:16], null, v[10:11], v[10:11], v[2:3]
	v_rcp_f64_e32 v[17:18], v[15:16]
	v_fma_f64 v[19:20], -v[15:16], v[17:18], 1.0
	v_fma_f64 v[17:18], v[17:18], v[19:20], v[17:18]
	v_fma_f64 v[19:20], -v[15:16], v[17:18], 1.0
	v_fma_f64 v[17:18], v[17:18], v[19:20], v[17:18]
	v_div_scale_f64 v[19:20], vcc_lo, v[2:3], v[10:11], v[2:3]
	v_mul_f64 v[21:22], v[19:20], v[17:18]
	v_fma_f64 v[15:16], -v[15:16], v[21:22], v[19:20]
	v_div_fmas_f64 v[15:16], v[15:16], v[17:18], v[21:22]
	v_div_fixup_f64 v[2:3], v[15:16], v[10:11], v[2:3]
.LBB1_6:
	s_or_b32 exec_lo, exec_lo, s5
.LBB1_7:
	s_or_b32 exec_lo, exec_lo, s9
.LBB1_8:
	s_or_b32 exec_lo, exec_lo, s8
	s_mov_b32 s8, exec_lo
	v_cmpx_neq_f64_e32 0, v[12:13]
	s_cbranch_execz .LBB1_16
; %bb.9:
	v_mov_b32_e32 v4, 0
	v_mov_b32_e32 v5, 0x7ff80000
	s_mov_b32 s9, exec_lo
	v_cmpx_ngt_f64_e32 0, v[12:13]
	s_cbranch_execz .LBB1_15
; %bb.10:
	s_mov_b32 s4, exec_lo
	v_cmpx_ge_f64_e32 2.0, v[12:13]
	s_xor_b32 s10, exec_lo, s4
	s_cbranch_execz .LBB1_12
; %bb.11:
	v_fma_f64 v[4:5], v[12:13], 0.5, -2.0
	s_mov_b32 s4, 0xc38a0576
	s_mov_b32 s5, 0xbc7857d0
	;; [unrolled: 1-line block ×4, first 2 shown]
	v_mul_f64 v[17:18], v[12:13], 0.5
	v_fma_f64 v[33:34], v[12:13], v[12:13], -2.0
	s_mov_b32 s15, 0xbc603228
	s_mov_b32 s14, 0x3d3cda56
	s_mov_b32 s16, 0x8363992a
	s_mov_b32 s17, 0xbeacc079
	v_fma_f64 v[10:11], v[4:5], s[12:13], s[4:5]
	s_mov_b32 s13, 0xbc499f2a
	s_mov_b32 s4, 0xe593bfac
	;; [unrolled: 1-line block ×3, first 2 shown]
	v_frexp_mant_f64_e32 v[19:20], v[17:18]
	v_frexp_exp_i32_f64_e32 v37, v[17:18]
	v_fma_f64 v[15:16], v[4:5], v[10:11], s[12:13]
	s_mov_b32 s12, 0x97eb07de
	s_mov_b32 s13, 0xbdd25103
	v_add_f64 v[15:16], v[15:16], s[4:5]
	s_mov_b32 s4, 0x7e0d1573
	s_mov_b32 s5, 0xbcd3eaaa
	v_fma_f64 v[10:11], v[4:5], v[15:16], -v[10:11]
	v_add_f64 v[10:11], v[10:11], s[4:5]
	s_mov_b32 s4, 0x615290c
	s_mov_b32 s5, 0x3d011d7f
	v_fma_f64 v[15:16], v[4:5], v[10:11], -v[15:16]
	;; [unrolled: 4-line block ×6, first 2 shown]
	v_add_f64 v[15:16], v[15:16], s[4:5]
	s_mov_b32 s5, 0x3fe55555
	s_mov_b32 s4, 0x55555555
	v_cmp_gt_f64_e32 vcc_lo, s[4:5], v[19:20]
	s_mov_b32 s4, 0x55555780
	v_fma_f64 v[10:11], v[4:5], v[15:16], -v[10:11]
	v_cndmask_b32_e64 v21, 0, 1, vcc_lo
	v_ldexp_f64 v[19:20], v[19:20], v21
	v_add_f64 v[10:11], v[10:11], s[12:13]
	s_mov_b32 s12, 0xb43fdf6c
	s_mov_b32 s13, 0x3df8ea34
	v_add_f64 v[21:22], v[19:20], 1.0
	v_add_f64 v[27:28], v[19:20], -1.0
	v_fma_f64 v[15:16], v[4:5], v[10:11], -v[15:16]
	v_rcp_f64_e32 v[23:24], v[21:22]
	v_add_f64 v[29:30], v[21:22], -1.0
	v_add_f64 v[15:16], v[15:16], s[12:13]
	s_mov_b32 s12, 0x28ea67e6
	s_mov_b32 s13, 0xbe20361b
	v_add_f64 v[19:20], v[19:20], -v[29:30]
	v_fma_f64 v[25:26], -v[21:22], v[23:24], 1.0
	v_fma_f64 v[10:11], v[4:5], v[15:16], -v[10:11]
	v_fma_f64 v[23:24], v[25:26], v[23:24], v[23:24]
	v_add_f64 v[10:11], v[10:11], s[12:13]
	s_mov_b32 s12, 0x2395010
	s_mov_b32 s13, 0x3e44258e
	v_fma_f64 v[25:26], -v[21:22], v[23:24], 1.0
	v_fma_f64 v[15:16], v[4:5], v[10:11], -v[15:16]
	v_fma_f64 v[23:24], v[25:26], v[23:24], v[23:24]
	v_add_f64 v[15:16], v[15:16], s[12:13]
	s_mov_b32 s12, 0x24b8c3e8
	s_mov_b32 s13, 0xbe67dd3e
	v_mul_f64 v[25:26], v[27:28], v[23:24]
	v_fma_f64 v[10:11], v[4:5], v[15:16], -v[10:11]
	v_mul_f64 v[31:32], v[21:22], v[25:26]
	v_add_f64 v[10:11], v[10:11], s[12:13]
	s_mov_b32 s12, 0xb347d108
	s_mov_b32 s13, 0x3e8ae344
	v_fma_f64 v[21:22], v[25:26], v[21:22], -v[31:32]
	v_fma_f64 v[15:16], v[4:5], v[10:11], -v[15:16]
	v_fma_f64 v[19:20], v[25:26], v[19:20], v[21:22]
	v_add_f64 v[15:16], v[15:16], s[12:13]
	s_mov_b32 s12, 0x7a0399e0
	s_mov_b32 s13, 0xbce5dd51
	v_fma_f64 v[35:36], v[33:34], s[14:15], s[12:13]
	s_mov_b32 s15, 0x3c603228
	s_mov_b32 s12, 0xddd0e045
	;; [unrolled: 1-line block ×3, first 2 shown]
	v_add_f64 v[21:22], v[31:32], v[19:20]
	v_fma_f64 v[10:11], v[4:5], v[15:16], -v[10:11]
	v_add_f64 v[29:30], v[27:28], -v[21:22]
	v_add_f64 v[31:32], v[21:22], -v[31:32]
	v_add_f64 v[10:11], v[10:11], s[16:17]
	s_mov_b32 s16, 0xd3d694fe
	s_mov_b32 s17, 0xbf2533ca
	v_add_f64 v[27:28], v[27:28], -v[29:30]
	v_add_f64 v[19:20], v[31:32], -v[19:20]
	v_fma_f64 v[15:16], v[4:5], v[10:11], -v[15:16]
	v_add_f64 v[21:22], v[27:28], -v[21:22]
	v_fma_f64 v[27:28], v[33:34], v[35:36], s[14:15]
	s_mov_b32 s14, 0xd511afc5
	s_mov_b32 s15, 0x3ecd1c4e
	v_add_f64 v[15:16], v[15:16], s[14:15]
	s_mov_b32 s14, 0xb8debbcf
	s_mov_b32 s15, 0xbeebd5f9
	v_add_f64 v[19:20], v[19:20], v[21:22]
	v_add_f64 v[21:22], v[27:28], s[12:13]
	s_mov_b32 s12, 0xb84626ca
	s_mov_b32 s13, 0xbde3663b
	v_fma_f64 v[10:11], v[4:5], v[15:16], -v[10:11]
	v_add_f64 v[19:20], v[29:30], v[19:20]
	v_fma_f64 v[27:28], v[33:34], v[21:22], -v[35:36]
	v_add_f64 v[10:11], v[10:11], s[14:15]
	s_mov_b32 s14, 0x42c70d0b
	s_mov_b32 s15, 0x3f0911b5
	v_mul_f64 v[19:20], v[23:24], v[19:20]
	v_add_f64 v[23:24], v[27:28], s[12:13]
	s_mov_b32 s12, 0x145c31d0
	s_mov_b32 s13, 0xbe57c41d
	v_fma_f64 v[15:16], v[4:5], v[10:11], -v[15:16]
	v_add_f64 v[27:28], v[25:26], v[19:20]
	v_fma_f64 v[21:22], v[33:34], v[23:24], -v[21:22]
	v_add_f64 v[15:16], v[15:16], s[14:15]
	s_mov_b32 s14, 0xbf559e2b
	s_mov_b32 s15, 0x3fc3ab76
	v_mul_f64 v[29:30], v[27:28], v[27:28]
	v_add_f64 v[21:22], v[21:22], s[12:13]
	s_mov_b32 s12, 0x6b47b09a
	s_mov_b32 s13, 0x3fc38538
	v_add_f64 v[25:26], v[27:28], -v[25:26]
	v_fma_f64 v[10:11], v[4:5], v[15:16], -v[10:11]
	v_fma_f64 v[31:32], v[29:30], s[14:15], s[12:13]
	v_fma_f64 v[23:24], v[33:34], v[21:22], -v[23:24]
	s_mov_b32 s12, 0x2c832e3a
	s_mov_b32 s13, 0xbec469b3
	;; [unrolled: 1-line block ×4, first 2 shown]
	v_mul_f64 v[35:36], v[27:28], v[29:30]
	v_add_f64 v[19:20], v[19:20], -v[25:26]
	v_add_f64 v[10:11], v[10:11], s[16:17]
	s_mov_b32 s16, 0xb6c6df7d
	s_mov_b32 s17, 0x3f40c95d
	v_fma_f64 v[31:32], v[29:30], v[31:32], s[14:15]
	v_add_f64 v[23:24], v[23:24], s[12:13]
	s_mov_b32 s12, 0x16291751
	s_mov_b32 s13, 0x3fcc71c0
	;; [unrolled: 1-line block ×4, first 2 shown]
	v_ldexp_f64 v[19:20], v[19:20], 1
	v_fma_f64 v[15:16], v[4:5], v[10:11], -v[15:16]
	v_fma_f64 v[31:32], v[29:30], v[31:32], s[12:13]
	v_fma_f64 v[21:22], v[33:34], v[23:24], -v[21:22]
	s_mov_b32 s12, 0xe5a3bd02
	s_mov_b32 s13, 0xbf26ade2
	v_add_f64 v[15:16], v[15:16], s[16:17]
	s_mov_b32 s16, 0xe7bb2349
	s_mov_b32 s17, 0x3f9951e3
	v_fma_f64 v[31:32], v[29:30], v[31:32], s[14:15]
	v_add_f64 v[21:22], v[21:22], s[12:13]
	s_mov_b32 s12, 0x998ef7b6
	s_mov_b32 s13, 0x3fd99999
	;; [unrolled: 1-line block ×4, first 2 shown]
	v_fma_f64 v[10:11], v[4:5], v[15:16], -v[10:11]
	v_fma_f64 v[31:32], v[29:30], v[31:32], s[12:13]
	v_fma_f64 v[23:24], v[33:34], v[21:22], -v[23:24]
	s_mov_b32 s12, 0x9d7d4192
	s_mov_b32 s13, 0xbf7c9293
	v_add_f64 v[10:11], v[10:11], s[14:15]
	s_mov_b32 s14, 0x49d3a1b4
	s_mov_b32 s15, 0x3f710653
	v_fma_f64 v[29:30], v[29:30], v[31:32], s[4:5]
	v_add_f64 v[23:24], v[23:24], s[12:13]
	v_ldexp_f64 v[31:32], v[27:28], 1
	s_mov_b32 s4, 0x43c1db74
	s_mov_b32 s5, 0xbfbf6372
	;; [unrolled: 1-line block ×4, first 2 shown]
	v_fma_f64 v[15:16], v[4:5], v[10:11], -v[15:16]
	v_mul_f64 v[29:30], v[35:36], v[29:30]
	v_fma_f64 v[21:22], v[33:34], v[23:24], -v[21:22]
	v_subrev_co_ci_u32_e64 v35, null, 0, v37, vcc_lo
	v_mul_f64 v[37:38], v[12:13], s[12:13]
	s_mov_b32 s12, 0x757b0dd4
	s_mov_b32 s13, 0xbfd69a1b
	v_cvt_f64_i32_e32 v[35:36], v35
	v_add_f64 v[15:16], v[15:16], s[14:15]
	s_mov_b32 s14, 0x7913a26a
	s_mov_b32 s15, 0xbf85a29f
	v_add_f64 v[27:28], v[31:32], v[29:30]
	v_add_f64 v[21:22], v[21:22], s[4:5]
	s_mov_b32 s5, 0x3fe62e42
	s_mov_b32 s4, 0xfefa39ef
	v_mul_f64 v[48:49], v[35:36], s[4:5]
	v_fma_f64 v[10:11], v[4:5], v[15:16], -v[10:11]
	v_add_f64 v[25:26], v[27:28], -v[31:32]
	v_fma_f64 v[23:24], v[33:34], v[21:22], -v[23:24]
	v_rndne_f64_e32 v[31:32], v[37:38]
	v_fma_f64 v[37:38], v[35:36], s[4:5], -v[48:49]
	s_mov_b32 s5, 0xbfe62e42
	v_add_f64 v[10:11], v[10:11], s[14:15]
	s_mov_b32 s14, 0x6a5dcb37
	s_mov_b32 s15, 0x3e5ade15
	v_add_f64 v[25:26], v[29:30], -v[25:26]
	v_add_f64 v[23:24], v[23:24], s[12:13]
	v_fma_f64 v[29:30], v[31:32], s[4:5], v[12:13]
	s_mov_b32 s5, 0x3c7abc9e
	s_mov_b32 s4, 0x3b39803f
	;; [unrolled: 1-line block ×4, first 2 shown]
	v_fma_f64 v[35:36], v[35:36], s[4:5], v[37:38]
	s_mov_b32 s5, 0xbc7abc9e
	v_fma_f64 v[15:16], v[4:5], v[10:11], -v[15:16]
	v_add_f64 v[19:20], v[19:20], v[25:26]
	v_fma_f64 v[23:24], v[33:34], v[23:24], -v[21:22]
	v_fma_f64 v[25:26], v[31:32], s[4:5], v[29:30]
	s_mov_b32 s4, 0x361008ca
	s_mov_b32 s5, 0x3ff867a1
	v_add_f64 v[29:30], v[48:49], v[35:36]
	v_add_f64 v[15:16], v[15:16], s[16:17]
	;; [unrolled: 1-line block ×4, first 2 shown]
	v_fma_f64 v[37:38], v[25:26], s[14:15], s[12:13]
	s_mov_b32 s4, 0x623fde64
	s_mov_b32 s5, 0x3ec71dee
	;; [unrolled: 1-line block ×4, first 2 shown]
	v_add_f64 v[48:49], v[29:30], -v[48:49]
	v_fma_f64 v[10:11], v[4:5], v[15:16], -v[10:11]
	v_add_f64 v[50:51], v[29:30], v[33:34]
	v_add_f64 v[21:22], v[23:24], -v[21:22]
	v_fma_f64 v[37:38], v[25:26], v[37:38], s[4:5]
	s_mov_b32 s4, 0x7c89e6b0
	s_mov_b32 s5, 0x3efa0199
	v_add_f64 v[27:28], v[33:34], -v[27:28]
	v_add_f64 v[35:36], v[35:36], -v[48:49]
	v_add_f64 v[10:11], v[10:11], s[12:13]
	s_mov_b32 s12, 0xd536f53c
	s_mov_b32 s13, 0x3fba46da
	v_add_f64 v[23:24], v[50:51], -v[29:30]
	v_mul_f64 v[21:22], v[21:22], 0.5
	v_fma_f64 v[37:38], v[25:26], v[37:38], s[4:5]
	s_mov_b32 s4, 0x14761f6e
	s_mov_b32 s5, 0x3f2a01a0
	v_add_f64 v[19:20], v[19:20], -v[27:28]
	v_fma_f64 v[15:16], v[4:5], v[10:11], -v[15:16]
	v_add_f64 v[52:53], v[50:51], -v[23:24]
	v_div_scale_f64 v[54:55], null, v[12:13], v[12:13], v[21:22]
	v_fma_f64 v[37:38], v[25:26], v[37:38], s[4:5]
	s_mov_b32 s4, 0x1852b7b0
	s_mov_b32 s5, 0x3f56c16c
	v_add_f64 v[23:24], v[33:34], -v[23:24]
	v_add_f64 v[15:16], v[15:16], s[12:13]
	s_mov_b32 s12, 0x469192e
	s_mov_b32 s13, 0xbfc694d1
	v_add_f64 v[27:28], v[29:30], -v[52:53]
	v_rcp_f64_e32 v[33:34], v[54:55]
	v_fma_f64 v[29:30], v[25:26], v[37:38], s[4:5]
	s_mov_b32 s4, 0x11122322
	s_mov_b32 s5, 0x3f811111
	v_add_f64 v[37:38], v[35:36], v[19:20]
	v_fma_f64 v[10:11], v[4:5], v[15:16], -v[10:11]
	v_add_f64 v[23:24], v[23:24], v[27:28]
	v_fma_f64 v[27:28], v[25:26], v[29:30], s[4:5]
	v_fma_f64 v[29:30], -v[54:55], v[33:34], 1.0
	s_mov_b32 s4, 0x555502a1
	s_mov_b32 s5, 0x3fa55555
	v_add_f64 v[48:49], v[37:38], -v[35:36]
	v_add_f64 v[10:11], v[10:11], s[12:13]
	s_mov_b32 s12, 0x724a7ffa
	s_mov_b32 s13, 0x3fd02a63
	v_add_f64 v[23:24], v[37:38], v[23:24]
	v_fma_f64 v[27:28], v[25:26], v[27:28], s[4:5]
	v_fma_f64 v[29:30], v[33:34], v[29:30], v[33:34]
	s_mov_b32 s4, 0x55555511
	s_mov_b32 s5, 0x3fc55555
	v_add_f64 v[33:34], v[37:38], -v[48:49]
	v_add_f64 v[19:20], v[19:20], -v[48:49]
	v_div_scale_f64 v[48:49], vcc_lo, v[21:22], v[12:13], v[21:22]
	v_fma_f64 v[4:5], v[4:5], v[10:11], -v[15:16]
	v_add_f64 v[37:38], v[50:51], v[23:24]
	v_fma_f64 v[27:28], v[25:26], v[27:28], s[4:5]
	v_fma_f64 v[10:11], -v[54:55], v[29:30], 1.0
	s_mov_b32 s4, 11
	s_mov_b32 s5, 0x3fe00000
	v_add_f64 v[33:34], v[35:36], -v[33:34]
	v_add_f64 v[4:5], v[4:5], s[12:13]
	v_add_f64 v[35:36], v[37:38], -v[50:51]
	v_fma_f64 v[27:28], v[25:26], v[27:28], s[4:5]
	v_fma_f64 v[10:11], v[29:30], v[10:11], v[29:30]
	v_cvt_i32_f64_e32 v29, v[31:32]
	v_cmp_neq_f64_e64 s4, 0, v[17:18]
	v_add_f64 v[19:20], v[19:20], v[33:34]
	v_add_f64 v[4:5], v[4:5], -v[15:16]
	v_add_f64 v[23:24], v[23:24], -v[35:36]
	v_fma_f64 v[27:28], v[25:26], v[27:28], 1.0
	v_mul_f64 v[15:16], v[48:49], v[10:11]
	v_mul_f64 v[4:5], v[4:5], 0.5
	v_add_f64 v[19:20], v[19:20], v[23:24]
	v_fma_f64 v[23:24], v[25:26], v[27:28], 1.0
	v_fma_f64 v[25:26], -v[54:55], v[15:16], v[48:49]
	v_mul_f64 v[4:5], v[12:13], v[4:5]
	v_add_f64 v[19:20], v[37:38], v[19:20]
	v_ldexp_f64 v[23:24], v[23:24], v29
	v_div_fmas_f64 v[10:11], v[25:26], v[10:11], v[15:16]
	v_cmp_neq_f64_e32 vcc_lo, 0x7ff00000, v[17:18]
	v_mul_f64 v[4:5], v[23:24], v[4:5]
	v_div_fixup_f64 v[10:11], v[10:11], v[12:13], v[21:22]
	v_cndmask_b32_e32 v15, 0x7ff00000, v20, vcc_lo
	s_and_b32 vcc_lo, s4, vcc_lo
	v_cndmask_b32_e32 v12, 0, v19, vcc_lo
	v_cndmask_b32_e64 v13, 0xfff00000, v15, s4
	v_fma_f64 v[4:5], v[12:13], v[4:5], v[10:11]
                                        ; implicit-def: $vgpr12_vgpr13
.LBB1_12:
	s_andn2_saveexec_b32 s5, s10
	s_cbranch_execz .LBB1_14
; %bb.13:
	v_div_scale_f64 v[4:5], null, v[12:13], v[12:13], 0x40200000
	v_div_scale_f64 v[17:18], vcc_lo, 0x40200000, v[12:13], 0x40200000
	s_mov_b32 s10, 0x838f5ed3
	s_mov_b32 s11, 0x3c74af1a
	;; [unrolled: 1-line block ×4, first 2 shown]
	v_cmp_nlt_f64_e64 s4, 0x4090cc00, v[12:13]
	v_rcp_f64_e32 v[10:11], v[4:5]
	v_fma_f64 v[15:16], -v[4:5], v[10:11], 1.0
	v_fma_f64 v[10:11], v[10:11], v[15:16], v[10:11]
	v_fma_f64 v[15:16], -v[4:5], v[10:11], 1.0
	v_fma_f64 v[10:11], v[10:11], v[15:16], v[10:11]
	v_mul_f64 v[15:16], v[17:18], v[10:11]
	v_fma_f64 v[4:5], -v[4:5], v[15:16], v[17:18]
	v_div_fmas_f64 v[4:5], v[4:5], v[10:11], v[15:16]
	v_cmp_gt_f64_e32 vcc_lo, 0x10000000, v[12:13]
	v_div_fixup_f64 v[4:5], v[4:5], v[12:13], 0x40200000
	v_cndmask_b32_e64 v23, 0, 0x100, vcc_lo
	v_ldexp_f64 v[23:24], v[12:13], v23
	v_add_f64 v[4:5], v[4:5], -2.0
	v_rsq_f64_e32 v[25:26], v[23:24]
	v_fma_f64 v[10:11], v[4:5], s[12:13], s[10:11]
	s_mov_b32 s13, 0x3c5a8c5d
	s_mov_b32 s10, 0x17771d52
	;; [unrolled: 1-line block ×3, first 2 shown]
	v_mul_f64 v[27:28], v[23:24], v[25:26]
	v_mul_f64 v[25:26], v[25:26], 0.5
	v_fma_f64 v[15:16], v[4:5], v[10:11], s[12:13]
	s_mov_b32 s12, 0x6a5dcb37
	s_mov_b32 s13, 0x3e5ade15
	v_fma_f64 v[29:30], -v[25:26], v[27:28], 0.5
	v_add_f64 v[15:16], v[15:16], s[10:11]
	s_mov_b32 s10, 0x44ee2c0b
	s_mov_b32 s11, 0x3caa7d5e
	v_fma_f64 v[27:28], v[27:28], v[29:30], v[27:28]
	v_fma_f64 v[25:26], v[25:26], v[29:30], v[25:26]
	v_fma_f64 v[10:11], v[4:5], v[15:16], -v[10:11]
	v_fma_f64 v[29:30], -v[27:28], v[27:28], v[23:24]
	v_add_f64 v[10:11], v[10:11], s[10:11]
	s_mov_b32 s10, 0xd8758ef2
	s_mov_b32 s11, 0xbcc5d2a3
	v_fma_f64 v[15:16], v[4:5], v[10:11], -v[15:16]
	v_add_f64 v[15:16], v[15:16], s[10:11]
	s_mov_b32 s10, 0xefee81bd
	s_mov_b32 s11, 0x3ce25ced
	v_fma_f64 v[10:11], v[4:5], v[15:16], -v[10:11]
	;; [unrolled: 4-line block ×14, first 2 shown]
	v_add_f64 v[10:11], v[10:11], s[10:11]
	s_mov_b32 s10, 0x652b82fe
	s_mov_b32 s11, 0xbff71547
	v_mul_f64 v[17:18], v[12:13], s[10:11]
	s_mov_b32 s10, 0x8fada5c6
	s_mov_b32 s11, 0xbe978052
	v_fma_f64 v[15:16], v[4:5], v[10:11], -v[15:16]
	v_rndne_f64_e32 v[17:18], v[17:18]
	v_add_f64 v[15:16], v[15:16], s[10:11]
	s_mov_b32 s10, 0xfefa39ef
	s_mov_b32 s11, 0xbfe62e42
	v_fma_f64 v[19:20], v[17:18], s[10:11], -v[12:13]
	s_mov_b32 s10, 0x3b39803f
	s_mov_b32 s11, 0xbc7abc9e
	v_cndmask_b32_e64 v12, 0, 0xffffff80, vcc_lo
	v_cmp_class_f64_e64 vcc_lo, v[23:24], 0x260
	v_fma_f64 v[10:11], v[4:5], v[15:16], -v[10:11]
	v_fma_f64 v[19:20], v[17:18], s[10:11], v[19:20]
	s_mov_b32 s10, 0x1752d1b6
	s_mov_b32 s11, 0x3ec42fe3
	v_add_f64 v[10:11], v[10:11], s[10:11]
	s_mov_b32 s10, 0xfca7ab0c
	s_mov_b32 s11, 0x3e928af3
	v_fma_f64 v[21:22], v[19:20], s[12:13], s[10:11]
	s_mov_b32 s10, 0x623fde64
	s_mov_b32 s11, 0x3ec71dee
	v_fma_f64 v[15:16], v[4:5], v[10:11], -v[15:16]
	v_fma_f64 v[21:22], v[19:20], v[21:22], s[10:11]
	s_mov_b32 s10, 0x1dcdb2e5
	s_mov_b32 s11, 0xbef44d71
	v_add_f64 v[15:16], v[15:16], s[10:11]
	s_mov_b32 s10, 0x7c89e6b0
	s_mov_b32 s11, 0x3efa0199
	v_fma_f64 v[21:22], v[19:20], v[21:22], s[10:11]
	s_mov_b32 s10, 0x14761f6e
	s_mov_b32 s11, 0x3f2a01a0
	;; [unrolled: 10-line block ×5, first 2 shown]
	v_fma_f64 v[4:5], v[4:5], v[10:11], -v[15:16]
	v_fma_f64 v[10:11], v[29:30], v[25:26], v[27:28]
	v_cvt_i32_f64_e32 v29, v[17:18]
	v_fma_f64 v[21:22], v[19:20], v[21:22], 1.0
	v_add_f64 v[4:5], v[4:5], s[10:11]
	v_fma_f64 v[27:28], -v[10:11], v[10:11], v[23:24]
	v_fma_f64 v[17:18], v[19:20], v[21:22], 1.0
	v_add_f64 v[4:5], v[4:5], -v[15:16]
	v_fma_f64 v[10:11], v[27:28], v[25:26], v[10:11]
	v_ldexp_f64 v[15:16], v[17:18], v29
	v_mul_f64 v[4:5], v[4:5], 0.5
	v_ldexp_f64 v[10:11], v[10:11], v12
	v_cndmask_b32_e64 v13, 0, v16, s4
	v_cndmask_b32_e64 v12, 0, v15, s4
	v_mul_f64 v[4:5], v[12:13], v[4:5]
	v_cndmask_b32_e32 v11, v11, v24, vcc_lo
	v_cndmask_b32_e32 v10, v10, v23, vcc_lo
	v_div_scale_f64 v[12:13], null, v[10:11], v[10:11], v[4:5]
	v_rcp_f64_e32 v[15:16], v[12:13]
	v_fma_f64 v[17:18], -v[12:13], v[15:16], 1.0
	v_fma_f64 v[15:16], v[15:16], v[17:18], v[15:16]
	v_fma_f64 v[17:18], -v[12:13], v[15:16], 1.0
	v_fma_f64 v[15:16], v[15:16], v[17:18], v[15:16]
	v_div_scale_f64 v[17:18], vcc_lo, v[4:5], v[10:11], v[4:5]
	v_mul_f64 v[19:20], v[17:18], v[15:16]
	v_fma_f64 v[12:13], -v[12:13], v[19:20], v[17:18]
	v_div_fmas_f64 v[12:13], v[12:13], v[15:16], v[19:20]
	v_div_fixup_f64 v[4:5], v[12:13], v[10:11], v[4:5]
.LBB1_14:
	s_or_b32 exec_lo, exec_lo, s5
.LBB1_15:
	s_or_b32 exec_lo, exec_lo, s9
.LBB1_16:
	s_or_b32 exec_lo, exec_lo, s8
	v_mov_b32_e32 v12, 0
	v_mov_b32_e32 v10, 0
	;; [unrolled: 1-line block ×4, first 2 shown]
	s_mov_b32 s8, exec_lo
	s_waitcnt vmcnt(0) lgkmcnt(0)
	v_cmpx_neq_f64_e32 0, v[6:7]
	s_cbranch_execz .LBB1_24
; %bb.17:
	v_mov_b32_e32 v10, 0
	v_mov_b32_e32 v11, 0x7ff80000
	s_mov_b32 s9, exec_lo
	v_cmpx_ngt_f64_e32 0, v[6:7]
	s_cbranch_execz .LBB1_23
; %bb.18:
	s_mov_b32 s4, exec_lo
	v_cmpx_ge_f64_e32 2.0, v[6:7]
	s_xor_b32 s10, exec_lo, s4
	s_cbranch_execz .LBB1_20
; %bb.19:
	v_fma_f64 v[10:11], v[6:7], 0.5, -2.0
	s_mov_b32 s4, 0xc38a0576
	s_mov_b32 s5, 0xbc7857d0
	;; [unrolled: 1-line block ×4, first 2 shown]
	v_mul_f64 v[19:20], v[6:7], 0.5
	v_fma_f64 v[35:36], v[6:7], v[6:7], -2.0
	s_mov_b32 s15, 0xbc603228
	s_mov_b32 s14, 0x3d3cda56
	;; [unrolled: 1-line block ×4, first 2 shown]
	v_fma_f64 v[15:16], v[10:11], s[12:13], s[4:5]
	s_mov_b32 s13, 0xbc499f2a
	s_mov_b32 s4, 0xe593bfac
	;; [unrolled: 1-line block ×3, first 2 shown]
	v_frexp_mant_f64_e32 v[21:22], v[19:20]
	v_frexp_exp_i32_f64_e32 v39, v[19:20]
	v_fma_f64 v[17:18], v[10:11], v[15:16], s[12:13]
	s_mov_b32 s12, 0x97eb07de
	s_mov_b32 s13, 0xbdd25103
	v_add_f64 v[17:18], v[17:18], s[4:5]
	s_mov_b32 s4, 0x7e0d1573
	s_mov_b32 s5, 0xbcd3eaaa
	v_fma_f64 v[15:16], v[10:11], v[17:18], -v[15:16]
	v_add_f64 v[15:16], v[15:16], s[4:5]
	s_mov_b32 s4, 0x615290c
	s_mov_b32 s5, 0x3d011d7f
	v_fma_f64 v[17:18], v[10:11], v[15:16], -v[17:18]
	;; [unrolled: 4-line block ×6, first 2 shown]
	v_add_f64 v[17:18], v[17:18], s[4:5]
	s_mov_b32 s5, 0x3fe55555
	s_mov_b32 s4, 0x55555555
	v_cmp_gt_f64_e32 vcc_lo, s[4:5], v[21:22]
	s_mov_b32 s4, 0x55555780
	v_fma_f64 v[15:16], v[10:11], v[17:18], -v[15:16]
	v_cndmask_b32_e64 v23, 0, 1, vcc_lo
	v_ldexp_f64 v[21:22], v[21:22], v23
	v_add_f64 v[15:16], v[15:16], s[12:13]
	s_mov_b32 s12, 0xb43fdf6c
	s_mov_b32 s13, 0x3df8ea34
	v_add_f64 v[23:24], v[21:22], 1.0
	v_add_f64 v[29:30], v[21:22], -1.0
	v_fma_f64 v[17:18], v[10:11], v[15:16], -v[17:18]
	v_rcp_f64_e32 v[25:26], v[23:24]
	v_add_f64 v[31:32], v[23:24], -1.0
	v_add_f64 v[17:18], v[17:18], s[12:13]
	s_mov_b32 s12, 0x28ea67e6
	s_mov_b32 s13, 0xbe20361b
	v_add_f64 v[21:22], v[21:22], -v[31:32]
	v_fma_f64 v[27:28], -v[23:24], v[25:26], 1.0
	v_fma_f64 v[15:16], v[10:11], v[17:18], -v[15:16]
	v_fma_f64 v[25:26], v[27:28], v[25:26], v[25:26]
	v_add_f64 v[15:16], v[15:16], s[12:13]
	s_mov_b32 s12, 0x2395010
	s_mov_b32 s13, 0x3e44258e
	v_fma_f64 v[27:28], -v[23:24], v[25:26], 1.0
	v_fma_f64 v[17:18], v[10:11], v[15:16], -v[17:18]
	v_fma_f64 v[25:26], v[27:28], v[25:26], v[25:26]
	v_add_f64 v[17:18], v[17:18], s[12:13]
	s_mov_b32 s12, 0x24b8c3e8
	s_mov_b32 s13, 0xbe67dd3e
	v_mul_f64 v[27:28], v[29:30], v[25:26]
	v_fma_f64 v[15:16], v[10:11], v[17:18], -v[15:16]
	v_mul_f64 v[33:34], v[23:24], v[27:28]
	v_add_f64 v[15:16], v[15:16], s[12:13]
	s_mov_b32 s12, 0xb347d108
	s_mov_b32 s13, 0x3e8ae344
	v_fma_f64 v[23:24], v[27:28], v[23:24], -v[33:34]
	v_fma_f64 v[17:18], v[10:11], v[15:16], -v[17:18]
	v_fma_f64 v[21:22], v[27:28], v[21:22], v[23:24]
	v_add_f64 v[17:18], v[17:18], s[12:13]
	s_mov_b32 s12, 0x7a0399e0
	s_mov_b32 s13, 0xbce5dd51
	v_fma_f64 v[37:38], v[35:36], s[14:15], s[12:13]
	s_mov_b32 s15, 0x3c603228
	s_mov_b32 s12, 0xddd0e045
	;; [unrolled: 1-line block ×3, first 2 shown]
	v_add_f64 v[23:24], v[33:34], v[21:22]
	v_fma_f64 v[15:16], v[10:11], v[17:18], -v[15:16]
	v_add_f64 v[31:32], v[29:30], -v[23:24]
	v_add_f64 v[33:34], v[23:24], -v[33:34]
	v_add_f64 v[15:16], v[15:16], s[16:17]
	s_mov_b32 s16, 0xd3d694fe
	s_mov_b32 s17, 0xbf2533ca
	v_add_f64 v[29:30], v[29:30], -v[31:32]
	v_add_f64 v[21:22], v[33:34], -v[21:22]
	v_fma_f64 v[17:18], v[10:11], v[15:16], -v[17:18]
	v_add_f64 v[23:24], v[29:30], -v[23:24]
	v_fma_f64 v[29:30], v[35:36], v[37:38], s[14:15]
	s_mov_b32 s14, 0xd511afc5
	s_mov_b32 s15, 0x3ecd1c4e
	v_add_f64 v[17:18], v[17:18], s[14:15]
	s_mov_b32 s14, 0xb8debbcf
	s_mov_b32 s15, 0xbeebd5f9
	v_add_f64 v[21:22], v[21:22], v[23:24]
	v_add_f64 v[23:24], v[29:30], s[12:13]
	s_mov_b32 s12, 0xb84626ca
	s_mov_b32 s13, 0xbde3663b
	v_fma_f64 v[15:16], v[10:11], v[17:18], -v[15:16]
	v_add_f64 v[21:22], v[31:32], v[21:22]
	v_fma_f64 v[29:30], v[35:36], v[23:24], -v[37:38]
	v_add_f64 v[15:16], v[15:16], s[14:15]
	s_mov_b32 s14, 0x42c70d0b
	s_mov_b32 s15, 0x3f0911b5
	v_mul_f64 v[21:22], v[25:26], v[21:22]
	v_add_f64 v[25:26], v[29:30], s[12:13]
	s_mov_b32 s12, 0x145c31d0
	s_mov_b32 s13, 0xbe57c41d
	v_fma_f64 v[17:18], v[10:11], v[15:16], -v[17:18]
	v_add_f64 v[29:30], v[27:28], v[21:22]
	v_fma_f64 v[23:24], v[35:36], v[25:26], -v[23:24]
	v_add_f64 v[17:18], v[17:18], s[14:15]
	s_mov_b32 s14, 0xbf559e2b
	s_mov_b32 s15, 0x3fc3ab76
	v_mul_f64 v[31:32], v[29:30], v[29:30]
	v_add_f64 v[23:24], v[23:24], s[12:13]
	s_mov_b32 s12, 0x6b47b09a
	s_mov_b32 s13, 0x3fc38538
	v_add_f64 v[27:28], v[29:30], -v[27:28]
	v_fma_f64 v[15:16], v[10:11], v[17:18], -v[15:16]
	v_fma_f64 v[33:34], v[31:32], s[14:15], s[12:13]
	v_fma_f64 v[25:26], v[35:36], v[23:24], -v[25:26]
	s_mov_b32 s12, 0x2c832e3a
	s_mov_b32 s13, 0xbec469b3
	;; [unrolled: 1-line block ×4, first 2 shown]
	v_mul_f64 v[37:38], v[29:30], v[31:32]
	v_add_f64 v[21:22], v[21:22], -v[27:28]
	v_add_f64 v[15:16], v[15:16], s[16:17]
	s_mov_b32 s16, 0xb6c6df7d
	s_mov_b32 s17, 0x3f40c95d
	v_fma_f64 v[33:34], v[31:32], v[33:34], s[14:15]
	v_add_f64 v[25:26], v[25:26], s[12:13]
	s_mov_b32 s12, 0x16291751
	s_mov_b32 s13, 0x3fcc71c0
	;; [unrolled: 1-line block ×4, first 2 shown]
	v_ldexp_f64 v[21:22], v[21:22], 1
	v_fma_f64 v[17:18], v[10:11], v[15:16], -v[17:18]
	v_fma_f64 v[33:34], v[31:32], v[33:34], s[12:13]
	v_fma_f64 v[23:24], v[35:36], v[25:26], -v[23:24]
	s_mov_b32 s12, 0xe5a3bd02
	s_mov_b32 s13, 0xbf26ade2
	v_add_f64 v[17:18], v[17:18], s[16:17]
	s_mov_b32 s16, 0xe7bb2349
	s_mov_b32 s17, 0x3f9951e3
	v_fma_f64 v[33:34], v[31:32], v[33:34], s[14:15]
	v_add_f64 v[23:24], v[23:24], s[12:13]
	s_mov_b32 s12, 0x998ef7b6
	s_mov_b32 s13, 0x3fd99999
	;; [unrolled: 1-line block ×4, first 2 shown]
	v_fma_f64 v[15:16], v[10:11], v[17:18], -v[15:16]
	v_fma_f64 v[33:34], v[31:32], v[33:34], s[12:13]
	v_fma_f64 v[25:26], v[35:36], v[23:24], -v[25:26]
	s_mov_b32 s12, 0x9d7d4192
	s_mov_b32 s13, 0xbf7c9293
	v_add_f64 v[15:16], v[15:16], s[14:15]
	s_mov_b32 s14, 0x49d3a1b4
	s_mov_b32 s15, 0x3f710653
	v_fma_f64 v[31:32], v[31:32], v[33:34], s[4:5]
	v_add_f64 v[25:26], v[25:26], s[12:13]
	v_ldexp_f64 v[33:34], v[29:30], 1
	s_mov_b32 s4, 0x43c1db74
	s_mov_b32 s5, 0xbfbf6372
	;; [unrolled: 1-line block ×4, first 2 shown]
	v_mul_f64 v[48:49], v[6:7], s[12:13]
	s_mov_b32 s12, 0x757b0dd4
	s_mov_b32 s13, 0xbfd69a1b
	v_fma_f64 v[17:18], v[10:11], v[15:16], -v[17:18]
	v_mul_f64 v[31:32], v[37:38], v[31:32]
	v_fma_f64 v[23:24], v[35:36], v[25:26], -v[23:24]
	v_subrev_co_ci_u32_e64 v37, null, 0, v39, vcc_lo
	v_cvt_f64_i32_e32 v[37:38], v37
	v_add_f64 v[17:18], v[17:18], s[14:15]
	s_mov_b32 s14, 0x7913a26a
	s_mov_b32 s15, 0xbf85a29f
	v_add_f64 v[29:30], v[33:34], v[31:32]
	v_add_f64 v[23:24], v[23:24], s[4:5]
	s_mov_b32 s5, 0x3fe62e42
	s_mov_b32 s4, 0xfefa39ef
	v_mul_f64 v[50:51], v[37:38], s[4:5]
	v_fma_f64 v[15:16], v[10:11], v[17:18], -v[15:16]
	v_add_f64 v[27:28], v[29:30], -v[33:34]
	v_fma_f64 v[25:26], v[35:36], v[23:24], -v[25:26]
	v_rndne_f64_e32 v[33:34], v[48:49]
	v_fma_f64 v[48:49], v[37:38], s[4:5], -v[50:51]
	s_mov_b32 s5, 0xbfe62e42
	v_add_f64 v[15:16], v[15:16], s[14:15]
	s_mov_b32 s14, 0x6a5dcb37
	s_mov_b32 s15, 0x3e5ade15
	v_add_f64 v[27:28], v[31:32], -v[27:28]
	v_add_f64 v[25:26], v[25:26], s[12:13]
	v_fma_f64 v[31:32], v[33:34], s[4:5], v[6:7]
	s_mov_b32 s5, 0x3c7abc9e
	s_mov_b32 s4, 0x3b39803f
	s_mov_b32 s12, 0xfca7ab0c
	s_mov_b32 s13, 0x3e928af3
	v_fma_f64 v[37:38], v[37:38], s[4:5], v[48:49]
	s_mov_b32 s5, 0xbc7abc9e
	v_fma_f64 v[17:18], v[10:11], v[15:16], -v[17:18]
	v_add_f64 v[21:22], v[21:22], v[27:28]
	v_fma_f64 v[25:26], v[35:36], v[25:26], -v[23:24]
	v_fma_f64 v[27:28], v[33:34], s[4:5], v[31:32]
	s_mov_b32 s4, 0x361008ca
	s_mov_b32 s5, 0x3ff867a1
	v_add_f64 v[31:32], v[50:51], v[37:38]
	v_add_f64 v[17:18], v[17:18], s[16:17]
	;; [unrolled: 1-line block ×4, first 2 shown]
	v_fma_f64 v[48:49], v[27:28], s[14:15], s[12:13]
	s_mov_b32 s4, 0x623fde64
	s_mov_b32 s5, 0x3ec71dee
	;; [unrolled: 1-line block ×4, first 2 shown]
	v_add_f64 v[50:51], v[31:32], -v[50:51]
	v_fma_f64 v[15:16], v[10:11], v[17:18], -v[15:16]
	v_add_f64 v[52:53], v[31:32], v[35:36]
	v_add_f64 v[23:24], v[25:26], -v[23:24]
	v_fma_f64 v[48:49], v[27:28], v[48:49], s[4:5]
	s_mov_b32 s4, 0x7c89e6b0
	s_mov_b32 s5, 0x3efa0199
	v_add_f64 v[29:30], v[35:36], -v[29:30]
	v_add_f64 v[37:38], v[37:38], -v[50:51]
	v_add_f64 v[15:16], v[15:16], s[12:13]
	s_mov_b32 s12, 0xd536f53c
	s_mov_b32 s13, 0x3fba46da
	v_add_f64 v[25:26], v[52:53], -v[31:32]
	v_mul_f64 v[23:24], v[23:24], 0.5
	v_fma_f64 v[48:49], v[27:28], v[48:49], s[4:5]
	s_mov_b32 s4, 0x14761f6e
	s_mov_b32 s5, 0x3f2a01a0
	v_add_f64 v[21:22], v[21:22], -v[29:30]
	v_fma_f64 v[17:18], v[10:11], v[15:16], -v[17:18]
	v_add_f64 v[54:55], v[52:53], -v[25:26]
	v_div_scale_f64 v[64:65], null, v[6:7], v[6:7], v[23:24]
	v_fma_f64 v[48:49], v[27:28], v[48:49], s[4:5]
	s_mov_b32 s4, 0x1852b7b0
	s_mov_b32 s5, 0x3f56c16c
	v_add_f64 v[25:26], v[35:36], -v[25:26]
	v_add_f64 v[17:18], v[17:18], s[12:13]
	s_mov_b32 s12, 0x469192e
	s_mov_b32 s13, 0xbfc694d1
	v_add_f64 v[29:30], v[31:32], -v[54:55]
	v_rcp_f64_e32 v[35:36], v[64:65]
	v_fma_f64 v[31:32], v[27:28], v[48:49], s[4:5]
	s_mov_b32 s4, 0x11122322
	s_mov_b32 s5, 0x3f811111
	v_add_f64 v[48:49], v[37:38], v[21:22]
	v_fma_f64 v[15:16], v[10:11], v[17:18], -v[15:16]
	v_add_f64 v[25:26], v[25:26], v[29:30]
	v_fma_f64 v[29:30], v[27:28], v[31:32], s[4:5]
	v_fma_f64 v[31:32], -v[64:65], v[35:36], 1.0
	s_mov_b32 s4, 0x555502a1
	s_mov_b32 s5, 0x3fa55555
	v_add_f64 v[50:51], v[48:49], -v[37:38]
	v_add_f64 v[15:16], v[15:16], s[12:13]
	s_mov_b32 s12, 0x724a7ffa
	s_mov_b32 s13, 0x3fd02a63
	v_add_f64 v[25:26], v[48:49], v[25:26]
	v_fma_f64 v[29:30], v[27:28], v[29:30], s[4:5]
	v_fma_f64 v[31:32], v[35:36], v[31:32], v[35:36]
	s_mov_b32 s4, 0x55555511
	s_mov_b32 s5, 0x3fc55555
	v_add_f64 v[35:36], v[48:49], -v[50:51]
	v_add_f64 v[21:22], v[21:22], -v[50:51]
	v_div_scale_f64 v[50:51], vcc_lo, v[23:24], v[6:7], v[23:24]
	v_fma_f64 v[10:11], v[10:11], v[15:16], -v[17:18]
	v_add_f64 v[48:49], v[52:53], v[25:26]
	v_fma_f64 v[29:30], v[27:28], v[29:30], s[4:5]
	v_fma_f64 v[15:16], -v[64:65], v[31:32], 1.0
	s_mov_b32 s4, 11
	s_mov_b32 s5, 0x3fe00000
	v_add_f64 v[35:36], v[37:38], -v[35:36]
	v_add_f64 v[10:11], v[10:11], s[12:13]
	v_add_f64 v[37:38], v[48:49], -v[52:53]
	v_fma_f64 v[29:30], v[27:28], v[29:30], s[4:5]
	v_fma_f64 v[15:16], v[31:32], v[15:16], v[31:32]
	v_cvt_i32_f64_e32 v31, v[33:34]
	v_cmp_neq_f64_e64 s4, 0, v[19:20]
	v_add_f64 v[21:22], v[21:22], v[35:36]
	v_add_f64 v[10:11], v[10:11], -v[17:18]
	v_add_f64 v[25:26], v[25:26], -v[37:38]
	v_fma_f64 v[29:30], v[27:28], v[29:30], 1.0
	v_mul_f64 v[17:18], v[50:51], v[15:16]
	v_mul_f64 v[10:11], v[10:11], 0.5
	v_add_f64 v[21:22], v[21:22], v[25:26]
	v_fma_f64 v[25:26], v[27:28], v[29:30], 1.0
	v_fma_f64 v[27:28], -v[64:65], v[17:18], v[50:51]
	v_mul_f64 v[10:11], v[6:7], v[10:11]
	v_add_f64 v[21:22], v[48:49], v[21:22]
	v_ldexp_f64 v[25:26], v[25:26], v31
	v_div_fmas_f64 v[15:16], v[27:28], v[15:16], v[17:18]
	v_cmp_neq_f64_e32 vcc_lo, 0x7ff00000, v[19:20]
	v_mul_f64 v[10:11], v[25:26], v[10:11]
	v_div_fixup_f64 v[6:7], v[15:16], v[6:7], v[23:24]
	v_cndmask_b32_e32 v17, 0x7ff00000, v22, vcc_lo
	s_and_b32 vcc_lo, s4, vcc_lo
	v_cndmask_b32_e32 v15, 0, v21, vcc_lo
	v_cndmask_b32_e64 v16, 0xfff00000, v17, s4
	v_fma_f64 v[10:11], v[15:16], v[10:11], v[6:7]
.LBB1_20:
	s_andn2_saveexec_b32 s5, s10
	s_cbranch_execz .LBB1_22
; %bb.21:
	v_div_scale_f64 v[10:11], null, v[6:7], v[6:7], 0x40200000
	v_div_scale_f64 v[19:20], vcc_lo, 0x40200000, v[6:7], 0x40200000
	s_mov_b32 s10, 0x838f5ed3
	s_mov_b32 s11, 0x3c74af1a
	;; [unrolled: 1-line block ×4, first 2 shown]
	v_cmp_nlt_f64_e64 s4, 0x4090cc00, v[6:7]
	v_rcp_f64_e32 v[15:16], v[10:11]
	v_fma_f64 v[17:18], -v[10:11], v[15:16], 1.0
	v_fma_f64 v[15:16], v[15:16], v[17:18], v[15:16]
	v_fma_f64 v[17:18], -v[10:11], v[15:16], 1.0
	v_fma_f64 v[15:16], v[15:16], v[17:18], v[15:16]
	v_mul_f64 v[17:18], v[19:20], v[15:16]
	v_fma_f64 v[10:11], -v[10:11], v[17:18], v[19:20]
	v_div_fmas_f64 v[10:11], v[10:11], v[15:16], v[17:18]
	v_cmp_gt_f64_e32 vcc_lo, 0x10000000, v[6:7]
	v_div_fixup_f64 v[10:11], v[10:11], v[6:7], 0x40200000
	v_cndmask_b32_e64 v25, 0, 0x100, vcc_lo
	v_ldexp_f64 v[25:26], v[6:7], v25
	v_add_f64 v[10:11], v[10:11], -2.0
	v_rsq_f64_e32 v[27:28], v[25:26]
	v_fma_f64 v[15:16], v[10:11], s[12:13], s[10:11]
	s_mov_b32 s13, 0x3c5a8c5d
	s_mov_b32 s10, 0x17771d52
	;; [unrolled: 1-line block ×3, first 2 shown]
	v_mul_f64 v[29:30], v[25:26], v[27:28]
	v_mul_f64 v[27:28], v[27:28], 0.5
	v_fma_f64 v[17:18], v[10:11], v[15:16], s[12:13]
	s_mov_b32 s12, 0x6a5dcb37
	s_mov_b32 s13, 0x3e5ade15
	v_fma_f64 v[31:32], -v[27:28], v[29:30], 0.5
	v_add_f64 v[17:18], v[17:18], s[10:11]
	s_mov_b32 s10, 0x44ee2c0b
	s_mov_b32 s11, 0x3caa7d5e
	v_fma_f64 v[29:30], v[29:30], v[31:32], v[29:30]
	v_fma_f64 v[27:28], v[27:28], v[31:32], v[27:28]
	v_fma_f64 v[15:16], v[10:11], v[17:18], -v[15:16]
	v_fma_f64 v[31:32], -v[29:30], v[29:30], v[25:26]
	v_add_f64 v[15:16], v[15:16], s[10:11]
	s_mov_b32 s10, 0xd8758ef2
	s_mov_b32 s11, 0xbcc5d2a3
	v_fma_f64 v[17:18], v[10:11], v[15:16], -v[17:18]
	v_add_f64 v[17:18], v[17:18], s[10:11]
	s_mov_b32 s10, 0xefee81bd
	s_mov_b32 s11, 0x3ce25ced
	v_fma_f64 v[15:16], v[10:11], v[17:18], -v[15:16]
	;; [unrolled: 4-line block ×14, first 2 shown]
	v_add_f64 v[15:16], v[15:16], s[10:11]
	s_mov_b32 s10, 0x652b82fe
	s_mov_b32 s11, 0xbff71547
	v_mul_f64 v[19:20], v[6:7], s[10:11]
	s_mov_b32 s10, 0x8fada5c6
	s_mov_b32 s11, 0xbe978052
	v_fma_f64 v[17:18], v[10:11], v[15:16], -v[17:18]
	v_rndne_f64_e32 v[19:20], v[19:20]
	v_add_f64 v[17:18], v[17:18], s[10:11]
	s_mov_b32 s10, 0xfefa39ef
	s_mov_b32 s11, 0xbfe62e42
	v_fma_f64 v[21:22], v[19:20], s[10:11], -v[6:7]
	s_mov_b32 s10, 0x3b39803f
	s_mov_b32 s11, 0xbc7abc9e
	v_fma_f64 v[15:16], v[10:11], v[17:18], -v[15:16]
	v_fma_f64 v[21:22], v[19:20], s[10:11], v[21:22]
	s_mov_b32 s10, 0x1752d1b6
	s_mov_b32 s11, 0x3ec42fe3
	v_add_f64 v[15:16], v[15:16], s[10:11]
	s_mov_b32 s10, 0xfca7ab0c
	s_mov_b32 s11, 0x3e928af3
	v_fma_f64 v[23:24], v[21:22], s[12:13], s[10:11]
	s_mov_b32 s10, 0x623fde64
	s_mov_b32 s11, 0x3ec71dee
	v_fma_f64 v[17:18], v[10:11], v[15:16], -v[17:18]
	v_fma_f64 v[23:24], v[21:22], v[23:24], s[10:11]
	s_mov_b32 s10, 0x1dcdb2e5
	s_mov_b32 s11, 0xbef44d71
	v_add_f64 v[17:18], v[17:18], s[10:11]
	s_mov_b32 s10, 0x7c89e6b0
	s_mov_b32 s11, 0x3efa0199
	v_fma_f64 v[23:24], v[21:22], v[23:24], s[10:11]
	;; [unrolled: 10-line block ×5, first 2 shown]
	s_mov_b32 s10, 0xaa062c8a
	s_mov_b32 s11, 0x4005c3d7
	v_fma_f64 v[10:11], v[10:11], v[15:16], -v[17:18]
	v_fma_f64 v[15:16], v[31:32], v[27:28], v[29:30]
	v_cvt_i32_f64_e32 v31, v[19:20]
	v_fma_f64 v[23:24], v[21:22], v[23:24], 1.0
	v_add_f64 v[10:11], v[10:11], s[10:11]
	v_fma_f64 v[29:30], -v[15:16], v[15:16], v[25:26]
	v_fma_f64 v[19:20], v[21:22], v[23:24], 1.0
	v_add_f64 v[10:11], v[10:11], -v[17:18]
	v_fma_f64 v[15:16], v[29:30], v[27:28], v[15:16]
	v_ldexp_f64 v[17:18], v[19:20], v31
	v_mul_f64 v[6:7], v[10:11], 0.5
	v_cndmask_b32_e64 v10, 0, 0xffffff80, vcc_lo
	v_cmp_class_f64_e64 vcc_lo, v[25:26], 0x260
	v_ldexp_f64 v[10:11], v[15:16], v10
	v_cndmask_b32_e64 v16, 0, v18, s4
	v_cndmask_b32_e64 v15, 0, v17, s4
	v_mul_f64 v[6:7], v[15:16], v[6:7]
	v_cndmask_b32_e32 v11, v11, v26, vcc_lo
	v_cndmask_b32_e32 v10, v10, v25, vcc_lo
	v_div_scale_f64 v[15:16], null, v[10:11], v[10:11], v[6:7]
	v_rcp_f64_e32 v[17:18], v[15:16]
	v_fma_f64 v[19:20], -v[15:16], v[17:18], 1.0
	v_fma_f64 v[17:18], v[17:18], v[19:20], v[17:18]
	v_fma_f64 v[19:20], -v[15:16], v[17:18], 1.0
	v_fma_f64 v[17:18], v[17:18], v[19:20], v[17:18]
	v_div_scale_f64 v[19:20], vcc_lo, v[6:7], v[10:11], v[6:7]
	v_mul_f64 v[21:22], v[19:20], v[17:18]
	v_fma_f64 v[15:16], -v[15:16], v[21:22], v[19:20]
	v_div_fmas_f64 v[15:16], v[15:16], v[17:18], v[21:22]
	v_div_fixup_f64 v[10:11], v[15:16], v[10:11], v[6:7]
.LBB1_22:
	s_or_b32 exec_lo, exec_lo, s5
.LBB1_23:
	s_or_b32 exec_lo, exec_lo, s9
.LBB1_24:
	s_or_b32 exec_lo, exec_lo, s8
	s_mov_b32 s8, exec_lo
	v_cmpx_neq_f64_e32 0, v[8:9]
	s_cbranch_execz .LBB1_32
; %bb.25:
	v_mov_b32_e32 v12, 0
	v_mov_b32_e32 v13, 0x7ff80000
	s_mov_b32 s9, exec_lo
	v_cmpx_ngt_f64_e32 0, v[8:9]
	s_cbranch_execz .LBB1_31
; %bb.26:
	s_mov_b32 s4, exec_lo
	v_cmpx_ge_f64_e32 2.0, v[8:9]
	s_xor_b32 s10, exec_lo, s4
	s_cbranch_execz .LBB1_28
; %bb.27:
	v_fma_f64 v[6:7], v[8:9], 0.5, -2.0
	s_mov_b32 s4, 0xc38a0576
	s_mov_b32 s5, 0xbc7857d0
	;; [unrolled: 1-line block ×4, first 2 shown]
	v_mul_f64 v[17:18], v[8:9], 0.5
	v_fma_f64 v[33:34], v[8:9], v[8:9], -2.0
	s_mov_b32 s15, 0xbc603228
	s_mov_b32 s14, 0x3d3cda56
	;; [unrolled: 1-line block ×4, first 2 shown]
	v_fma_f64 v[12:13], v[6:7], s[12:13], s[4:5]
	s_mov_b32 s13, 0xbc499f2a
	s_mov_b32 s4, 0xe593bfac
	;; [unrolled: 1-line block ×3, first 2 shown]
	v_frexp_mant_f64_e32 v[19:20], v[17:18]
	v_frexp_exp_i32_f64_e32 v37, v[17:18]
	v_fma_f64 v[15:16], v[6:7], v[12:13], s[12:13]
	s_mov_b32 s12, 0x97eb07de
	s_mov_b32 s13, 0xbdd25103
	v_add_f64 v[15:16], v[15:16], s[4:5]
	s_mov_b32 s4, 0x7e0d1573
	s_mov_b32 s5, 0xbcd3eaaa
	v_fma_f64 v[12:13], v[6:7], v[15:16], -v[12:13]
	v_add_f64 v[12:13], v[12:13], s[4:5]
	s_mov_b32 s4, 0x615290c
	s_mov_b32 s5, 0x3d011d7f
	v_fma_f64 v[15:16], v[6:7], v[12:13], -v[15:16]
	;; [unrolled: 4-line block ×6, first 2 shown]
	v_add_f64 v[15:16], v[15:16], s[4:5]
	s_mov_b32 s5, 0x3fe55555
	s_mov_b32 s4, 0x55555555
	v_cmp_gt_f64_e32 vcc_lo, s[4:5], v[19:20]
	s_mov_b32 s4, 0x55555780
	v_fma_f64 v[12:13], v[6:7], v[15:16], -v[12:13]
	v_cndmask_b32_e64 v21, 0, 1, vcc_lo
	v_ldexp_f64 v[19:20], v[19:20], v21
	v_add_f64 v[12:13], v[12:13], s[12:13]
	s_mov_b32 s12, 0xb43fdf6c
	s_mov_b32 s13, 0x3df8ea34
	v_add_f64 v[21:22], v[19:20], 1.0
	v_add_f64 v[27:28], v[19:20], -1.0
	v_fma_f64 v[15:16], v[6:7], v[12:13], -v[15:16]
	v_rcp_f64_e32 v[23:24], v[21:22]
	v_add_f64 v[29:30], v[21:22], -1.0
	v_add_f64 v[15:16], v[15:16], s[12:13]
	s_mov_b32 s12, 0x28ea67e6
	s_mov_b32 s13, 0xbe20361b
	v_add_f64 v[19:20], v[19:20], -v[29:30]
	v_fma_f64 v[25:26], -v[21:22], v[23:24], 1.0
	v_fma_f64 v[12:13], v[6:7], v[15:16], -v[12:13]
	v_fma_f64 v[23:24], v[25:26], v[23:24], v[23:24]
	v_add_f64 v[12:13], v[12:13], s[12:13]
	s_mov_b32 s12, 0x2395010
	s_mov_b32 s13, 0x3e44258e
	v_fma_f64 v[25:26], -v[21:22], v[23:24], 1.0
	v_fma_f64 v[15:16], v[6:7], v[12:13], -v[15:16]
	v_fma_f64 v[23:24], v[25:26], v[23:24], v[23:24]
	v_add_f64 v[15:16], v[15:16], s[12:13]
	s_mov_b32 s12, 0x24b8c3e8
	s_mov_b32 s13, 0xbe67dd3e
	v_mul_f64 v[25:26], v[27:28], v[23:24]
	v_fma_f64 v[12:13], v[6:7], v[15:16], -v[12:13]
	v_mul_f64 v[31:32], v[21:22], v[25:26]
	v_add_f64 v[12:13], v[12:13], s[12:13]
	s_mov_b32 s12, 0xb347d108
	s_mov_b32 s13, 0x3e8ae344
	v_fma_f64 v[21:22], v[25:26], v[21:22], -v[31:32]
	v_fma_f64 v[15:16], v[6:7], v[12:13], -v[15:16]
	v_fma_f64 v[19:20], v[25:26], v[19:20], v[21:22]
	v_add_f64 v[15:16], v[15:16], s[12:13]
	s_mov_b32 s12, 0x7a0399e0
	s_mov_b32 s13, 0xbce5dd51
	v_fma_f64 v[35:36], v[33:34], s[14:15], s[12:13]
	s_mov_b32 s15, 0x3c603228
	s_mov_b32 s12, 0xddd0e045
	;; [unrolled: 1-line block ×3, first 2 shown]
	v_add_f64 v[21:22], v[31:32], v[19:20]
	v_fma_f64 v[12:13], v[6:7], v[15:16], -v[12:13]
	v_add_f64 v[29:30], v[27:28], -v[21:22]
	v_add_f64 v[31:32], v[21:22], -v[31:32]
	v_add_f64 v[12:13], v[12:13], s[16:17]
	s_mov_b32 s16, 0xd3d694fe
	s_mov_b32 s17, 0xbf2533ca
	v_add_f64 v[27:28], v[27:28], -v[29:30]
	v_add_f64 v[19:20], v[31:32], -v[19:20]
	v_fma_f64 v[15:16], v[6:7], v[12:13], -v[15:16]
	v_add_f64 v[21:22], v[27:28], -v[21:22]
	v_fma_f64 v[27:28], v[33:34], v[35:36], s[14:15]
	s_mov_b32 s14, 0xd511afc5
	s_mov_b32 s15, 0x3ecd1c4e
	v_add_f64 v[15:16], v[15:16], s[14:15]
	s_mov_b32 s14, 0xb8debbcf
	s_mov_b32 s15, 0xbeebd5f9
	v_add_f64 v[19:20], v[19:20], v[21:22]
	v_add_f64 v[21:22], v[27:28], s[12:13]
	s_mov_b32 s12, 0xb84626ca
	s_mov_b32 s13, 0xbde3663b
	v_fma_f64 v[12:13], v[6:7], v[15:16], -v[12:13]
	v_add_f64 v[19:20], v[29:30], v[19:20]
	v_fma_f64 v[27:28], v[33:34], v[21:22], -v[35:36]
	v_add_f64 v[12:13], v[12:13], s[14:15]
	s_mov_b32 s14, 0x42c70d0b
	s_mov_b32 s15, 0x3f0911b5
	v_mul_f64 v[19:20], v[23:24], v[19:20]
	v_add_f64 v[23:24], v[27:28], s[12:13]
	s_mov_b32 s12, 0x145c31d0
	s_mov_b32 s13, 0xbe57c41d
	v_fma_f64 v[15:16], v[6:7], v[12:13], -v[15:16]
	v_add_f64 v[27:28], v[25:26], v[19:20]
	v_fma_f64 v[21:22], v[33:34], v[23:24], -v[21:22]
	v_add_f64 v[15:16], v[15:16], s[14:15]
	s_mov_b32 s14, 0xbf559e2b
	s_mov_b32 s15, 0x3fc3ab76
	v_mul_f64 v[29:30], v[27:28], v[27:28]
	v_add_f64 v[21:22], v[21:22], s[12:13]
	s_mov_b32 s12, 0x6b47b09a
	s_mov_b32 s13, 0x3fc38538
	v_add_f64 v[25:26], v[27:28], -v[25:26]
	v_fma_f64 v[12:13], v[6:7], v[15:16], -v[12:13]
	v_fma_f64 v[31:32], v[29:30], s[14:15], s[12:13]
	v_fma_f64 v[23:24], v[33:34], v[21:22], -v[23:24]
	s_mov_b32 s12, 0x2c832e3a
	s_mov_b32 s13, 0xbec469b3
	;; [unrolled: 1-line block ×4, first 2 shown]
	v_mul_f64 v[35:36], v[27:28], v[29:30]
	v_add_f64 v[19:20], v[19:20], -v[25:26]
	v_add_f64 v[12:13], v[12:13], s[16:17]
	s_mov_b32 s16, 0xb6c6df7d
	s_mov_b32 s17, 0x3f40c95d
	v_fma_f64 v[31:32], v[29:30], v[31:32], s[14:15]
	v_add_f64 v[23:24], v[23:24], s[12:13]
	s_mov_b32 s12, 0x16291751
	s_mov_b32 s13, 0x3fcc71c0
	;; [unrolled: 1-line block ×4, first 2 shown]
	v_ldexp_f64 v[19:20], v[19:20], 1
	v_fma_f64 v[15:16], v[6:7], v[12:13], -v[15:16]
	v_fma_f64 v[31:32], v[29:30], v[31:32], s[12:13]
	v_fma_f64 v[21:22], v[33:34], v[23:24], -v[21:22]
	s_mov_b32 s12, 0xe5a3bd02
	s_mov_b32 s13, 0xbf26ade2
	v_add_f64 v[15:16], v[15:16], s[16:17]
	s_mov_b32 s16, 0xe7bb2349
	s_mov_b32 s17, 0x3f9951e3
	v_fma_f64 v[31:32], v[29:30], v[31:32], s[14:15]
	v_add_f64 v[21:22], v[21:22], s[12:13]
	s_mov_b32 s12, 0x998ef7b6
	s_mov_b32 s13, 0x3fd99999
	;; [unrolled: 1-line block ×4, first 2 shown]
	v_fma_f64 v[12:13], v[6:7], v[15:16], -v[12:13]
	v_fma_f64 v[31:32], v[29:30], v[31:32], s[12:13]
	v_fma_f64 v[23:24], v[33:34], v[21:22], -v[23:24]
	s_mov_b32 s12, 0x9d7d4192
	s_mov_b32 s13, 0xbf7c9293
	v_add_f64 v[12:13], v[12:13], s[14:15]
	s_mov_b32 s14, 0x49d3a1b4
	s_mov_b32 s15, 0x3f710653
	v_fma_f64 v[29:30], v[29:30], v[31:32], s[4:5]
	v_add_f64 v[23:24], v[23:24], s[12:13]
	v_ldexp_f64 v[31:32], v[27:28], 1
	s_mov_b32 s4, 0x43c1db74
	s_mov_b32 s5, 0xbfbf6372
	;; [unrolled: 1-line block ×4, first 2 shown]
	v_fma_f64 v[15:16], v[6:7], v[12:13], -v[15:16]
	v_mul_f64 v[29:30], v[35:36], v[29:30]
	v_fma_f64 v[21:22], v[33:34], v[23:24], -v[21:22]
	v_subrev_co_ci_u32_e64 v35, null, 0, v37, vcc_lo
	v_mul_f64 v[37:38], v[8:9], s[12:13]
	s_mov_b32 s12, 0x757b0dd4
	s_mov_b32 s13, 0xbfd69a1b
	v_cvt_f64_i32_e32 v[35:36], v35
	v_add_f64 v[15:16], v[15:16], s[14:15]
	s_mov_b32 s14, 0x7913a26a
	s_mov_b32 s15, 0xbf85a29f
	v_add_f64 v[27:28], v[31:32], v[29:30]
	v_add_f64 v[21:22], v[21:22], s[4:5]
	s_mov_b32 s5, 0x3fe62e42
	s_mov_b32 s4, 0xfefa39ef
	v_mul_f64 v[48:49], v[35:36], s[4:5]
	v_fma_f64 v[12:13], v[6:7], v[15:16], -v[12:13]
	v_add_f64 v[25:26], v[27:28], -v[31:32]
	v_fma_f64 v[23:24], v[33:34], v[21:22], -v[23:24]
	v_rndne_f64_e32 v[31:32], v[37:38]
	v_fma_f64 v[37:38], v[35:36], s[4:5], -v[48:49]
	s_mov_b32 s5, 0xbfe62e42
	v_add_f64 v[12:13], v[12:13], s[14:15]
	s_mov_b32 s14, 0x6a5dcb37
	s_mov_b32 s15, 0x3e5ade15
	v_add_f64 v[25:26], v[29:30], -v[25:26]
	v_add_f64 v[23:24], v[23:24], s[12:13]
	v_fma_f64 v[29:30], v[31:32], s[4:5], v[8:9]
	s_mov_b32 s5, 0x3c7abc9e
	s_mov_b32 s4, 0x3b39803f
	;; [unrolled: 1-line block ×4, first 2 shown]
	v_fma_f64 v[35:36], v[35:36], s[4:5], v[37:38]
	s_mov_b32 s5, 0xbc7abc9e
	v_fma_f64 v[15:16], v[6:7], v[12:13], -v[15:16]
	v_add_f64 v[19:20], v[19:20], v[25:26]
	v_fma_f64 v[23:24], v[33:34], v[23:24], -v[21:22]
	v_fma_f64 v[25:26], v[31:32], s[4:5], v[29:30]
	s_mov_b32 s4, 0x361008ca
	s_mov_b32 s5, 0x3ff867a1
	v_add_f64 v[29:30], v[48:49], v[35:36]
	v_add_f64 v[15:16], v[15:16], s[16:17]
	;; [unrolled: 1-line block ×4, first 2 shown]
	v_fma_f64 v[37:38], v[25:26], s[14:15], s[12:13]
	s_mov_b32 s4, 0x623fde64
	s_mov_b32 s5, 0x3ec71dee
	;; [unrolled: 1-line block ×4, first 2 shown]
	v_add_f64 v[48:49], v[29:30], -v[48:49]
	v_fma_f64 v[12:13], v[6:7], v[15:16], -v[12:13]
	v_add_f64 v[50:51], v[29:30], v[33:34]
	v_add_f64 v[21:22], v[23:24], -v[21:22]
	v_fma_f64 v[37:38], v[25:26], v[37:38], s[4:5]
	s_mov_b32 s4, 0x7c89e6b0
	s_mov_b32 s5, 0x3efa0199
	v_add_f64 v[27:28], v[33:34], -v[27:28]
	v_add_f64 v[35:36], v[35:36], -v[48:49]
	v_add_f64 v[12:13], v[12:13], s[12:13]
	s_mov_b32 s12, 0xd536f53c
	s_mov_b32 s13, 0x3fba46da
	v_add_f64 v[23:24], v[50:51], -v[29:30]
	v_mul_f64 v[21:22], v[21:22], 0.5
	v_fma_f64 v[37:38], v[25:26], v[37:38], s[4:5]
	s_mov_b32 s4, 0x14761f6e
	s_mov_b32 s5, 0x3f2a01a0
	v_add_f64 v[19:20], v[19:20], -v[27:28]
	v_fma_f64 v[15:16], v[6:7], v[12:13], -v[15:16]
	v_add_f64 v[52:53], v[50:51], -v[23:24]
	v_div_scale_f64 v[54:55], null, v[8:9], v[8:9], v[21:22]
	v_fma_f64 v[37:38], v[25:26], v[37:38], s[4:5]
	s_mov_b32 s4, 0x1852b7b0
	s_mov_b32 s5, 0x3f56c16c
	v_add_f64 v[23:24], v[33:34], -v[23:24]
	v_add_f64 v[15:16], v[15:16], s[12:13]
	s_mov_b32 s12, 0x469192e
	s_mov_b32 s13, 0xbfc694d1
	v_add_f64 v[27:28], v[29:30], -v[52:53]
	v_rcp_f64_e32 v[33:34], v[54:55]
	v_fma_f64 v[29:30], v[25:26], v[37:38], s[4:5]
	s_mov_b32 s4, 0x11122322
	s_mov_b32 s5, 0x3f811111
	v_add_f64 v[37:38], v[35:36], v[19:20]
	v_fma_f64 v[12:13], v[6:7], v[15:16], -v[12:13]
	v_add_f64 v[23:24], v[23:24], v[27:28]
	v_fma_f64 v[27:28], v[25:26], v[29:30], s[4:5]
	v_fma_f64 v[29:30], -v[54:55], v[33:34], 1.0
	s_mov_b32 s4, 0x555502a1
	s_mov_b32 s5, 0x3fa55555
	v_add_f64 v[48:49], v[37:38], -v[35:36]
	v_add_f64 v[12:13], v[12:13], s[12:13]
	s_mov_b32 s12, 0x724a7ffa
	s_mov_b32 s13, 0x3fd02a63
	v_add_f64 v[23:24], v[37:38], v[23:24]
	v_fma_f64 v[27:28], v[25:26], v[27:28], s[4:5]
	v_fma_f64 v[29:30], v[33:34], v[29:30], v[33:34]
	s_mov_b32 s4, 0x55555511
	s_mov_b32 s5, 0x3fc55555
	v_add_f64 v[33:34], v[37:38], -v[48:49]
	v_add_f64 v[19:20], v[19:20], -v[48:49]
	v_div_scale_f64 v[48:49], vcc_lo, v[21:22], v[8:9], v[21:22]
	v_fma_f64 v[6:7], v[6:7], v[12:13], -v[15:16]
	v_add_f64 v[37:38], v[50:51], v[23:24]
	v_fma_f64 v[27:28], v[25:26], v[27:28], s[4:5]
	v_fma_f64 v[12:13], -v[54:55], v[29:30], 1.0
	s_mov_b32 s4, 11
	s_mov_b32 s5, 0x3fe00000
	v_add_f64 v[33:34], v[35:36], -v[33:34]
	v_add_f64 v[6:7], v[6:7], s[12:13]
	v_add_f64 v[35:36], v[37:38], -v[50:51]
	v_fma_f64 v[27:28], v[25:26], v[27:28], s[4:5]
	v_fma_f64 v[12:13], v[29:30], v[12:13], v[29:30]
	v_cvt_i32_f64_e32 v29, v[31:32]
	v_cmp_neq_f64_e64 s4, 0, v[17:18]
	v_add_f64 v[19:20], v[19:20], v[33:34]
	v_add_f64 v[6:7], v[6:7], -v[15:16]
	v_add_f64 v[23:24], v[23:24], -v[35:36]
	v_fma_f64 v[27:28], v[25:26], v[27:28], 1.0
	v_mul_f64 v[15:16], v[48:49], v[12:13]
	v_mul_f64 v[6:7], v[6:7], 0.5
	v_add_f64 v[19:20], v[19:20], v[23:24]
	v_fma_f64 v[23:24], v[25:26], v[27:28], 1.0
	v_fma_f64 v[25:26], -v[54:55], v[15:16], v[48:49]
	v_mul_f64 v[6:7], v[8:9], v[6:7]
	v_add_f64 v[19:20], v[37:38], v[19:20]
	v_ldexp_f64 v[23:24], v[23:24], v29
	v_div_fmas_f64 v[12:13], v[25:26], v[12:13], v[15:16]
	v_cmp_neq_f64_e32 vcc_lo, 0x7ff00000, v[17:18]
	v_mul_f64 v[6:7], v[23:24], v[6:7]
	v_div_fixup_f64 v[8:9], v[12:13], v[8:9], v[21:22]
	v_cndmask_b32_e32 v15, 0x7ff00000, v20, vcc_lo
	s_and_b32 vcc_lo, s4, vcc_lo
	v_cndmask_b32_e32 v12, 0, v19, vcc_lo
	v_cndmask_b32_e64 v13, 0xfff00000, v15, s4
	v_fma_f64 v[12:13], v[12:13], v[6:7], v[8:9]
                                        ; implicit-def: $vgpr8_vgpr9
.LBB1_28:
	s_andn2_saveexec_b32 s5, s10
	s_cbranch_execz .LBB1_30
; %bb.29:
	v_div_scale_f64 v[6:7], null, v[8:9], v[8:9], 0x40200000
	v_div_scale_f64 v[17:18], vcc_lo, 0x40200000, v[8:9], 0x40200000
	s_mov_b32 s10, 0x838f5ed3
	s_mov_b32 s11, 0x3c74af1a
	;; [unrolled: 1-line block ×4, first 2 shown]
	v_cmp_nlt_f64_e64 s4, 0x4090cc00, v[8:9]
	v_rcp_f64_e32 v[12:13], v[6:7]
	v_fma_f64 v[15:16], -v[6:7], v[12:13], 1.0
	v_fma_f64 v[12:13], v[12:13], v[15:16], v[12:13]
	v_fma_f64 v[15:16], -v[6:7], v[12:13], 1.0
	v_fma_f64 v[12:13], v[12:13], v[15:16], v[12:13]
	v_mul_f64 v[15:16], v[17:18], v[12:13]
	v_fma_f64 v[6:7], -v[6:7], v[15:16], v[17:18]
	v_div_fmas_f64 v[6:7], v[6:7], v[12:13], v[15:16]
	v_cmp_gt_f64_e32 vcc_lo, 0x10000000, v[8:9]
	v_div_fixup_f64 v[6:7], v[6:7], v[8:9], 0x40200000
	v_cndmask_b32_e64 v23, 0, 0x100, vcc_lo
	v_ldexp_f64 v[23:24], v[8:9], v23
	v_add_f64 v[6:7], v[6:7], -2.0
	v_rsq_f64_e32 v[25:26], v[23:24]
	v_fma_f64 v[12:13], v[6:7], s[12:13], s[10:11]
	s_mov_b32 s13, 0x3c5a8c5d
	s_mov_b32 s10, 0x17771d52
	;; [unrolled: 1-line block ×3, first 2 shown]
	v_mul_f64 v[27:28], v[23:24], v[25:26]
	v_mul_f64 v[25:26], v[25:26], 0.5
	v_fma_f64 v[15:16], v[6:7], v[12:13], s[12:13]
	s_mov_b32 s12, 0x6a5dcb37
	s_mov_b32 s13, 0x3e5ade15
	v_fma_f64 v[29:30], -v[25:26], v[27:28], 0.5
	v_add_f64 v[15:16], v[15:16], s[10:11]
	s_mov_b32 s10, 0x44ee2c0b
	s_mov_b32 s11, 0x3caa7d5e
	v_fma_f64 v[27:28], v[27:28], v[29:30], v[27:28]
	v_fma_f64 v[25:26], v[25:26], v[29:30], v[25:26]
	v_fma_f64 v[12:13], v[6:7], v[15:16], -v[12:13]
	v_fma_f64 v[29:30], -v[27:28], v[27:28], v[23:24]
	v_add_f64 v[12:13], v[12:13], s[10:11]
	s_mov_b32 s10, 0xd8758ef2
	s_mov_b32 s11, 0xbcc5d2a3
	v_fma_f64 v[15:16], v[6:7], v[12:13], -v[15:16]
	v_add_f64 v[15:16], v[15:16], s[10:11]
	s_mov_b32 s10, 0xefee81bd
	s_mov_b32 s11, 0x3ce25ced
	v_fma_f64 v[12:13], v[6:7], v[15:16], -v[12:13]
	;; [unrolled: 4-line block ×14, first 2 shown]
	v_add_f64 v[12:13], v[12:13], s[10:11]
	s_mov_b32 s10, 0x652b82fe
	s_mov_b32 s11, 0xbff71547
	v_mul_f64 v[17:18], v[8:9], s[10:11]
	s_mov_b32 s10, 0x8fada5c6
	s_mov_b32 s11, 0xbe978052
	v_fma_f64 v[15:16], v[6:7], v[12:13], -v[15:16]
	v_rndne_f64_e32 v[17:18], v[17:18]
	v_add_f64 v[15:16], v[15:16], s[10:11]
	s_mov_b32 s10, 0xfefa39ef
	s_mov_b32 s11, 0xbfe62e42
	v_fma_f64 v[19:20], v[17:18], s[10:11], -v[8:9]
	s_mov_b32 s10, 0x3b39803f
	s_mov_b32 s11, 0xbc7abc9e
	v_cndmask_b32_e64 v8, 0, 0xffffff80, vcc_lo
	v_cmp_class_f64_e64 vcc_lo, v[23:24], 0x260
	v_fma_f64 v[12:13], v[6:7], v[15:16], -v[12:13]
	v_fma_f64 v[19:20], v[17:18], s[10:11], v[19:20]
	s_mov_b32 s10, 0x1752d1b6
	s_mov_b32 s11, 0x3ec42fe3
	v_add_f64 v[12:13], v[12:13], s[10:11]
	s_mov_b32 s10, 0xfca7ab0c
	s_mov_b32 s11, 0x3e928af3
	v_fma_f64 v[21:22], v[19:20], s[12:13], s[10:11]
	s_mov_b32 s10, 0x623fde64
	s_mov_b32 s11, 0x3ec71dee
	v_fma_f64 v[15:16], v[6:7], v[12:13], -v[15:16]
	v_fma_f64 v[21:22], v[19:20], v[21:22], s[10:11]
	s_mov_b32 s10, 0x1dcdb2e5
	s_mov_b32 s11, 0xbef44d71
	v_add_f64 v[15:16], v[15:16], s[10:11]
	s_mov_b32 s10, 0x7c89e6b0
	s_mov_b32 s11, 0x3efa0199
	v_fma_f64 v[21:22], v[19:20], v[21:22], s[10:11]
	s_mov_b32 s10, 0x14761f6e
	s_mov_b32 s11, 0x3f2a01a0
	;; [unrolled: 10-line block ×5, first 2 shown]
	v_fma_f64 v[6:7], v[6:7], v[12:13], -v[15:16]
	v_fma_f64 v[12:13], v[29:30], v[25:26], v[27:28]
	v_cvt_i32_f64_e32 v29, v[17:18]
	v_fma_f64 v[21:22], v[19:20], v[21:22], 1.0
	v_add_f64 v[6:7], v[6:7], s[10:11]
	v_fma_f64 v[27:28], -v[12:13], v[12:13], v[23:24]
	v_fma_f64 v[17:18], v[19:20], v[21:22], 1.0
	v_add_f64 v[6:7], v[6:7], -v[15:16]
	v_fma_f64 v[12:13], v[27:28], v[25:26], v[12:13]
	v_ldexp_f64 v[15:16], v[17:18], v29
	v_mul_f64 v[6:7], v[6:7], 0.5
	v_ldexp_f64 v[8:9], v[12:13], v8
	v_cndmask_b32_e64 v13, 0, v16, s4
	v_cndmask_b32_e64 v12, 0, v15, s4
	v_mul_f64 v[6:7], v[12:13], v[6:7]
	v_cndmask_b32_e32 v9, v9, v24, vcc_lo
	v_cndmask_b32_e32 v8, v8, v23, vcc_lo
	v_div_scale_f64 v[12:13], null, v[8:9], v[8:9], v[6:7]
	v_rcp_f64_e32 v[15:16], v[12:13]
	v_fma_f64 v[17:18], -v[12:13], v[15:16], 1.0
	v_fma_f64 v[15:16], v[15:16], v[17:18], v[15:16]
	v_fma_f64 v[17:18], -v[12:13], v[15:16], 1.0
	v_fma_f64 v[15:16], v[15:16], v[17:18], v[15:16]
	v_div_scale_f64 v[17:18], vcc_lo, v[6:7], v[8:9], v[6:7]
	v_mul_f64 v[19:20], v[17:18], v[15:16]
	v_fma_f64 v[12:13], -v[12:13], v[19:20], v[17:18]
	v_div_fmas_f64 v[12:13], v[12:13], v[15:16], v[19:20]
	v_div_fixup_f64 v[12:13], v[12:13], v[8:9], v[6:7]
.LBB1_30:
	s_or_b32 exec_lo, exec_lo, s5
.LBB1_31:
	s_or_b32 exec_lo, exec_lo, s9
.LBB1_32:
	s_or_b32 exec_lo, exec_lo, s8
	v_add_co_u32 v0, vcc_lo, v0, s6
	v_add_co_ci_u32_e64 v1, null, s7, v1, vcc_lo
	v_add_co_u32 v0, vcc_lo, v0, v14
	v_add_co_ci_u32_e64 v1, null, 0, v1, vcc_lo
	flat_store_dwordx4 v[0:1], v[2:5]
	flat_store_dwordx4 v[0:1], v[10:13] offset:16
	s_waitcnt lgkmcnt(0)
	s_setpc_b64 s[30:31]
.Lfunc_end1:
	.size	_ZN2at6native25elementwise_kernel_helperILb0EZZZNS0_12_GLOBAL__N_130modified_bessel_k1_kernel_cudaERNS_18TensorIteratorBaseEENKUlvE_clEvENKUlvE_clEvEUldE_NS0_6memory8policies10vectorizedILi4ESt5arrayIPcLm2EELi4EEEEEvT0_T1_, .Lfunc_end1-_ZN2at6native25elementwise_kernel_helperILb0EZZZNS0_12_GLOBAL__N_130modified_bessel_k1_kernel_cudaERNS_18TensorIteratorBaseEENKUlvE_clEvENKUlvE_clEvEUldE_NS0_6memory8policies10vectorizedILi4ESt5arrayIPcLm2EELi4EEEEEvT0_T1_
                                        ; -- End function
	.set .L_ZN2at6native25elementwise_kernel_helperILb0EZZZNS0_12_GLOBAL__N_130modified_bessel_k1_kernel_cudaERNS_18TensorIteratorBaseEENKUlvE_clEvENKUlvE_clEvEUldE_NS0_6memory8policies10vectorizedILi4ESt5arrayIPcLm2EELi4EEEEEvT0_T1_.num_vgpr, 66
	.set .L_ZN2at6native25elementwise_kernel_helperILb0EZZZNS0_12_GLOBAL__N_130modified_bessel_k1_kernel_cudaERNS_18TensorIteratorBaseEENKUlvE_clEvENKUlvE_clEvEUldE_NS0_6memory8policies10vectorizedILi4ESt5arrayIPcLm2EELi4EEEEEvT0_T1_.num_agpr, 0
	.set .L_ZN2at6native25elementwise_kernel_helperILb0EZZZNS0_12_GLOBAL__N_130modified_bessel_k1_kernel_cudaERNS_18TensorIteratorBaseEENKUlvE_clEvENKUlvE_clEvEUldE_NS0_6memory8policies10vectorizedILi4ESt5arrayIPcLm2EELi4EEEEEvT0_T1_.numbered_sgpr, 32
	.set .L_ZN2at6native25elementwise_kernel_helperILb0EZZZNS0_12_GLOBAL__N_130modified_bessel_k1_kernel_cudaERNS_18TensorIteratorBaseEENKUlvE_clEvENKUlvE_clEvEUldE_NS0_6memory8policies10vectorizedILi4ESt5arrayIPcLm2EELi4EEEEEvT0_T1_.num_named_barrier, 0
	.set .L_ZN2at6native25elementwise_kernel_helperILb0EZZZNS0_12_GLOBAL__N_130modified_bessel_k1_kernel_cudaERNS_18TensorIteratorBaseEENKUlvE_clEvENKUlvE_clEvEUldE_NS0_6memory8policies10vectorizedILi4ESt5arrayIPcLm2EELi4EEEEEvT0_T1_.private_seg_size, 0
	.set .L_ZN2at6native25elementwise_kernel_helperILb0EZZZNS0_12_GLOBAL__N_130modified_bessel_k1_kernel_cudaERNS_18TensorIteratorBaseEENKUlvE_clEvENKUlvE_clEvEUldE_NS0_6memory8policies10vectorizedILi4ESt5arrayIPcLm2EELi4EEEEEvT0_T1_.uses_vcc, 1
	.set .L_ZN2at6native25elementwise_kernel_helperILb0EZZZNS0_12_GLOBAL__N_130modified_bessel_k1_kernel_cudaERNS_18TensorIteratorBaseEENKUlvE_clEvENKUlvE_clEvEUldE_NS0_6memory8policies10vectorizedILi4ESt5arrayIPcLm2EELi4EEEEEvT0_T1_.uses_flat_scratch, 1
	.set .L_ZN2at6native25elementwise_kernel_helperILb0EZZZNS0_12_GLOBAL__N_130modified_bessel_k1_kernel_cudaERNS_18TensorIteratorBaseEENKUlvE_clEvENKUlvE_clEvEUldE_NS0_6memory8policies10vectorizedILi4ESt5arrayIPcLm2EELi4EEEEEvT0_T1_.has_dyn_sized_stack, 0
	.set .L_ZN2at6native25elementwise_kernel_helperILb0EZZZNS0_12_GLOBAL__N_130modified_bessel_k1_kernel_cudaERNS_18TensorIteratorBaseEENKUlvE_clEvENKUlvE_clEvEUldE_NS0_6memory8policies10vectorizedILi4ESt5arrayIPcLm2EELi4EEEEEvT0_T1_.has_recursion, 0
	.set .L_ZN2at6native25elementwise_kernel_helperILb0EZZZNS0_12_GLOBAL__N_130modified_bessel_k1_kernel_cudaERNS_18TensorIteratorBaseEENKUlvE_clEvENKUlvE_clEvEUldE_NS0_6memory8policies10vectorizedILi4ESt5arrayIPcLm2EELi4EEEEEvT0_T1_.has_indirect_call, 0
	.section	.AMDGPU.csdata,"",@progbits
; Function info:
; codeLenInByte = 16464
; TotalNumSgprs: 34
; NumVgprs: 66
; ScratchSize: 0
; MemoryBound: 0
	.section	.text._ZN2at6native29vectorized_elementwise_kernelILi16EZZZNS0_12_GLOBAL__N_130modified_bessel_k1_kernel_cudaERNS_18TensorIteratorBaseEENKUlvE_clEvENKUlvE_clEvEUldE_St5arrayIPcLm2EEEEviT0_T1_,"axG",@progbits,_ZN2at6native29vectorized_elementwise_kernelILi16EZZZNS0_12_GLOBAL__N_130modified_bessel_k1_kernel_cudaERNS_18TensorIteratorBaseEENKUlvE_clEvENKUlvE_clEvEUldE_St5arrayIPcLm2EEEEviT0_T1_,comdat
	.globl	_ZN2at6native29vectorized_elementwise_kernelILi16EZZZNS0_12_GLOBAL__N_130modified_bessel_k1_kernel_cudaERNS_18TensorIteratorBaseEENKUlvE_clEvENKUlvE_clEvEUldE_St5arrayIPcLm2EEEEviT0_T1_ ; -- Begin function _ZN2at6native29vectorized_elementwise_kernelILi16EZZZNS0_12_GLOBAL__N_130modified_bessel_k1_kernel_cudaERNS_18TensorIteratorBaseEENKUlvE_clEvENKUlvE_clEvEUldE_St5arrayIPcLm2EEEEviT0_T1_
	.p2align	8
	.type	_ZN2at6native29vectorized_elementwise_kernelILi16EZZZNS0_12_GLOBAL__N_130modified_bessel_k1_kernel_cudaERNS_18TensorIteratorBaseEENKUlvE_clEvENKUlvE_clEvEUldE_St5arrayIPcLm2EEEEviT0_T1_,@function
_ZN2at6native29vectorized_elementwise_kernelILi16EZZZNS0_12_GLOBAL__N_130modified_bessel_k1_kernel_cudaERNS_18TensorIteratorBaseEENKUlvE_clEvENKUlvE_clEvEUldE_St5arrayIPcLm2EEEEviT0_T1_: ; @_ZN2at6native29vectorized_elementwise_kernelILi16EZZZNS0_12_GLOBAL__N_130modified_bessel_k1_kernel_cudaERNS_18TensorIteratorBaseEENKUlvE_clEvENKUlvE_clEvEUldE_St5arrayIPcLm2EEEEviT0_T1_
; %bb.0:
	s_mov_b32 s18, s6
	s_clause 0x1
	s_load_dword s6, s[4:5], 0x0
	s_load_dwordx4 s[20:23], s[4:5], 0x8
	s_add_u32 s0, s0, s7
	s_addc_u32 s1, s1, 0
	s_lshl_b32 s4, s18, 10
	v_mov_b32_e32 v40, v0
	s_mov_b32 s32, 0
	s_waitcnt lgkmcnt(0)
	s_sub_i32 s19, s6, s4
	s_mov_b32 s4, -1
	s_cmpk_gt_i32 s19, 0x3ff
	s_cbranch_scc1 .LBB2_3
; %bb.1:
	s_andn2_b32 vcc_lo, exec_lo, s4
	s_cbranch_vccz .LBB2_4
.LBB2_2:
	s_endpgm
.LBB2_3:
	v_mov_b32_e32 v31, v40
	v_mov_b32_e32 v0, s20
	;; [unrolled: 1-line block ×5, first 2 shown]
	s_getpc_b64 s[4:5]
	s_add_u32 s4, s4, _ZN2at6native25elementwise_kernel_helperILb0EZZZNS0_12_GLOBAL__N_130modified_bessel_k1_kernel_cudaERNS_18TensorIteratorBaseEENKUlvE_clEvENKUlvE_clEvEUldE_NS0_6memory8policies10vectorizedILi4ESt5arrayIPcLm2EELi4EEEEEvT0_T1_@rel32@lo+4
	s_addc_u32 s5, s5, _ZN2at6native25elementwise_kernel_helperILb0EZZZNS0_12_GLOBAL__N_130modified_bessel_k1_kernel_cudaERNS_18TensorIteratorBaseEENKUlvE_clEvENKUlvE_clEvEUldE_NS0_6memory8policies10vectorizedILi4ESt5arrayIPcLm2EELi4EEEEEvT0_T1_@rel32@hi+12
	s_mov_b32 s12, s18
	s_swappc_b64 s[30:31], s[4:5]
	s_cbranch_execnz .LBB2_2
.LBB2_4:
	v_mov_b32_e32 v31, v40
	v_mov_b32_e32 v0, s20
	v_mov_b32_e32 v1, s21
	v_mov_b32_e32 v2, s22
	v_mov_b32_e32 v3, s23
	v_mov_b32_e32 v4, s19
	s_getpc_b64 s[4:5]
	s_add_u32 s4, s4, _ZN2at6native25elementwise_kernel_helperILb0EZZZNS0_12_GLOBAL__N_130modified_bessel_k1_kernel_cudaERNS_18TensorIteratorBaseEENKUlvE_clEvENKUlvE_clEvEUldE_NS0_6memory8policies11unroll_baseILi256ESt5arrayIPcLm2EE23TrivialOffsetCalculatorILi1EjESF_NS8_15LoadWithoutCastENS8_16StoreWithoutCastELi4ELi1EEEEEvT0_T1_@rel32@lo+4
	s_addc_u32 s5, s5, _ZN2at6native25elementwise_kernel_helperILb0EZZZNS0_12_GLOBAL__N_130modified_bessel_k1_kernel_cudaERNS_18TensorIteratorBaseEENKUlvE_clEvENKUlvE_clEvEUldE_NS0_6memory8policies11unroll_baseILi256ESt5arrayIPcLm2EE23TrivialOffsetCalculatorILi1EjESF_NS8_15LoadWithoutCastENS8_16StoreWithoutCastELi4ELi1EEEEEvT0_T1_@rel32@hi+12
	s_mov_b32 s12, s18
	s_swappc_b64 s[30:31], s[4:5]
	s_endpgm
	.section	.rodata,"a",@progbits
	.p2align	6, 0x0
	.amdhsa_kernel _ZN2at6native29vectorized_elementwise_kernelILi16EZZZNS0_12_GLOBAL__N_130modified_bessel_k1_kernel_cudaERNS_18TensorIteratorBaseEENKUlvE_clEvENKUlvE_clEvEUldE_St5arrayIPcLm2EEEEviT0_T1_
		.amdhsa_group_segment_fixed_size 0
		.amdhsa_private_segment_fixed_size 0
		.amdhsa_kernarg_size 24
		.amdhsa_user_sgpr_count 6
		.amdhsa_user_sgpr_private_segment_buffer 1
		.amdhsa_user_sgpr_dispatch_ptr 0
		.amdhsa_user_sgpr_queue_ptr 0
		.amdhsa_user_sgpr_kernarg_segment_ptr 1
		.amdhsa_user_sgpr_dispatch_id 0
		.amdhsa_user_sgpr_flat_scratch_init 0
		.amdhsa_user_sgpr_private_segment_size 0
		.amdhsa_wavefront_size32 1
		.amdhsa_uses_dynamic_stack 0
		.amdhsa_system_sgpr_private_segment_wavefront_offset 0
		.amdhsa_system_sgpr_workgroup_id_x 1
		.amdhsa_system_sgpr_workgroup_id_y 0
		.amdhsa_system_sgpr_workgroup_id_z 0
		.amdhsa_system_sgpr_workgroup_info 0
		.amdhsa_system_vgpr_workitem_id 0
		.amdhsa_next_free_vgpr 70
		.amdhsa_next_free_sgpr 33
		.amdhsa_reserve_vcc 1
		.amdhsa_reserve_flat_scratch 1
		.amdhsa_float_round_mode_32 0
		.amdhsa_float_round_mode_16_64 0
		.amdhsa_float_denorm_mode_32 3
		.amdhsa_float_denorm_mode_16_64 3
		.amdhsa_dx10_clamp 1
		.amdhsa_ieee_mode 1
		.amdhsa_fp16_overflow 0
		.amdhsa_workgroup_processor_mode 1
		.amdhsa_memory_ordered 1
		.amdhsa_forward_progress 1
		.amdhsa_shared_vgpr_count 0
		.amdhsa_exception_fp_ieee_invalid_op 0
		.amdhsa_exception_fp_denorm_src 0
		.amdhsa_exception_fp_ieee_div_zero 0
		.amdhsa_exception_fp_ieee_overflow 0
		.amdhsa_exception_fp_ieee_underflow 0
		.amdhsa_exception_fp_ieee_inexact 0
		.amdhsa_exception_int_div_zero 0
	.end_amdhsa_kernel
	.section	.text._ZN2at6native29vectorized_elementwise_kernelILi16EZZZNS0_12_GLOBAL__N_130modified_bessel_k1_kernel_cudaERNS_18TensorIteratorBaseEENKUlvE_clEvENKUlvE_clEvEUldE_St5arrayIPcLm2EEEEviT0_T1_,"axG",@progbits,_ZN2at6native29vectorized_elementwise_kernelILi16EZZZNS0_12_GLOBAL__N_130modified_bessel_k1_kernel_cudaERNS_18TensorIteratorBaseEENKUlvE_clEvENKUlvE_clEvEUldE_St5arrayIPcLm2EEEEviT0_T1_,comdat
.Lfunc_end2:
	.size	_ZN2at6native29vectorized_elementwise_kernelILi16EZZZNS0_12_GLOBAL__N_130modified_bessel_k1_kernel_cudaERNS_18TensorIteratorBaseEENKUlvE_clEvENKUlvE_clEvEUldE_St5arrayIPcLm2EEEEviT0_T1_, .Lfunc_end2-_ZN2at6native29vectorized_elementwise_kernelILi16EZZZNS0_12_GLOBAL__N_130modified_bessel_k1_kernel_cudaERNS_18TensorIteratorBaseEENKUlvE_clEvENKUlvE_clEvEUldE_St5arrayIPcLm2EEEEviT0_T1_
                                        ; -- End function
	.set _ZN2at6native29vectorized_elementwise_kernelILi16EZZZNS0_12_GLOBAL__N_130modified_bessel_k1_kernel_cudaERNS_18TensorIteratorBaseEENKUlvE_clEvENKUlvE_clEvEUldE_St5arrayIPcLm2EEEEviT0_T1_.num_vgpr, max(41, .L_ZN2at6native25elementwise_kernel_helperILb0EZZZNS0_12_GLOBAL__N_130modified_bessel_k1_kernel_cudaERNS_18TensorIteratorBaseEENKUlvE_clEvENKUlvE_clEvEUldE_NS0_6memory8policies10vectorizedILi4ESt5arrayIPcLm2EELi4EEEEEvT0_T1_.num_vgpr, .L_ZN2at6native25elementwise_kernel_helperILb0EZZZNS0_12_GLOBAL__N_130modified_bessel_k1_kernel_cudaERNS_18TensorIteratorBaseEENKUlvE_clEvENKUlvE_clEvEUldE_NS0_6memory8policies11unroll_baseILi256ESt5arrayIPcLm2EE23TrivialOffsetCalculatorILi1EjESF_NS8_15LoadWithoutCastENS8_16StoreWithoutCastELi4ELi1EEEEEvT0_T1_.num_vgpr)
	.set _ZN2at6native29vectorized_elementwise_kernelILi16EZZZNS0_12_GLOBAL__N_130modified_bessel_k1_kernel_cudaERNS_18TensorIteratorBaseEENKUlvE_clEvENKUlvE_clEvEUldE_St5arrayIPcLm2EEEEviT0_T1_.num_agpr, max(0, .L_ZN2at6native25elementwise_kernel_helperILb0EZZZNS0_12_GLOBAL__N_130modified_bessel_k1_kernel_cudaERNS_18TensorIteratorBaseEENKUlvE_clEvENKUlvE_clEvEUldE_NS0_6memory8policies10vectorizedILi4ESt5arrayIPcLm2EELi4EEEEEvT0_T1_.num_agpr, .L_ZN2at6native25elementwise_kernel_helperILb0EZZZNS0_12_GLOBAL__N_130modified_bessel_k1_kernel_cudaERNS_18TensorIteratorBaseEENKUlvE_clEvENKUlvE_clEvEUldE_NS0_6memory8policies11unroll_baseILi256ESt5arrayIPcLm2EE23TrivialOffsetCalculatorILi1EjESF_NS8_15LoadWithoutCastENS8_16StoreWithoutCastELi4ELi1EEEEEvT0_T1_.num_agpr)
	.set _ZN2at6native29vectorized_elementwise_kernelILi16EZZZNS0_12_GLOBAL__N_130modified_bessel_k1_kernel_cudaERNS_18TensorIteratorBaseEENKUlvE_clEvENKUlvE_clEvEUldE_St5arrayIPcLm2EEEEviT0_T1_.numbered_sgpr, max(33, .L_ZN2at6native25elementwise_kernel_helperILb0EZZZNS0_12_GLOBAL__N_130modified_bessel_k1_kernel_cudaERNS_18TensorIteratorBaseEENKUlvE_clEvENKUlvE_clEvEUldE_NS0_6memory8policies10vectorizedILi4ESt5arrayIPcLm2EELi4EEEEEvT0_T1_.numbered_sgpr, .L_ZN2at6native25elementwise_kernel_helperILb0EZZZNS0_12_GLOBAL__N_130modified_bessel_k1_kernel_cudaERNS_18TensorIteratorBaseEENKUlvE_clEvENKUlvE_clEvEUldE_NS0_6memory8policies11unroll_baseILi256ESt5arrayIPcLm2EE23TrivialOffsetCalculatorILi1EjESF_NS8_15LoadWithoutCastENS8_16StoreWithoutCastELi4ELi1EEEEEvT0_T1_.numbered_sgpr)
	.set _ZN2at6native29vectorized_elementwise_kernelILi16EZZZNS0_12_GLOBAL__N_130modified_bessel_k1_kernel_cudaERNS_18TensorIteratorBaseEENKUlvE_clEvENKUlvE_clEvEUldE_St5arrayIPcLm2EEEEviT0_T1_.num_named_barrier, max(0, .L_ZN2at6native25elementwise_kernel_helperILb0EZZZNS0_12_GLOBAL__N_130modified_bessel_k1_kernel_cudaERNS_18TensorIteratorBaseEENKUlvE_clEvENKUlvE_clEvEUldE_NS0_6memory8policies10vectorizedILi4ESt5arrayIPcLm2EELi4EEEEEvT0_T1_.num_named_barrier, .L_ZN2at6native25elementwise_kernel_helperILb0EZZZNS0_12_GLOBAL__N_130modified_bessel_k1_kernel_cudaERNS_18TensorIteratorBaseEENKUlvE_clEvENKUlvE_clEvEUldE_NS0_6memory8policies11unroll_baseILi256ESt5arrayIPcLm2EE23TrivialOffsetCalculatorILi1EjESF_NS8_15LoadWithoutCastENS8_16StoreWithoutCastELi4ELi1EEEEEvT0_T1_.num_named_barrier)
	.set _ZN2at6native29vectorized_elementwise_kernelILi16EZZZNS0_12_GLOBAL__N_130modified_bessel_k1_kernel_cudaERNS_18TensorIteratorBaseEENKUlvE_clEvENKUlvE_clEvEUldE_St5arrayIPcLm2EEEEviT0_T1_.private_seg_size, 0+max(.L_ZN2at6native25elementwise_kernel_helperILb0EZZZNS0_12_GLOBAL__N_130modified_bessel_k1_kernel_cudaERNS_18TensorIteratorBaseEENKUlvE_clEvENKUlvE_clEvEUldE_NS0_6memory8policies10vectorizedILi4ESt5arrayIPcLm2EELi4EEEEEvT0_T1_.private_seg_size, .L_ZN2at6native25elementwise_kernel_helperILb0EZZZNS0_12_GLOBAL__N_130modified_bessel_k1_kernel_cudaERNS_18TensorIteratorBaseEENKUlvE_clEvENKUlvE_clEvEUldE_NS0_6memory8policies11unroll_baseILi256ESt5arrayIPcLm2EE23TrivialOffsetCalculatorILi1EjESF_NS8_15LoadWithoutCastENS8_16StoreWithoutCastELi4ELi1EEEEEvT0_T1_.private_seg_size)
	.set _ZN2at6native29vectorized_elementwise_kernelILi16EZZZNS0_12_GLOBAL__N_130modified_bessel_k1_kernel_cudaERNS_18TensorIteratorBaseEENKUlvE_clEvENKUlvE_clEvEUldE_St5arrayIPcLm2EEEEviT0_T1_.uses_vcc, or(1, .L_ZN2at6native25elementwise_kernel_helperILb0EZZZNS0_12_GLOBAL__N_130modified_bessel_k1_kernel_cudaERNS_18TensorIteratorBaseEENKUlvE_clEvENKUlvE_clEvEUldE_NS0_6memory8policies10vectorizedILi4ESt5arrayIPcLm2EELi4EEEEEvT0_T1_.uses_vcc, .L_ZN2at6native25elementwise_kernel_helperILb0EZZZNS0_12_GLOBAL__N_130modified_bessel_k1_kernel_cudaERNS_18TensorIteratorBaseEENKUlvE_clEvENKUlvE_clEvEUldE_NS0_6memory8policies11unroll_baseILi256ESt5arrayIPcLm2EE23TrivialOffsetCalculatorILi1EjESF_NS8_15LoadWithoutCastENS8_16StoreWithoutCastELi4ELi1EEEEEvT0_T1_.uses_vcc)
	.set _ZN2at6native29vectorized_elementwise_kernelILi16EZZZNS0_12_GLOBAL__N_130modified_bessel_k1_kernel_cudaERNS_18TensorIteratorBaseEENKUlvE_clEvENKUlvE_clEvEUldE_St5arrayIPcLm2EEEEviT0_T1_.uses_flat_scratch, or(0, .L_ZN2at6native25elementwise_kernel_helperILb0EZZZNS0_12_GLOBAL__N_130modified_bessel_k1_kernel_cudaERNS_18TensorIteratorBaseEENKUlvE_clEvENKUlvE_clEvEUldE_NS0_6memory8policies10vectorizedILi4ESt5arrayIPcLm2EELi4EEEEEvT0_T1_.uses_flat_scratch, .L_ZN2at6native25elementwise_kernel_helperILb0EZZZNS0_12_GLOBAL__N_130modified_bessel_k1_kernel_cudaERNS_18TensorIteratorBaseEENKUlvE_clEvENKUlvE_clEvEUldE_NS0_6memory8policies11unroll_baseILi256ESt5arrayIPcLm2EE23TrivialOffsetCalculatorILi1EjESF_NS8_15LoadWithoutCastENS8_16StoreWithoutCastELi4ELi1EEEEEvT0_T1_.uses_flat_scratch)
	.set _ZN2at6native29vectorized_elementwise_kernelILi16EZZZNS0_12_GLOBAL__N_130modified_bessel_k1_kernel_cudaERNS_18TensorIteratorBaseEENKUlvE_clEvENKUlvE_clEvEUldE_St5arrayIPcLm2EEEEviT0_T1_.has_dyn_sized_stack, or(0, .L_ZN2at6native25elementwise_kernel_helperILb0EZZZNS0_12_GLOBAL__N_130modified_bessel_k1_kernel_cudaERNS_18TensorIteratorBaseEENKUlvE_clEvENKUlvE_clEvEUldE_NS0_6memory8policies10vectorizedILi4ESt5arrayIPcLm2EELi4EEEEEvT0_T1_.has_dyn_sized_stack, .L_ZN2at6native25elementwise_kernel_helperILb0EZZZNS0_12_GLOBAL__N_130modified_bessel_k1_kernel_cudaERNS_18TensorIteratorBaseEENKUlvE_clEvENKUlvE_clEvEUldE_NS0_6memory8policies11unroll_baseILi256ESt5arrayIPcLm2EE23TrivialOffsetCalculatorILi1EjESF_NS8_15LoadWithoutCastENS8_16StoreWithoutCastELi4ELi1EEEEEvT0_T1_.has_dyn_sized_stack)
	.set _ZN2at6native29vectorized_elementwise_kernelILi16EZZZNS0_12_GLOBAL__N_130modified_bessel_k1_kernel_cudaERNS_18TensorIteratorBaseEENKUlvE_clEvENKUlvE_clEvEUldE_St5arrayIPcLm2EEEEviT0_T1_.has_recursion, or(0, .L_ZN2at6native25elementwise_kernel_helperILb0EZZZNS0_12_GLOBAL__N_130modified_bessel_k1_kernel_cudaERNS_18TensorIteratorBaseEENKUlvE_clEvENKUlvE_clEvEUldE_NS0_6memory8policies10vectorizedILi4ESt5arrayIPcLm2EELi4EEEEEvT0_T1_.has_recursion, .L_ZN2at6native25elementwise_kernel_helperILb0EZZZNS0_12_GLOBAL__N_130modified_bessel_k1_kernel_cudaERNS_18TensorIteratorBaseEENKUlvE_clEvENKUlvE_clEvEUldE_NS0_6memory8policies11unroll_baseILi256ESt5arrayIPcLm2EE23TrivialOffsetCalculatorILi1EjESF_NS8_15LoadWithoutCastENS8_16StoreWithoutCastELi4ELi1EEEEEvT0_T1_.has_recursion)
	.set _ZN2at6native29vectorized_elementwise_kernelILi16EZZZNS0_12_GLOBAL__N_130modified_bessel_k1_kernel_cudaERNS_18TensorIteratorBaseEENKUlvE_clEvENKUlvE_clEvEUldE_St5arrayIPcLm2EEEEviT0_T1_.has_indirect_call, or(0, .L_ZN2at6native25elementwise_kernel_helperILb0EZZZNS0_12_GLOBAL__N_130modified_bessel_k1_kernel_cudaERNS_18TensorIteratorBaseEENKUlvE_clEvENKUlvE_clEvEUldE_NS0_6memory8policies10vectorizedILi4ESt5arrayIPcLm2EELi4EEEEEvT0_T1_.has_indirect_call, .L_ZN2at6native25elementwise_kernel_helperILb0EZZZNS0_12_GLOBAL__N_130modified_bessel_k1_kernel_cudaERNS_18TensorIteratorBaseEENKUlvE_clEvENKUlvE_clEvEUldE_NS0_6memory8policies11unroll_baseILi256ESt5arrayIPcLm2EE23TrivialOffsetCalculatorILi1EjESF_NS8_15LoadWithoutCastENS8_16StoreWithoutCastELi4ELi1EEEEEvT0_T1_.has_indirect_call)
	.section	.AMDGPU.csdata,"",@progbits
; Kernel info:
; codeLenInByte = 184
; TotalNumSgprs: 35
; NumVgprs: 70
; ScratchSize: 0
; MemoryBound: 0
; FloatMode: 240
; IeeeMode: 1
; LDSByteSize: 0 bytes/workgroup (compile time only)
; SGPRBlocks: 0
; VGPRBlocks: 8
; NumSGPRsForWavesPerEU: 35
; NumVGPRsForWavesPerEU: 70
; Occupancy: 12
; WaveLimiterHint : 0
; COMPUTE_PGM_RSRC2:SCRATCH_EN: 0
; COMPUTE_PGM_RSRC2:USER_SGPR: 6
; COMPUTE_PGM_RSRC2:TRAP_HANDLER: 0
; COMPUTE_PGM_RSRC2:TGID_X_EN: 1
; COMPUTE_PGM_RSRC2:TGID_Y_EN: 0
; COMPUTE_PGM_RSRC2:TGID_Z_EN: 0
; COMPUTE_PGM_RSRC2:TIDIG_COMP_CNT: 0
	.section	.text._ZN2at6native29vectorized_elementwise_kernelILi8EZZZNS0_12_GLOBAL__N_130modified_bessel_k1_kernel_cudaERNS_18TensorIteratorBaseEENKUlvE_clEvENKUlvE_clEvEUldE_St5arrayIPcLm2EEEEviT0_T1_,"axG",@progbits,_ZN2at6native29vectorized_elementwise_kernelILi8EZZZNS0_12_GLOBAL__N_130modified_bessel_k1_kernel_cudaERNS_18TensorIteratorBaseEENKUlvE_clEvENKUlvE_clEvEUldE_St5arrayIPcLm2EEEEviT0_T1_,comdat
	.globl	_ZN2at6native29vectorized_elementwise_kernelILi8EZZZNS0_12_GLOBAL__N_130modified_bessel_k1_kernel_cudaERNS_18TensorIteratorBaseEENKUlvE_clEvENKUlvE_clEvEUldE_St5arrayIPcLm2EEEEviT0_T1_ ; -- Begin function _ZN2at6native29vectorized_elementwise_kernelILi8EZZZNS0_12_GLOBAL__N_130modified_bessel_k1_kernel_cudaERNS_18TensorIteratorBaseEENKUlvE_clEvENKUlvE_clEvEUldE_St5arrayIPcLm2EEEEviT0_T1_
	.p2align	8
	.type	_ZN2at6native29vectorized_elementwise_kernelILi8EZZZNS0_12_GLOBAL__N_130modified_bessel_k1_kernel_cudaERNS_18TensorIteratorBaseEENKUlvE_clEvENKUlvE_clEvEUldE_St5arrayIPcLm2EEEEviT0_T1_,@function
_ZN2at6native29vectorized_elementwise_kernelILi8EZZZNS0_12_GLOBAL__N_130modified_bessel_k1_kernel_cudaERNS_18TensorIteratorBaseEENKUlvE_clEvENKUlvE_clEvEUldE_St5arrayIPcLm2EEEEviT0_T1_: ; @_ZN2at6native29vectorized_elementwise_kernelILi8EZZZNS0_12_GLOBAL__N_130modified_bessel_k1_kernel_cudaERNS_18TensorIteratorBaseEENKUlvE_clEvENKUlvE_clEvEUldE_St5arrayIPcLm2EEEEviT0_T1_
; %bb.0:
	s_mov_b32 s18, s6
	s_clause 0x1
	s_load_dword s6, s[4:5], 0x0
	s_load_dwordx4 s[20:23], s[4:5], 0x8
	s_add_u32 s0, s0, s7
	s_addc_u32 s1, s1, 0
	s_lshl_b32 s4, s18, 10
	v_mov_b32_e32 v40, v0
	s_mov_b32 s32, 0
	s_waitcnt lgkmcnt(0)
	s_sub_i32 s19, s6, s4
	s_mov_b32 s4, -1
	s_cmpk_gt_i32 s19, 0x3ff
	s_cbranch_scc1 .LBB3_3
; %bb.1:
	s_andn2_b32 vcc_lo, exec_lo, s4
	s_cbranch_vccz .LBB3_4
.LBB3_2:
	s_endpgm
.LBB3_3:
	v_mov_b32_e32 v31, v40
	v_mov_b32_e32 v0, s20
	;; [unrolled: 1-line block ×5, first 2 shown]
	s_getpc_b64 s[4:5]
	s_add_u32 s4, s4, _ZN2at6native25elementwise_kernel_helperILb0EZZZNS0_12_GLOBAL__N_130modified_bessel_k1_kernel_cudaERNS_18TensorIteratorBaseEENKUlvE_clEvENKUlvE_clEvEUldE_NS0_6memory8policies10vectorizedILi4ESt5arrayIPcLm2EELi4EEEEEvT0_T1_@rel32@lo+4
	s_addc_u32 s5, s5, _ZN2at6native25elementwise_kernel_helperILb0EZZZNS0_12_GLOBAL__N_130modified_bessel_k1_kernel_cudaERNS_18TensorIteratorBaseEENKUlvE_clEvENKUlvE_clEvEUldE_NS0_6memory8policies10vectorizedILi4ESt5arrayIPcLm2EELi4EEEEEvT0_T1_@rel32@hi+12
	s_mov_b32 s12, s18
	s_swappc_b64 s[30:31], s[4:5]
	s_cbranch_execnz .LBB3_2
.LBB3_4:
	v_mov_b32_e32 v31, v40
	v_mov_b32_e32 v0, s20
	;; [unrolled: 1-line block ×6, first 2 shown]
	s_getpc_b64 s[4:5]
	s_add_u32 s4, s4, _ZN2at6native25elementwise_kernel_helperILb0EZZZNS0_12_GLOBAL__N_130modified_bessel_k1_kernel_cudaERNS_18TensorIteratorBaseEENKUlvE_clEvENKUlvE_clEvEUldE_NS0_6memory8policies11unroll_baseILi256ESt5arrayIPcLm2EE23TrivialOffsetCalculatorILi1EjESF_NS8_15LoadWithoutCastENS8_16StoreWithoutCastELi4ELi1EEEEEvT0_T1_@rel32@lo+4
	s_addc_u32 s5, s5, _ZN2at6native25elementwise_kernel_helperILb0EZZZNS0_12_GLOBAL__N_130modified_bessel_k1_kernel_cudaERNS_18TensorIteratorBaseEENKUlvE_clEvENKUlvE_clEvEUldE_NS0_6memory8policies11unroll_baseILi256ESt5arrayIPcLm2EE23TrivialOffsetCalculatorILi1EjESF_NS8_15LoadWithoutCastENS8_16StoreWithoutCastELi4ELi1EEEEEvT0_T1_@rel32@hi+12
	s_mov_b32 s12, s18
	s_swappc_b64 s[30:31], s[4:5]
	s_endpgm
	.section	.rodata,"a",@progbits
	.p2align	6, 0x0
	.amdhsa_kernel _ZN2at6native29vectorized_elementwise_kernelILi8EZZZNS0_12_GLOBAL__N_130modified_bessel_k1_kernel_cudaERNS_18TensorIteratorBaseEENKUlvE_clEvENKUlvE_clEvEUldE_St5arrayIPcLm2EEEEviT0_T1_
		.amdhsa_group_segment_fixed_size 0
		.amdhsa_private_segment_fixed_size 0
		.amdhsa_kernarg_size 24
		.amdhsa_user_sgpr_count 6
		.amdhsa_user_sgpr_private_segment_buffer 1
		.amdhsa_user_sgpr_dispatch_ptr 0
		.amdhsa_user_sgpr_queue_ptr 0
		.amdhsa_user_sgpr_kernarg_segment_ptr 1
		.amdhsa_user_sgpr_dispatch_id 0
		.amdhsa_user_sgpr_flat_scratch_init 0
		.amdhsa_user_sgpr_private_segment_size 0
		.amdhsa_wavefront_size32 1
		.amdhsa_uses_dynamic_stack 0
		.amdhsa_system_sgpr_private_segment_wavefront_offset 0
		.amdhsa_system_sgpr_workgroup_id_x 1
		.amdhsa_system_sgpr_workgroup_id_y 0
		.amdhsa_system_sgpr_workgroup_id_z 0
		.amdhsa_system_sgpr_workgroup_info 0
		.amdhsa_system_vgpr_workitem_id 0
		.amdhsa_next_free_vgpr 70
		.amdhsa_next_free_sgpr 33
		.amdhsa_reserve_vcc 1
		.amdhsa_reserve_flat_scratch 1
		.amdhsa_float_round_mode_32 0
		.amdhsa_float_round_mode_16_64 0
		.amdhsa_float_denorm_mode_32 3
		.amdhsa_float_denorm_mode_16_64 3
		.amdhsa_dx10_clamp 1
		.amdhsa_ieee_mode 1
		.amdhsa_fp16_overflow 0
		.amdhsa_workgroup_processor_mode 1
		.amdhsa_memory_ordered 1
		.amdhsa_forward_progress 1
		.amdhsa_shared_vgpr_count 0
		.amdhsa_exception_fp_ieee_invalid_op 0
		.amdhsa_exception_fp_denorm_src 0
		.amdhsa_exception_fp_ieee_div_zero 0
		.amdhsa_exception_fp_ieee_overflow 0
		.amdhsa_exception_fp_ieee_underflow 0
		.amdhsa_exception_fp_ieee_inexact 0
		.amdhsa_exception_int_div_zero 0
	.end_amdhsa_kernel
	.section	.text._ZN2at6native29vectorized_elementwise_kernelILi8EZZZNS0_12_GLOBAL__N_130modified_bessel_k1_kernel_cudaERNS_18TensorIteratorBaseEENKUlvE_clEvENKUlvE_clEvEUldE_St5arrayIPcLm2EEEEviT0_T1_,"axG",@progbits,_ZN2at6native29vectorized_elementwise_kernelILi8EZZZNS0_12_GLOBAL__N_130modified_bessel_k1_kernel_cudaERNS_18TensorIteratorBaseEENKUlvE_clEvENKUlvE_clEvEUldE_St5arrayIPcLm2EEEEviT0_T1_,comdat
.Lfunc_end3:
	.size	_ZN2at6native29vectorized_elementwise_kernelILi8EZZZNS0_12_GLOBAL__N_130modified_bessel_k1_kernel_cudaERNS_18TensorIteratorBaseEENKUlvE_clEvENKUlvE_clEvEUldE_St5arrayIPcLm2EEEEviT0_T1_, .Lfunc_end3-_ZN2at6native29vectorized_elementwise_kernelILi8EZZZNS0_12_GLOBAL__N_130modified_bessel_k1_kernel_cudaERNS_18TensorIteratorBaseEENKUlvE_clEvENKUlvE_clEvEUldE_St5arrayIPcLm2EEEEviT0_T1_
                                        ; -- End function
	.set _ZN2at6native29vectorized_elementwise_kernelILi8EZZZNS0_12_GLOBAL__N_130modified_bessel_k1_kernel_cudaERNS_18TensorIteratorBaseEENKUlvE_clEvENKUlvE_clEvEUldE_St5arrayIPcLm2EEEEviT0_T1_.num_vgpr, max(41, .L_ZN2at6native25elementwise_kernel_helperILb0EZZZNS0_12_GLOBAL__N_130modified_bessel_k1_kernel_cudaERNS_18TensorIteratorBaseEENKUlvE_clEvENKUlvE_clEvEUldE_NS0_6memory8policies10vectorizedILi4ESt5arrayIPcLm2EELi4EEEEEvT0_T1_.num_vgpr, .L_ZN2at6native25elementwise_kernel_helperILb0EZZZNS0_12_GLOBAL__N_130modified_bessel_k1_kernel_cudaERNS_18TensorIteratorBaseEENKUlvE_clEvENKUlvE_clEvEUldE_NS0_6memory8policies11unroll_baseILi256ESt5arrayIPcLm2EE23TrivialOffsetCalculatorILi1EjESF_NS8_15LoadWithoutCastENS8_16StoreWithoutCastELi4ELi1EEEEEvT0_T1_.num_vgpr)
	.set _ZN2at6native29vectorized_elementwise_kernelILi8EZZZNS0_12_GLOBAL__N_130modified_bessel_k1_kernel_cudaERNS_18TensorIteratorBaseEENKUlvE_clEvENKUlvE_clEvEUldE_St5arrayIPcLm2EEEEviT0_T1_.num_agpr, max(0, .L_ZN2at6native25elementwise_kernel_helperILb0EZZZNS0_12_GLOBAL__N_130modified_bessel_k1_kernel_cudaERNS_18TensorIteratorBaseEENKUlvE_clEvENKUlvE_clEvEUldE_NS0_6memory8policies10vectorizedILi4ESt5arrayIPcLm2EELi4EEEEEvT0_T1_.num_agpr, .L_ZN2at6native25elementwise_kernel_helperILb0EZZZNS0_12_GLOBAL__N_130modified_bessel_k1_kernel_cudaERNS_18TensorIteratorBaseEENKUlvE_clEvENKUlvE_clEvEUldE_NS0_6memory8policies11unroll_baseILi256ESt5arrayIPcLm2EE23TrivialOffsetCalculatorILi1EjESF_NS8_15LoadWithoutCastENS8_16StoreWithoutCastELi4ELi1EEEEEvT0_T1_.num_agpr)
	.set _ZN2at6native29vectorized_elementwise_kernelILi8EZZZNS0_12_GLOBAL__N_130modified_bessel_k1_kernel_cudaERNS_18TensorIteratorBaseEENKUlvE_clEvENKUlvE_clEvEUldE_St5arrayIPcLm2EEEEviT0_T1_.numbered_sgpr, max(33, .L_ZN2at6native25elementwise_kernel_helperILb0EZZZNS0_12_GLOBAL__N_130modified_bessel_k1_kernel_cudaERNS_18TensorIteratorBaseEENKUlvE_clEvENKUlvE_clEvEUldE_NS0_6memory8policies10vectorizedILi4ESt5arrayIPcLm2EELi4EEEEEvT0_T1_.numbered_sgpr, .L_ZN2at6native25elementwise_kernel_helperILb0EZZZNS0_12_GLOBAL__N_130modified_bessel_k1_kernel_cudaERNS_18TensorIteratorBaseEENKUlvE_clEvENKUlvE_clEvEUldE_NS0_6memory8policies11unroll_baseILi256ESt5arrayIPcLm2EE23TrivialOffsetCalculatorILi1EjESF_NS8_15LoadWithoutCastENS8_16StoreWithoutCastELi4ELi1EEEEEvT0_T1_.numbered_sgpr)
	.set _ZN2at6native29vectorized_elementwise_kernelILi8EZZZNS0_12_GLOBAL__N_130modified_bessel_k1_kernel_cudaERNS_18TensorIteratorBaseEENKUlvE_clEvENKUlvE_clEvEUldE_St5arrayIPcLm2EEEEviT0_T1_.num_named_barrier, max(0, .L_ZN2at6native25elementwise_kernel_helperILb0EZZZNS0_12_GLOBAL__N_130modified_bessel_k1_kernel_cudaERNS_18TensorIteratorBaseEENKUlvE_clEvENKUlvE_clEvEUldE_NS0_6memory8policies10vectorizedILi4ESt5arrayIPcLm2EELi4EEEEEvT0_T1_.num_named_barrier, .L_ZN2at6native25elementwise_kernel_helperILb0EZZZNS0_12_GLOBAL__N_130modified_bessel_k1_kernel_cudaERNS_18TensorIteratorBaseEENKUlvE_clEvENKUlvE_clEvEUldE_NS0_6memory8policies11unroll_baseILi256ESt5arrayIPcLm2EE23TrivialOffsetCalculatorILi1EjESF_NS8_15LoadWithoutCastENS8_16StoreWithoutCastELi4ELi1EEEEEvT0_T1_.num_named_barrier)
	.set _ZN2at6native29vectorized_elementwise_kernelILi8EZZZNS0_12_GLOBAL__N_130modified_bessel_k1_kernel_cudaERNS_18TensorIteratorBaseEENKUlvE_clEvENKUlvE_clEvEUldE_St5arrayIPcLm2EEEEviT0_T1_.private_seg_size, 0+max(.L_ZN2at6native25elementwise_kernel_helperILb0EZZZNS0_12_GLOBAL__N_130modified_bessel_k1_kernel_cudaERNS_18TensorIteratorBaseEENKUlvE_clEvENKUlvE_clEvEUldE_NS0_6memory8policies10vectorizedILi4ESt5arrayIPcLm2EELi4EEEEEvT0_T1_.private_seg_size, .L_ZN2at6native25elementwise_kernel_helperILb0EZZZNS0_12_GLOBAL__N_130modified_bessel_k1_kernel_cudaERNS_18TensorIteratorBaseEENKUlvE_clEvENKUlvE_clEvEUldE_NS0_6memory8policies11unroll_baseILi256ESt5arrayIPcLm2EE23TrivialOffsetCalculatorILi1EjESF_NS8_15LoadWithoutCastENS8_16StoreWithoutCastELi4ELi1EEEEEvT0_T1_.private_seg_size)
	.set _ZN2at6native29vectorized_elementwise_kernelILi8EZZZNS0_12_GLOBAL__N_130modified_bessel_k1_kernel_cudaERNS_18TensorIteratorBaseEENKUlvE_clEvENKUlvE_clEvEUldE_St5arrayIPcLm2EEEEviT0_T1_.uses_vcc, or(1, .L_ZN2at6native25elementwise_kernel_helperILb0EZZZNS0_12_GLOBAL__N_130modified_bessel_k1_kernel_cudaERNS_18TensorIteratorBaseEENKUlvE_clEvENKUlvE_clEvEUldE_NS0_6memory8policies10vectorizedILi4ESt5arrayIPcLm2EELi4EEEEEvT0_T1_.uses_vcc, .L_ZN2at6native25elementwise_kernel_helperILb0EZZZNS0_12_GLOBAL__N_130modified_bessel_k1_kernel_cudaERNS_18TensorIteratorBaseEENKUlvE_clEvENKUlvE_clEvEUldE_NS0_6memory8policies11unroll_baseILi256ESt5arrayIPcLm2EE23TrivialOffsetCalculatorILi1EjESF_NS8_15LoadWithoutCastENS8_16StoreWithoutCastELi4ELi1EEEEEvT0_T1_.uses_vcc)
	.set _ZN2at6native29vectorized_elementwise_kernelILi8EZZZNS0_12_GLOBAL__N_130modified_bessel_k1_kernel_cudaERNS_18TensorIteratorBaseEENKUlvE_clEvENKUlvE_clEvEUldE_St5arrayIPcLm2EEEEviT0_T1_.uses_flat_scratch, or(0, .L_ZN2at6native25elementwise_kernel_helperILb0EZZZNS0_12_GLOBAL__N_130modified_bessel_k1_kernel_cudaERNS_18TensorIteratorBaseEENKUlvE_clEvENKUlvE_clEvEUldE_NS0_6memory8policies10vectorizedILi4ESt5arrayIPcLm2EELi4EEEEEvT0_T1_.uses_flat_scratch, .L_ZN2at6native25elementwise_kernel_helperILb0EZZZNS0_12_GLOBAL__N_130modified_bessel_k1_kernel_cudaERNS_18TensorIteratorBaseEENKUlvE_clEvENKUlvE_clEvEUldE_NS0_6memory8policies11unroll_baseILi256ESt5arrayIPcLm2EE23TrivialOffsetCalculatorILi1EjESF_NS8_15LoadWithoutCastENS8_16StoreWithoutCastELi4ELi1EEEEEvT0_T1_.uses_flat_scratch)
	.set _ZN2at6native29vectorized_elementwise_kernelILi8EZZZNS0_12_GLOBAL__N_130modified_bessel_k1_kernel_cudaERNS_18TensorIteratorBaseEENKUlvE_clEvENKUlvE_clEvEUldE_St5arrayIPcLm2EEEEviT0_T1_.has_dyn_sized_stack, or(0, .L_ZN2at6native25elementwise_kernel_helperILb0EZZZNS0_12_GLOBAL__N_130modified_bessel_k1_kernel_cudaERNS_18TensorIteratorBaseEENKUlvE_clEvENKUlvE_clEvEUldE_NS0_6memory8policies10vectorizedILi4ESt5arrayIPcLm2EELi4EEEEEvT0_T1_.has_dyn_sized_stack, .L_ZN2at6native25elementwise_kernel_helperILb0EZZZNS0_12_GLOBAL__N_130modified_bessel_k1_kernel_cudaERNS_18TensorIteratorBaseEENKUlvE_clEvENKUlvE_clEvEUldE_NS0_6memory8policies11unroll_baseILi256ESt5arrayIPcLm2EE23TrivialOffsetCalculatorILi1EjESF_NS8_15LoadWithoutCastENS8_16StoreWithoutCastELi4ELi1EEEEEvT0_T1_.has_dyn_sized_stack)
	.set _ZN2at6native29vectorized_elementwise_kernelILi8EZZZNS0_12_GLOBAL__N_130modified_bessel_k1_kernel_cudaERNS_18TensorIteratorBaseEENKUlvE_clEvENKUlvE_clEvEUldE_St5arrayIPcLm2EEEEviT0_T1_.has_recursion, or(0, .L_ZN2at6native25elementwise_kernel_helperILb0EZZZNS0_12_GLOBAL__N_130modified_bessel_k1_kernel_cudaERNS_18TensorIteratorBaseEENKUlvE_clEvENKUlvE_clEvEUldE_NS0_6memory8policies10vectorizedILi4ESt5arrayIPcLm2EELi4EEEEEvT0_T1_.has_recursion, .L_ZN2at6native25elementwise_kernel_helperILb0EZZZNS0_12_GLOBAL__N_130modified_bessel_k1_kernel_cudaERNS_18TensorIteratorBaseEENKUlvE_clEvENKUlvE_clEvEUldE_NS0_6memory8policies11unroll_baseILi256ESt5arrayIPcLm2EE23TrivialOffsetCalculatorILi1EjESF_NS8_15LoadWithoutCastENS8_16StoreWithoutCastELi4ELi1EEEEEvT0_T1_.has_recursion)
	.set _ZN2at6native29vectorized_elementwise_kernelILi8EZZZNS0_12_GLOBAL__N_130modified_bessel_k1_kernel_cudaERNS_18TensorIteratorBaseEENKUlvE_clEvENKUlvE_clEvEUldE_St5arrayIPcLm2EEEEviT0_T1_.has_indirect_call, or(0, .L_ZN2at6native25elementwise_kernel_helperILb0EZZZNS0_12_GLOBAL__N_130modified_bessel_k1_kernel_cudaERNS_18TensorIteratorBaseEENKUlvE_clEvENKUlvE_clEvEUldE_NS0_6memory8policies10vectorizedILi4ESt5arrayIPcLm2EELi4EEEEEvT0_T1_.has_indirect_call, .L_ZN2at6native25elementwise_kernel_helperILb0EZZZNS0_12_GLOBAL__N_130modified_bessel_k1_kernel_cudaERNS_18TensorIteratorBaseEENKUlvE_clEvENKUlvE_clEvEUldE_NS0_6memory8policies11unroll_baseILi256ESt5arrayIPcLm2EE23TrivialOffsetCalculatorILi1EjESF_NS8_15LoadWithoutCastENS8_16StoreWithoutCastELi4ELi1EEEEEvT0_T1_.has_indirect_call)
	.section	.AMDGPU.csdata,"",@progbits
; Kernel info:
; codeLenInByte = 184
; TotalNumSgprs: 35
; NumVgprs: 70
; ScratchSize: 0
; MemoryBound: 0
; FloatMode: 240
; IeeeMode: 1
; LDSByteSize: 0 bytes/workgroup (compile time only)
; SGPRBlocks: 0
; VGPRBlocks: 8
; NumSGPRsForWavesPerEU: 35
; NumVGPRsForWavesPerEU: 70
; Occupancy: 12
; WaveLimiterHint : 0
; COMPUTE_PGM_RSRC2:SCRATCH_EN: 0
; COMPUTE_PGM_RSRC2:USER_SGPR: 6
; COMPUTE_PGM_RSRC2:TRAP_HANDLER: 0
; COMPUTE_PGM_RSRC2:TGID_X_EN: 1
; COMPUTE_PGM_RSRC2:TGID_Y_EN: 0
; COMPUTE_PGM_RSRC2:TGID_Z_EN: 0
; COMPUTE_PGM_RSRC2:TIDIG_COMP_CNT: 0
	.section	.text._ZN2at6native29vectorized_elementwise_kernelILi4EZZZNS0_12_GLOBAL__N_130modified_bessel_k1_kernel_cudaERNS_18TensorIteratorBaseEENKUlvE_clEvENKUlvE_clEvEUldE_St5arrayIPcLm2EEEEviT0_T1_,"axG",@progbits,_ZN2at6native29vectorized_elementwise_kernelILi4EZZZNS0_12_GLOBAL__N_130modified_bessel_k1_kernel_cudaERNS_18TensorIteratorBaseEENKUlvE_clEvENKUlvE_clEvEUldE_St5arrayIPcLm2EEEEviT0_T1_,comdat
	.globl	_ZN2at6native29vectorized_elementwise_kernelILi4EZZZNS0_12_GLOBAL__N_130modified_bessel_k1_kernel_cudaERNS_18TensorIteratorBaseEENKUlvE_clEvENKUlvE_clEvEUldE_St5arrayIPcLm2EEEEviT0_T1_ ; -- Begin function _ZN2at6native29vectorized_elementwise_kernelILi4EZZZNS0_12_GLOBAL__N_130modified_bessel_k1_kernel_cudaERNS_18TensorIteratorBaseEENKUlvE_clEvENKUlvE_clEvEUldE_St5arrayIPcLm2EEEEviT0_T1_
	.p2align	8
	.type	_ZN2at6native29vectorized_elementwise_kernelILi4EZZZNS0_12_GLOBAL__N_130modified_bessel_k1_kernel_cudaERNS_18TensorIteratorBaseEENKUlvE_clEvENKUlvE_clEvEUldE_St5arrayIPcLm2EEEEviT0_T1_,@function
_ZN2at6native29vectorized_elementwise_kernelILi4EZZZNS0_12_GLOBAL__N_130modified_bessel_k1_kernel_cudaERNS_18TensorIteratorBaseEENKUlvE_clEvENKUlvE_clEvEUldE_St5arrayIPcLm2EEEEviT0_T1_: ; @_ZN2at6native29vectorized_elementwise_kernelILi4EZZZNS0_12_GLOBAL__N_130modified_bessel_k1_kernel_cudaERNS_18TensorIteratorBaseEENKUlvE_clEvENKUlvE_clEvEUldE_St5arrayIPcLm2EEEEviT0_T1_
; %bb.0:
	s_mov_b32 s18, s6
	s_clause 0x1
	s_load_dword s6, s[4:5], 0x0
	s_load_dwordx4 s[20:23], s[4:5], 0x8
	s_add_u32 s0, s0, s7
	s_addc_u32 s1, s1, 0
	s_lshl_b32 s4, s18, 10
	v_mov_b32_e32 v40, v0
	s_mov_b32 s32, 0
	s_waitcnt lgkmcnt(0)
	s_sub_i32 s19, s6, s4
	s_mov_b32 s4, -1
	s_cmpk_gt_i32 s19, 0x3ff
	s_cbranch_scc1 .LBB4_3
; %bb.1:
	s_andn2_b32 vcc_lo, exec_lo, s4
	s_cbranch_vccz .LBB4_4
.LBB4_2:
	s_endpgm
.LBB4_3:
	v_mov_b32_e32 v31, v40
	v_mov_b32_e32 v0, s20
	v_mov_b32_e32 v1, s21
	v_mov_b32_e32 v2, s22
	v_mov_b32_e32 v3, s23
	s_getpc_b64 s[4:5]
	s_add_u32 s4, s4, _ZN2at6native25elementwise_kernel_helperILb0EZZZNS0_12_GLOBAL__N_130modified_bessel_k1_kernel_cudaERNS_18TensorIteratorBaseEENKUlvE_clEvENKUlvE_clEvEUldE_NS0_6memory8policies10vectorizedILi4ESt5arrayIPcLm2EELi4EEEEEvT0_T1_@rel32@lo+4
	s_addc_u32 s5, s5, _ZN2at6native25elementwise_kernel_helperILb0EZZZNS0_12_GLOBAL__N_130modified_bessel_k1_kernel_cudaERNS_18TensorIteratorBaseEENKUlvE_clEvENKUlvE_clEvEUldE_NS0_6memory8policies10vectorizedILi4ESt5arrayIPcLm2EELi4EEEEEvT0_T1_@rel32@hi+12
	s_mov_b32 s12, s18
	s_swappc_b64 s[30:31], s[4:5]
	s_cbranch_execnz .LBB4_2
.LBB4_4:
	v_mov_b32_e32 v31, v40
	v_mov_b32_e32 v0, s20
	;; [unrolled: 1-line block ×6, first 2 shown]
	s_getpc_b64 s[4:5]
	s_add_u32 s4, s4, _ZN2at6native25elementwise_kernel_helperILb0EZZZNS0_12_GLOBAL__N_130modified_bessel_k1_kernel_cudaERNS_18TensorIteratorBaseEENKUlvE_clEvENKUlvE_clEvEUldE_NS0_6memory8policies11unroll_baseILi256ESt5arrayIPcLm2EE23TrivialOffsetCalculatorILi1EjESF_NS8_15LoadWithoutCastENS8_16StoreWithoutCastELi4ELi1EEEEEvT0_T1_@rel32@lo+4
	s_addc_u32 s5, s5, _ZN2at6native25elementwise_kernel_helperILb0EZZZNS0_12_GLOBAL__N_130modified_bessel_k1_kernel_cudaERNS_18TensorIteratorBaseEENKUlvE_clEvENKUlvE_clEvEUldE_NS0_6memory8policies11unroll_baseILi256ESt5arrayIPcLm2EE23TrivialOffsetCalculatorILi1EjESF_NS8_15LoadWithoutCastENS8_16StoreWithoutCastELi4ELi1EEEEEvT0_T1_@rel32@hi+12
	s_mov_b32 s12, s18
	s_swappc_b64 s[30:31], s[4:5]
	s_endpgm
	.section	.rodata,"a",@progbits
	.p2align	6, 0x0
	.amdhsa_kernel _ZN2at6native29vectorized_elementwise_kernelILi4EZZZNS0_12_GLOBAL__N_130modified_bessel_k1_kernel_cudaERNS_18TensorIteratorBaseEENKUlvE_clEvENKUlvE_clEvEUldE_St5arrayIPcLm2EEEEviT0_T1_
		.amdhsa_group_segment_fixed_size 0
		.amdhsa_private_segment_fixed_size 0
		.amdhsa_kernarg_size 24
		.amdhsa_user_sgpr_count 6
		.amdhsa_user_sgpr_private_segment_buffer 1
		.amdhsa_user_sgpr_dispatch_ptr 0
		.amdhsa_user_sgpr_queue_ptr 0
		.amdhsa_user_sgpr_kernarg_segment_ptr 1
		.amdhsa_user_sgpr_dispatch_id 0
		.amdhsa_user_sgpr_flat_scratch_init 0
		.amdhsa_user_sgpr_private_segment_size 0
		.amdhsa_wavefront_size32 1
		.amdhsa_uses_dynamic_stack 0
		.amdhsa_system_sgpr_private_segment_wavefront_offset 0
		.amdhsa_system_sgpr_workgroup_id_x 1
		.amdhsa_system_sgpr_workgroup_id_y 0
		.amdhsa_system_sgpr_workgroup_id_z 0
		.amdhsa_system_sgpr_workgroup_info 0
		.amdhsa_system_vgpr_workitem_id 0
		.amdhsa_next_free_vgpr 70
		.amdhsa_next_free_sgpr 33
		.amdhsa_reserve_vcc 1
		.amdhsa_reserve_flat_scratch 1
		.amdhsa_float_round_mode_32 0
		.amdhsa_float_round_mode_16_64 0
		.amdhsa_float_denorm_mode_32 3
		.amdhsa_float_denorm_mode_16_64 3
		.amdhsa_dx10_clamp 1
		.amdhsa_ieee_mode 1
		.amdhsa_fp16_overflow 0
		.amdhsa_workgroup_processor_mode 1
		.amdhsa_memory_ordered 1
		.amdhsa_forward_progress 1
		.amdhsa_shared_vgpr_count 0
		.amdhsa_exception_fp_ieee_invalid_op 0
		.amdhsa_exception_fp_denorm_src 0
		.amdhsa_exception_fp_ieee_div_zero 0
		.amdhsa_exception_fp_ieee_overflow 0
		.amdhsa_exception_fp_ieee_underflow 0
		.amdhsa_exception_fp_ieee_inexact 0
		.amdhsa_exception_int_div_zero 0
	.end_amdhsa_kernel
	.section	.text._ZN2at6native29vectorized_elementwise_kernelILi4EZZZNS0_12_GLOBAL__N_130modified_bessel_k1_kernel_cudaERNS_18TensorIteratorBaseEENKUlvE_clEvENKUlvE_clEvEUldE_St5arrayIPcLm2EEEEviT0_T1_,"axG",@progbits,_ZN2at6native29vectorized_elementwise_kernelILi4EZZZNS0_12_GLOBAL__N_130modified_bessel_k1_kernel_cudaERNS_18TensorIteratorBaseEENKUlvE_clEvENKUlvE_clEvEUldE_St5arrayIPcLm2EEEEviT0_T1_,comdat
.Lfunc_end4:
	.size	_ZN2at6native29vectorized_elementwise_kernelILi4EZZZNS0_12_GLOBAL__N_130modified_bessel_k1_kernel_cudaERNS_18TensorIteratorBaseEENKUlvE_clEvENKUlvE_clEvEUldE_St5arrayIPcLm2EEEEviT0_T1_, .Lfunc_end4-_ZN2at6native29vectorized_elementwise_kernelILi4EZZZNS0_12_GLOBAL__N_130modified_bessel_k1_kernel_cudaERNS_18TensorIteratorBaseEENKUlvE_clEvENKUlvE_clEvEUldE_St5arrayIPcLm2EEEEviT0_T1_
                                        ; -- End function
	.set _ZN2at6native29vectorized_elementwise_kernelILi4EZZZNS0_12_GLOBAL__N_130modified_bessel_k1_kernel_cudaERNS_18TensorIteratorBaseEENKUlvE_clEvENKUlvE_clEvEUldE_St5arrayIPcLm2EEEEviT0_T1_.num_vgpr, max(41, .L_ZN2at6native25elementwise_kernel_helperILb0EZZZNS0_12_GLOBAL__N_130modified_bessel_k1_kernel_cudaERNS_18TensorIteratorBaseEENKUlvE_clEvENKUlvE_clEvEUldE_NS0_6memory8policies10vectorizedILi4ESt5arrayIPcLm2EELi4EEEEEvT0_T1_.num_vgpr, .L_ZN2at6native25elementwise_kernel_helperILb0EZZZNS0_12_GLOBAL__N_130modified_bessel_k1_kernel_cudaERNS_18TensorIteratorBaseEENKUlvE_clEvENKUlvE_clEvEUldE_NS0_6memory8policies11unroll_baseILi256ESt5arrayIPcLm2EE23TrivialOffsetCalculatorILi1EjESF_NS8_15LoadWithoutCastENS8_16StoreWithoutCastELi4ELi1EEEEEvT0_T1_.num_vgpr)
	.set _ZN2at6native29vectorized_elementwise_kernelILi4EZZZNS0_12_GLOBAL__N_130modified_bessel_k1_kernel_cudaERNS_18TensorIteratorBaseEENKUlvE_clEvENKUlvE_clEvEUldE_St5arrayIPcLm2EEEEviT0_T1_.num_agpr, max(0, .L_ZN2at6native25elementwise_kernel_helperILb0EZZZNS0_12_GLOBAL__N_130modified_bessel_k1_kernel_cudaERNS_18TensorIteratorBaseEENKUlvE_clEvENKUlvE_clEvEUldE_NS0_6memory8policies10vectorizedILi4ESt5arrayIPcLm2EELi4EEEEEvT0_T1_.num_agpr, .L_ZN2at6native25elementwise_kernel_helperILb0EZZZNS0_12_GLOBAL__N_130modified_bessel_k1_kernel_cudaERNS_18TensorIteratorBaseEENKUlvE_clEvENKUlvE_clEvEUldE_NS0_6memory8policies11unroll_baseILi256ESt5arrayIPcLm2EE23TrivialOffsetCalculatorILi1EjESF_NS8_15LoadWithoutCastENS8_16StoreWithoutCastELi4ELi1EEEEEvT0_T1_.num_agpr)
	.set _ZN2at6native29vectorized_elementwise_kernelILi4EZZZNS0_12_GLOBAL__N_130modified_bessel_k1_kernel_cudaERNS_18TensorIteratorBaseEENKUlvE_clEvENKUlvE_clEvEUldE_St5arrayIPcLm2EEEEviT0_T1_.numbered_sgpr, max(33, .L_ZN2at6native25elementwise_kernel_helperILb0EZZZNS0_12_GLOBAL__N_130modified_bessel_k1_kernel_cudaERNS_18TensorIteratorBaseEENKUlvE_clEvENKUlvE_clEvEUldE_NS0_6memory8policies10vectorizedILi4ESt5arrayIPcLm2EELi4EEEEEvT0_T1_.numbered_sgpr, .L_ZN2at6native25elementwise_kernel_helperILb0EZZZNS0_12_GLOBAL__N_130modified_bessel_k1_kernel_cudaERNS_18TensorIteratorBaseEENKUlvE_clEvENKUlvE_clEvEUldE_NS0_6memory8policies11unroll_baseILi256ESt5arrayIPcLm2EE23TrivialOffsetCalculatorILi1EjESF_NS8_15LoadWithoutCastENS8_16StoreWithoutCastELi4ELi1EEEEEvT0_T1_.numbered_sgpr)
	.set _ZN2at6native29vectorized_elementwise_kernelILi4EZZZNS0_12_GLOBAL__N_130modified_bessel_k1_kernel_cudaERNS_18TensorIteratorBaseEENKUlvE_clEvENKUlvE_clEvEUldE_St5arrayIPcLm2EEEEviT0_T1_.num_named_barrier, max(0, .L_ZN2at6native25elementwise_kernel_helperILb0EZZZNS0_12_GLOBAL__N_130modified_bessel_k1_kernel_cudaERNS_18TensorIteratorBaseEENKUlvE_clEvENKUlvE_clEvEUldE_NS0_6memory8policies10vectorizedILi4ESt5arrayIPcLm2EELi4EEEEEvT0_T1_.num_named_barrier, .L_ZN2at6native25elementwise_kernel_helperILb0EZZZNS0_12_GLOBAL__N_130modified_bessel_k1_kernel_cudaERNS_18TensorIteratorBaseEENKUlvE_clEvENKUlvE_clEvEUldE_NS0_6memory8policies11unroll_baseILi256ESt5arrayIPcLm2EE23TrivialOffsetCalculatorILi1EjESF_NS8_15LoadWithoutCastENS8_16StoreWithoutCastELi4ELi1EEEEEvT0_T1_.num_named_barrier)
	.set _ZN2at6native29vectorized_elementwise_kernelILi4EZZZNS0_12_GLOBAL__N_130modified_bessel_k1_kernel_cudaERNS_18TensorIteratorBaseEENKUlvE_clEvENKUlvE_clEvEUldE_St5arrayIPcLm2EEEEviT0_T1_.private_seg_size, 0+max(.L_ZN2at6native25elementwise_kernel_helperILb0EZZZNS0_12_GLOBAL__N_130modified_bessel_k1_kernel_cudaERNS_18TensorIteratorBaseEENKUlvE_clEvENKUlvE_clEvEUldE_NS0_6memory8policies10vectorizedILi4ESt5arrayIPcLm2EELi4EEEEEvT0_T1_.private_seg_size, .L_ZN2at6native25elementwise_kernel_helperILb0EZZZNS0_12_GLOBAL__N_130modified_bessel_k1_kernel_cudaERNS_18TensorIteratorBaseEENKUlvE_clEvENKUlvE_clEvEUldE_NS0_6memory8policies11unroll_baseILi256ESt5arrayIPcLm2EE23TrivialOffsetCalculatorILi1EjESF_NS8_15LoadWithoutCastENS8_16StoreWithoutCastELi4ELi1EEEEEvT0_T1_.private_seg_size)
	.set _ZN2at6native29vectorized_elementwise_kernelILi4EZZZNS0_12_GLOBAL__N_130modified_bessel_k1_kernel_cudaERNS_18TensorIteratorBaseEENKUlvE_clEvENKUlvE_clEvEUldE_St5arrayIPcLm2EEEEviT0_T1_.uses_vcc, or(1, .L_ZN2at6native25elementwise_kernel_helperILb0EZZZNS0_12_GLOBAL__N_130modified_bessel_k1_kernel_cudaERNS_18TensorIteratorBaseEENKUlvE_clEvENKUlvE_clEvEUldE_NS0_6memory8policies10vectorizedILi4ESt5arrayIPcLm2EELi4EEEEEvT0_T1_.uses_vcc, .L_ZN2at6native25elementwise_kernel_helperILb0EZZZNS0_12_GLOBAL__N_130modified_bessel_k1_kernel_cudaERNS_18TensorIteratorBaseEENKUlvE_clEvENKUlvE_clEvEUldE_NS0_6memory8policies11unroll_baseILi256ESt5arrayIPcLm2EE23TrivialOffsetCalculatorILi1EjESF_NS8_15LoadWithoutCastENS8_16StoreWithoutCastELi4ELi1EEEEEvT0_T1_.uses_vcc)
	.set _ZN2at6native29vectorized_elementwise_kernelILi4EZZZNS0_12_GLOBAL__N_130modified_bessel_k1_kernel_cudaERNS_18TensorIteratorBaseEENKUlvE_clEvENKUlvE_clEvEUldE_St5arrayIPcLm2EEEEviT0_T1_.uses_flat_scratch, or(0, .L_ZN2at6native25elementwise_kernel_helperILb0EZZZNS0_12_GLOBAL__N_130modified_bessel_k1_kernel_cudaERNS_18TensorIteratorBaseEENKUlvE_clEvENKUlvE_clEvEUldE_NS0_6memory8policies10vectorizedILi4ESt5arrayIPcLm2EELi4EEEEEvT0_T1_.uses_flat_scratch, .L_ZN2at6native25elementwise_kernel_helperILb0EZZZNS0_12_GLOBAL__N_130modified_bessel_k1_kernel_cudaERNS_18TensorIteratorBaseEENKUlvE_clEvENKUlvE_clEvEUldE_NS0_6memory8policies11unroll_baseILi256ESt5arrayIPcLm2EE23TrivialOffsetCalculatorILi1EjESF_NS8_15LoadWithoutCastENS8_16StoreWithoutCastELi4ELi1EEEEEvT0_T1_.uses_flat_scratch)
	.set _ZN2at6native29vectorized_elementwise_kernelILi4EZZZNS0_12_GLOBAL__N_130modified_bessel_k1_kernel_cudaERNS_18TensorIteratorBaseEENKUlvE_clEvENKUlvE_clEvEUldE_St5arrayIPcLm2EEEEviT0_T1_.has_dyn_sized_stack, or(0, .L_ZN2at6native25elementwise_kernel_helperILb0EZZZNS0_12_GLOBAL__N_130modified_bessel_k1_kernel_cudaERNS_18TensorIteratorBaseEENKUlvE_clEvENKUlvE_clEvEUldE_NS0_6memory8policies10vectorizedILi4ESt5arrayIPcLm2EELi4EEEEEvT0_T1_.has_dyn_sized_stack, .L_ZN2at6native25elementwise_kernel_helperILb0EZZZNS0_12_GLOBAL__N_130modified_bessel_k1_kernel_cudaERNS_18TensorIteratorBaseEENKUlvE_clEvENKUlvE_clEvEUldE_NS0_6memory8policies11unroll_baseILi256ESt5arrayIPcLm2EE23TrivialOffsetCalculatorILi1EjESF_NS8_15LoadWithoutCastENS8_16StoreWithoutCastELi4ELi1EEEEEvT0_T1_.has_dyn_sized_stack)
	.set _ZN2at6native29vectorized_elementwise_kernelILi4EZZZNS0_12_GLOBAL__N_130modified_bessel_k1_kernel_cudaERNS_18TensorIteratorBaseEENKUlvE_clEvENKUlvE_clEvEUldE_St5arrayIPcLm2EEEEviT0_T1_.has_recursion, or(0, .L_ZN2at6native25elementwise_kernel_helperILb0EZZZNS0_12_GLOBAL__N_130modified_bessel_k1_kernel_cudaERNS_18TensorIteratorBaseEENKUlvE_clEvENKUlvE_clEvEUldE_NS0_6memory8policies10vectorizedILi4ESt5arrayIPcLm2EELi4EEEEEvT0_T1_.has_recursion, .L_ZN2at6native25elementwise_kernel_helperILb0EZZZNS0_12_GLOBAL__N_130modified_bessel_k1_kernel_cudaERNS_18TensorIteratorBaseEENKUlvE_clEvENKUlvE_clEvEUldE_NS0_6memory8policies11unroll_baseILi256ESt5arrayIPcLm2EE23TrivialOffsetCalculatorILi1EjESF_NS8_15LoadWithoutCastENS8_16StoreWithoutCastELi4ELi1EEEEEvT0_T1_.has_recursion)
	.set _ZN2at6native29vectorized_elementwise_kernelILi4EZZZNS0_12_GLOBAL__N_130modified_bessel_k1_kernel_cudaERNS_18TensorIteratorBaseEENKUlvE_clEvENKUlvE_clEvEUldE_St5arrayIPcLm2EEEEviT0_T1_.has_indirect_call, or(0, .L_ZN2at6native25elementwise_kernel_helperILb0EZZZNS0_12_GLOBAL__N_130modified_bessel_k1_kernel_cudaERNS_18TensorIteratorBaseEENKUlvE_clEvENKUlvE_clEvEUldE_NS0_6memory8policies10vectorizedILi4ESt5arrayIPcLm2EELi4EEEEEvT0_T1_.has_indirect_call, .L_ZN2at6native25elementwise_kernel_helperILb0EZZZNS0_12_GLOBAL__N_130modified_bessel_k1_kernel_cudaERNS_18TensorIteratorBaseEENKUlvE_clEvENKUlvE_clEvEUldE_NS0_6memory8policies11unroll_baseILi256ESt5arrayIPcLm2EE23TrivialOffsetCalculatorILi1EjESF_NS8_15LoadWithoutCastENS8_16StoreWithoutCastELi4ELi1EEEEEvT0_T1_.has_indirect_call)
	.section	.AMDGPU.csdata,"",@progbits
; Kernel info:
; codeLenInByte = 184
; TotalNumSgprs: 35
; NumVgprs: 70
; ScratchSize: 0
; MemoryBound: 0
; FloatMode: 240
; IeeeMode: 1
; LDSByteSize: 0 bytes/workgroup (compile time only)
; SGPRBlocks: 0
; VGPRBlocks: 8
; NumSGPRsForWavesPerEU: 35
; NumVGPRsForWavesPerEU: 70
; Occupancy: 12
; WaveLimiterHint : 0
; COMPUTE_PGM_RSRC2:SCRATCH_EN: 0
; COMPUTE_PGM_RSRC2:USER_SGPR: 6
; COMPUTE_PGM_RSRC2:TRAP_HANDLER: 0
; COMPUTE_PGM_RSRC2:TGID_X_EN: 1
; COMPUTE_PGM_RSRC2:TGID_Y_EN: 0
; COMPUTE_PGM_RSRC2:TGID_Z_EN: 0
; COMPUTE_PGM_RSRC2:TIDIG_COMP_CNT: 0
	.section	.text._ZN2at6native29vectorized_elementwise_kernelILi2EZZZNS0_12_GLOBAL__N_130modified_bessel_k1_kernel_cudaERNS_18TensorIteratorBaseEENKUlvE_clEvENKUlvE_clEvEUldE_St5arrayIPcLm2EEEEviT0_T1_,"axG",@progbits,_ZN2at6native29vectorized_elementwise_kernelILi2EZZZNS0_12_GLOBAL__N_130modified_bessel_k1_kernel_cudaERNS_18TensorIteratorBaseEENKUlvE_clEvENKUlvE_clEvEUldE_St5arrayIPcLm2EEEEviT0_T1_,comdat
	.globl	_ZN2at6native29vectorized_elementwise_kernelILi2EZZZNS0_12_GLOBAL__N_130modified_bessel_k1_kernel_cudaERNS_18TensorIteratorBaseEENKUlvE_clEvENKUlvE_clEvEUldE_St5arrayIPcLm2EEEEviT0_T1_ ; -- Begin function _ZN2at6native29vectorized_elementwise_kernelILi2EZZZNS0_12_GLOBAL__N_130modified_bessel_k1_kernel_cudaERNS_18TensorIteratorBaseEENKUlvE_clEvENKUlvE_clEvEUldE_St5arrayIPcLm2EEEEviT0_T1_
	.p2align	8
	.type	_ZN2at6native29vectorized_elementwise_kernelILi2EZZZNS0_12_GLOBAL__N_130modified_bessel_k1_kernel_cudaERNS_18TensorIteratorBaseEENKUlvE_clEvENKUlvE_clEvEUldE_St5arrayIPcLm2EEEEviT0_T1_,@function
_ZN2at6native29vectorized_elementwise_kernelILi2EZZZNS0_12_GLOBAL__N_130modified_bessel_k1_kernel_cudaERNS_18TensorIteratorBaseEENKUlvE_clEvENKUlvE_clEvEUldE_St5arrayIPcLm2EEEEviT0_T1_: ; @_ZN2at6native29vectorized_elementwise_kernelILi2EZZZNS0_12_GLOBAL__N_130modified_bessel_k1_kernel_cudaERNS_18TensorIteratorBaseEENKUlvE_clEvENKUlvE_clEvEUldE_St5arrayIPcLm2EEEEviT0_T1_
; %bb.0:
	s_add_u32 s0, s0, s7
	s_clause 0x1
	s_load_dword s7, s[4:5], 0x0
	s_load_dwordx4 s[8:11], s[4:5], 0x8
	s_addc_u32 s1, s1, 0
	s_lshl_b32 s4, s6, 10
	s_mov_b32 s5, -1
	s_mov_b32 s32, 0
	s_waitcnt lgkmcnt(0)
	s_sub_i32 s7, s7, s4
	s_cmpk_gt_i32 s7, 0x3ff
	s_cbranch_scc1 .LBB5_3
; %bb.1:
	s_and_b32 vcc_lo, exec_lo, s5
	s_cbranch_vccnz .LBB5_36
.LBB5_2:
	s_endpgm
.LBB5_3:
	s_ashr_i32 s5, s4, 31
	v_lshlrev_b32_e32 v13, 4, v0
	s_lshl_b64 s[12:13], s[4:5], 3
	v_mov_b32_e32 v3, 0
	s_add_u32 s4, s10, s12
	s_addc_u32 s5, s11, s13
	v_mov_b32_e32 v4, 0x7ff00000
	global_load_dwordx4 v[9:12], v13, s[4:5]
	v_add_co_u32 v1, s4, s4, v13
	v_add_co_ci_u32_e64 v2, null, s5, 0, s4
	s_mov_b32 s14, exec_lo
	v_add_co_u32 v1, vcc_lo, 0x1000, v1
	v_add_co_ci_u32_e64 v2, null, 0, v2, vcc_lo
	global_load_dwordx4 v[5:8], v[1:2], off
	v_mov_b32_e32 v1, 0
	v_mov_b32_e32 v2, 0x7ff00000
	s_waitcnt vmcnt(1)
	v_cmpx_neq_f64_e32 0, v[9:10]
	s_cbranch_execz .LBB5_11
; %bb.4:
	v_mov_b32_e32 v1, 0
	v_mov_b32_e32 v2, 0x7ff80000
	s_mov_b32 s15, exec_lo
	v_cmpx_ngt_f64_e32 0, v[9:10]
	s_cbranch_execz .LBB5_10
; %bb.5:
	s_mov_b32 s4, exec_lo
	v_cmpx_ge_f64_e32 2.0, v[9:10]
	s_xor_b32 s16, exec_lo, s4
	s_cbranch_execz .LBB5_7
; %bb.6:
	v_fma_f64 v[1:2], v[9:10], 0.5, -2.0
	s_mov_b32 s4, 0xc38a0576
	s_mov_b32 s5, 0xbc7857d0
	;; [unrolled: 1-line block ×4, first 2 shown]
	v_mul_f64 v[18:19], v[9:10], 0.5
	v_fma_f64 v[34:35], v[9:10], v[9:10], -2.0
	s_mov_b32 s21, 0xbc603228
	s_mov_b32 s20, 0x3d3cda56
	;; [unrolled: 1-line block ×4, first 2 shown]
	v_fma_f64 v[14:15], v[1:2], s[18:19], s[4:5]
	s_mov_b32 s19, 0xbc499f2a
	s_mov_b32 s4, 0xe593bfac
	s_mov_b32 s5, 0x3ca663e3
	v_frexp_mant_f64_e32 v[20:21], v[18:19]
	v_frexp_exp_i32_f64_e32 v38, v[18:19]
	v_fma_f64 v[16:17], v[1:2], v[14:15], s[18:19]
	s_mov_b32 s18, 0x97eb07de
	s_mov_b32 s19, 0xbdd25103
	v_add_f64 v[16:17], v[16:17], s[4:5]
	s_mov_b32 s4, 0x7e0d1573
	s_mov_b32 s5, 0xbcd3eaaa
	v_fma_f64 v[14:15], v[1:2], v[16:17], -v[14:15]
	v_add_f64 v[14:15], v[14:15], s[4:5]
	s_mov_b32 s4, 0x615290c
	s_mov_b32 s5, 0x3d011d7f
	v_fma_f64 v[16:17], v[1:2], v[14:15], -v[16:17]
	;; [unrolled: 4-line block ×6, first 2 shown]
	v_add_f64 v[16:17], v[16:17], s[4:5]
	s_mov_b32 s5, 0x3fe55555
	s_mov_b32 s4, 0x55555555
	v_cmp_gt_f64_e32 vcc_lo, s[4:5], v[20:21]
	s_mov_b32 s4, 0x55555780
	v_fma_f64 v[14:15], v[1:2], v[16:17], -v[14:15]
	v_cndmask_b32_e64 v22, 0, 1, vcc_lo
	v_ldexp_f64 v[20:21], v[20:21], v22
	v_add_f64 v[14:15], v[14:15], s[18:19]
	s_mov_b32 s18, 0xb43fdf6c
	s_mov_b32 s19, 0x3df8ea34
	v_add_f64 v[22:23], v[20:21], 1.0
	v_add_f64 v[28:29], v[20:21], -1.0
	v_fma_f64 v[16:17], v[1:2], v[14:15], -v[16:17]
	v_rcp_f64_e32 v[24:25], v[22:23]
	v_add_f64 v[30:31], v[22:23], -1.0
	v_add_f64 v[16:17], v[16:17], s[18:19]
	s_mov_b32 s18, 0x28ea67e6
	s_mov_b32 s19, 0xbe20361b
	v_add_f64 v[20:21], v[20:21], -v[30:31]
	v_fma_f64 v[26:27], -v[22:23], v[24:25], 1.0
	v_fma_f64 v[14:15], v[1:2], v[16:17], -v[14:15]
	v_fma_f64 v[24:25], v[26:27], v[24:25], v[24:25]
	v_add_f64 v[14:15], v[14:15], s[18:19]
	s_mov_b32 s18, 0x2395010
	s_mov_b32 s19, 0x3e44258e
	v_fma_f64 v[26:27], -v[22:23], v[24:25], 1.0
	v_fma_f64 v[16:17], v[1:2], v[14:15], -v[16:17]
	v_fma_f64 v[24:25], v[26:27], v[24:25], v[24:25]
	v_add_f64 v[16:17], v[16:17], s[18:19]
	s_mov_b32 s18, 0x24b8c3e8
	s_mov_b32 s19, 0xbe67dd3e
	v_mul_f64 v[26:27], v[28:29], v[24:25]
	v_fma_f64 v[14:15], v[1:2], v[16:17], -v[14:15]
	v_mul_f64 v[32:33], v[22:23], v[26:27]
	v_add_f64 v[14:15], v[14:15], s[18:19]
	s_mov_b32 s18, 0xb347d108
	s_mov_b32 s19, 0x3e8ae344
	v_fma_f64 v[22:23], v[26:27], v[22:23], -v[32:33]
	v_fma_f64 v[16:17], v[1:2], v[14:15], -v[16:17]
	v_fma_f64 v[20:21], v[26:27], v[20:21], v[22:23]
	v_add_f64 v[16:17], v[16:17], s[18:19]
	s_mov_b32 s18, 0x7a0399e0
	s_mov_b32 s19, 0xbce5dd51
	v_fma_f64 v[36:37], v[34:35], s[20:21], s[18:19]
	s_mov_b32 s21, 0x3c603228
	s_mov_b32 s18, 0xddd0e045
	;; [unrolled: 1-line block ×3, first 2 shown]
	v_add_f64 v[22:23], v[32:33], v[20:21]
	v_fma_f64 v[14:15], v[1:2], v[16:17], -v[14:15]
	v_add_f64 v[30:31], v[28:29], -v[22:23]
	v_add_f64 v[32:33], v[22:23], -v[32:33]
	v_add_f64 v[14:15], v[14:15], s[22:23]
	s_mov_b32 s22, 0xd3d694fe
	s_mov_b32 s23, 0xbf2533ca
	v_add_f64 v[28:29], v[28:29], -v[30:31]
	v_add_f64 v[20:21], v[32:33], -v[20:21]
	v_fma_f64 v[16:17], v[1:2], v[14:15], -v[16:17]
	v_add_f64 v[22:23], v[28:29], -v[22:23]
	v_fma_f64 v[28:29], v[34:35], v[36:37], s[20:21]
	s_mov_b32 s20, 0xd511afc5
	s_mov_b32 s21, 0x3ecd1c4e
	v_add_f64 v[16:17], v[16:17], s[20:21]
	s_mov_b32 s20, 0xb8debbcf
	s_mov_b32 s21, 0xbeebd5f9
	v_add_f64 v[20:21], v[20:21], v[22:23]
	v_add_f64 v[22:23], v[28:29], s[18:19]
	s_mov_b32 s18, 0xb84626ca
	s_mov_b32 s19, 0xbde3663b
	v_fma_f64 v[14:15], v[1:2], v[16:17], -v[14:15]
	v_add_f64 v[20:21], v[30:31], v[20:21]
	v_fma_f64 v[28:29], v[34:35], v[22:23], -v[36:37]
	v_add_f64 v[14:15], v[14:15], s[20:21]
	s_mov_b32 s20, 0x42c70d0b
	s_mov_b32 s21, 0x3f0911b5
	v_mul_f64 v[20:21], v[24:25], v[20:21]
	v_add_f64 v[24:25], v[28:29], s[18:19]
	s_mov_b32 s18, 0x145c31d0
	s_mov_b32 s19, 0xbe57c41d
	v_fma_f64 v[16:17], v[1:2], v[14:15], -v[16:17]
	v_add_f64 v[28:29], v[26:27], v[20:21]
	v_fma_f64 v[22:23], v[34:35], v[24:25], -v[22:23]
	v_add_f64 v[16:17], v[16:17], s[20:21]
	s_mov_b32 s20, 0xbf559e2b
	s_mov_b32 s21, 0x3fc3ab76
	v_mul_f64 v[30:31], v[28:29], v[28:29]
	v_add_f64 v[22:23], v[22:23], s[18:19]
	s_mov_b32 s18, 0x6b47b09a
	s_mov_b32 s19, 0x3fc38538
	v_add_f64 v[26:27], v[28:29], -v[26:27]
	v_fma_f64 v[14:15], v[1:2], v[16:17], -v[14:15]
	v_fma_f64 v[32:33], v[30:31], s[20:21], s[18:19]
	v_fma_f64 v[24:25], v[34:35], v[22:23], -v[24:25]
	s_mov_b32 s18, 0x2c832e3a
	s_mov_b32 s19, 0xbec469b3
	;; [unrolled: 1-line block ×4, first 2 shown]
	v_mul_f64 v[36:37], v[28:29], v[30:31]
	v_add_f64 v[20:21], v[20:21], -v[26:27]
	v_add_f64 v[14:15], v[14:15], s[22:23]
	s_mov_b32 s22, 0xb6c6df7d
	s_mov_b32 s23, 0x3f40c95d
	v_fma_f64 v[32:33], v[30:31], v[32:33], s[20:21]
	v_add_f64 v[24:25], v[24:25], s[18:19]
	s_mov_b32 s18, 0x16291751
	s_mov_b32 s19, 0x3fcc71c0
	;; [unrolled: 1-line block ×4, first 2 shown]
	v_ldexp_f64 v[20:21], v[20:21], 1
	v_fma_f64 v[16:17], v[1:2], v[14:15], -v[16:17]
	v_fma_f64 v[32:33], v[30:31], v[32:33], s[18:19]
	v_fma_f64 v[22:23], v[34:35], v[24:25], -v[22:23]
	s_mov_b32 s18, 0xe5a3bd02
	s_mov_b32 s19, 0xbf26ade2
	v_add_f64 v[16:17], v[16:17], s[22:23]
	s_mov_b32 s22, 0xe7bb2349
	s_mov_b32 s23, 0x3f9951e3
	v_fma_f64 v[32:33], v[30:31], v[32:33], s[20:21]
	v_add_f64 v[22:23], v[22:23], s[18:19]
	s_mov_b32 s18, 0x998ef7b6
	s_mov_b32 s19, 0x3fd99999
	;; [unrolled: 1-line block ×4, first 2 shown]
	v_fma_f64 v[14:15], v[1:2], v[16:17], -v[14:15]
	v_fma_f64 v[32:33], v[30:31], v[32:33], s[18:19]
	v_fma_f64 v[24:25], v[34:35], v[22:23], -v[24:25]
	s_mov_b32 s18, 0x9d7d4192
	s_mov_b32 s19, 0xbf7c9293
	v_add_f64 v[14:15], v[14:15], s[20:21]
	s_mov_b32 s20, 0x49d3a1b4
	s_mov_b32 s21, 0x3f710653
	v_fma_f64 v[30:31], v[30:31], v[32:33], s[4:5]
	v_add_f64 v[24:25], v[24:25], s[18:19]
	v_ldexp_f64 v[32:33], v[28:29], 1
	s_mov_b32 s4, 0x43c1db74
	s_mov_b32 s5, 0xbfbf6372
	;; [unrolled: 1-line block ×4, first 2 shown]
	v_fma_f64 v[16:17], v[1:2], v[14:15], -v[16:17]
	v_mul_f64 v[30:31], v[36:37], v[30:31]
	v_fma_f64 v[22:23], v[34:35], v[24:25], -v[22:23]
	v_subrev_co_ci_u32_e64 v36, null, 0, v38, vcc_lo
	v_mul_f64 v[38:39], v[9:10], s[18:19]
	s_mov_b32 s18, 0x757b0dd4
	s_mov_b32 s19, 0xbfd69a1b
	v_cvt_f64_i32_e32 v[36:37], v36
	v_add_f64 v[16:17], v[16:17], s[20:21]
	s_mov_b32 s20, 0x7913a26a
	s_mov_b32 s21, 0xbf85a29f
	v_add_f64 v[28:29], v[32:33], v[30:31]
	v_add_f64 v[22:23], v[22:23], s[4:5]
	s_mov_b32 s5, 0x3fe62e42
	s_mov_b32 s4, 0xfefa39ef
	v_mul_f64 v[40:41], v[36:37], s[4:5]
	v_fma_f64 v[14:15], v[1:2], v[16:17], -v[14:15]
	v_add_f64 v[26:27], v[28:29], -v[32:33]
	v_fma_f64 v[24:25], v[34:35], v[22:23], -v[24:25]
	v_rndne_f64_e32 v[32:33], v[38:39]
	v_fma_f64 v[38:39], v[36:37], s[4:5], -v[40:41]
	s_mov_b32 s5, 0xbfe62e42
	v_add_f64 v[14:15], v[14:15], s[20:21]
	s_mov_b32 s20, 0x6a5dcb37
	s_mov_b32 s21, 0x3e5ade15
	v_add_f64 v[26:27], v[30:31], -v[26:27]
	v_add_f64 v[24:25], v[24:25], s[18:19]
	v_fma_f64 v[30:31], v[32:33], s[4:5], v[9:10]
	s_mov_b32 s5, 0x3c7abc9e
	s_mov_b32 s4, 0x3b39803f
	;; [unrolled: 1-line block ×4, first 2 shown]
	v_fma_f64 v[36:37], v[36:37], s[4:5], v[38:39]
	s_mov_b32 s5, 0xbc7abc9e
	v_fma_f64 v[16:17], v[1:2], v[14:15], -v[16:17]
	v_add_f64 v[20:21], v[20:21], v[26:27]
	v_fma_f64 v[24:25], v[34:35], v[24:25], -v[22:23]
	v_fma_f64 v[26:27], v[32:33], s[4:5], v[30:31]
	s_mov_b32 s4, 0x361008ca
	s_mov_b32 s5, 0x3ff867a1
	v_add_f64 v[30:31], v[40:41], v[36:37]
	v_add_f64 v[16:17], v[16:17], s[22:23]
	;; [unrolled: 1-line block ×4, first 2 shown]
	v_fma_f64 v[38:39], v[26:27], s[20:21], s[18:19]
	s_mov_b32 s4, 0x623fde64
	s_mov_b32 s5, 0x3ec71dee
	;; [unrolled: 1-line block ×4, first 2 shown]
	v_add_f64 v[40:41], v[30:31], -v[40:41]
	v_fma_f64 v[14:15], v[1:2], v[16:17], -v[14:15]
	v_add_f64 v[42:43], v[30:31], v[34:35]
	v_add_f64 v[22:23], v[24:25], -v[22:23]
	v_fma_f64 v[38:39], v[26:27], v[38:39], s[4:5]
	s_mov_b32 s4, 0x7c89e6b0
	s_mov_b32 s5, 0x3efa0199
	v_add_f64 v[28:29], v[34:35], -v[28:29]
	v_add_f64 v[36:37], v[36:37], -v[40:41]
	v_add_f64 v[14:15], v[14:15], s[18:19]
	s_mov_b32 s18, 0xd536f53c
	s_mov_b32 s19, 0x3fba46da
	v_add_f64 v[24:25], v[42:43], -v[30:31]
	v_mul_f64 v[22:23], v[22:23], 0.5
	v_fma_f64 v[38:39], v[26:27], v[38:39], s[4:5]
	s_mov_b32 s4, 0x14761f6e
	s_mov_b32 s5, 0x3f2a01a0
	v_add_f64 v[20:21], v[20:21], -v[28:29]
	v_fma_f64 v[16:17], v[1:2], v[14:15], -v[16:17]
	v_add_f64 v[44:45], v[42:43], -v[24:25]
	v_div_scale_f64 v[46:47], null, v[9:10], v[9:10], v[22:23]
	v_fma_f64 v[38:39], v[26:27], v[38:39], s[4:5]
	s_mov_b32 s4, 0x1852b7b0
	s_mov_b32 s5, 0x3f56c16c
	v_add_f64 v[24:25], v[34:35], -v[24:25]
	v_add_f64 v[16:17], v[16:17], s[18:19]
	s_mov_b32 s18, 0x469192e
	s_mov_b32 s19, 0xbfc694d1
	v_add_f64 v[28:29], v[30:31], -v[44:45]
	v_rcp_f64_e32 v[34:35], v[46:47]
	v_fma_f64 v[30:31], v[26:27], v[38:39], s[4:5]
	s_mov_b32 s4, 0x11122322
	s_mov_b32 s5, 0x3f811111
	v_add_f64 v[38:39], v[36:37], v[20:21]
	v_fma_f64 v[14:15], v[1:2], v[16:17], -v[14:15]
	v_add_f64 v[24:25], v[24:25], v[28:29]
	v_fma_f64 v[28:29], v[26:27], v[30:31], s[4:5]
	v_fma_f64 v[30:31], -v[46:47], v[34:35], 1.0
	s_mov_b32 s4, 0x555502a1
	s_mov_b32 s5, 0x3fa55555
	v_add_f64 v[40:41], v[38:39], -v[36:37]
	v_add_f64 v[14:15], v[14:15], s[18:19]
	s_mov_b32 s18, 0x724a7ffa
	s_mov_b32 s19, 0x3fd02a63
	v_add_f64 v[24:25], v[38:39], v[24:25]
	v_fma_f64 v[28:29], v[26:27], v[28:29], s[4:5]
	v_fma_f64 v[30:31], v[34:35], v[30:31], v[34:35]
	s_mov_b32 s4, 0x55555511
	s_mov_b32 s5, 0x3fc55555
	v_add_f64 v[34:35], v[38:39], -v[40:41]
	v_add_f64 v[20:21], v[20:21], -v[40:41]
	v_div_scale_f64 v[40:41], vcc_lo, v[22:23], v[9:10], v[22:23]
	v_fma_f64 v[1:2], v[1:2], v[14:15], -v[16:17]
	v_add_f64 v[38:39], v[42:43], v[24:25]
	v_fma_f64 v[28:29], v[26:27], v[28:29], s[4:5]
	v_fma_f64 v[14:15], -v[46:47], v[30:31], 1.0
	s_mov_b32 s4, 11
	s_mov_b32 s5, 0x3fe00000
	v_add_f64 v[34:35], v[36:37], -v[34:35]
	v_add_f64 v[1:2], v[1:2], s[18:19]
	v_add_f64 v[36:37], v[38:39], -v[42:43]
	v_fma_f64 v[28:29], v[26:27], v[28:29], s[4:5]
	v_fma_f64 v[14:15], v[30:31], v[14:15], v[30:31]
	v_cvt_i32_f64_e32 v30, v[32:33]
	v_cmp_neq_f64_e64 s4, 0, v[18:19]
	v_add_f64 v[20:21], v[20:21], v[34:35]
	v_add_f64 v[1:2], v[1:2], -v[16:17]
	v_add_f64 v[24:25], v[24:25], -v[36:37]
	v_fma_f64 v[28:29], v[26:27], v[28:29], 1.0
	v_mul_f64 v[16:17], v[40:41], v[14:15]
	v_mul_f64 v[1:2], v[1:2], 0.5
	v_add_f64 v[20:21], v[20:21], v[24:25]
	v_fma_f64 v[24:25], v[26:27], v[28:29], 1.0
	v_fma_f64 v[26:27], -v[46:47], v[16:17], v[40:41]
	v_mul_f64 v[1:2], v[9:10], v[1:2]
	v_add_f64 v[20:21], v[38:39], v[20:21]
	v_ldexp_f64 v[24:25], v[24:25], v30
	v_div_fmas_f64 v[14:15], v[26:27], v[14:15], v[16:17]
	v_cmp_neq_f64_e32 vcc_lo, 0x7ff00000, v[18:19]
	v_mul_f64 v[1:2], v[24:25], v[1:2]
	v_div_fixup_f64 v[9:10], v[14:15], v[9:10], v[22:23]
	v_cndmask_b32_e32 v16, 0x7ff00000, v21, vcc_lo
	s_and_b32 vcc_lo, s4, vcc_lo
	v_cndmask_b32_e32 v14, 0, v20, vcc_lo
	v_cndmask_b32_e64 v15, 0xfff00000, v16, s4
	v_fma_f64 v[1:2], v[14:15], v[1:2], v[9:10]
.LBB5_7:
	s_andn2_saveexec_b32 s5, s16
	s_cbranch_execz .LBB5_9
; %bb.8:
	v_div_scale_f64 v[1:2], null, v[9:10], v[9:10], 0x40200000
	v_div_scale_f64 v[18:19], vcc_lo, 0x40200000, v[9:10], 0x40200000
	s_mov_b32 s16, 0x838f5ed3
	s_mov_b32 s17, 0x3c74af1a
	;; [unrolled: 1-line block ×4, first 2 shown]
	v_cmp_nlt_f64_e64 s4, 0x4090cc00, v[9:10]
	v_rcp_f64_e32 v[14:15], v[1:2]
	v_fma_f64 v[16:17], -v[1:2], v[14:15], 1.0
	v_fma_f64 v[14:15], v[14:15], v[16:17], v[14:15]
	v_fma_f64 v[16:17], -v[1:2], v[14:15], 1.0
	v_fma_f64 v[14:15], v[14:15], v[16:17], v[14:15]
	v_mul_f64 v[16:17], v[18:19], v[14:15]
	v_fma_f64 v[1:2], -v[1:2], v[16:17], v[18:19]
	v_div_fmas_f64 v[1:2], v[1:2], v[14:15], v[16:17]
	v_cmp_gt_f64_e32 vcc_lo, 0x10000000, v[9:10]
	v_div_fixup_f64 v[1:2], v[1:2], v[9:10], 0x40200000
	v_cndmask_b32_e64 v24, 0, 0x100, vcc_lo
	v_ldexp_f64 v[24:25], v[9:10], v24
	v_add_f64 v[1:2], v[1:2], -2.0
	v_rsq_f64_e32 v[26:27], v[24:25]
	v_fma_f64 v[14:15], v[1:2], s[18:19], s[16:17]
	s_mov_b32 s19, 0x3c5a8c5d
	s_mov_b32 s16, 0x17771d52
	;; [unrolled: 1-line block ×3, first 2 shown]
	v_mul_f64 v[28:29], v[24:25], v[26:27]
	v_mul_f64 v[26:27], v[26:27], 0.5
	v_fma_f64 v[16:17], v[1:2], v[14:15], s[18:19]
	s_mov_b32 s18, 0x6a5dcb37
	s_mov_b32 s19, 0x3e5ade15
	v_fma_f64 v[30:31], -v[26:27], v[28:29], 0.5
	v_add_f64 v[16:17], v[16:17], s[16:17]
	s_mov_b32 s16, 0x44ee2c0b
	s_mov_b32 s17, 0x3caa7d5e
	v_fma_f64 v[28:29], v[28:29], v[30:31], v[28:29]
	v_fma_f64 v[26:27], v[26:27], v[30:31], v[26:27]
	v_fma_f64 v[14:15], v[1:2], v[16:17], -v[14:15]
	v_fma_f64 v[30:31], -v[28:29], v[28:29], v[24:25]
	v_add_f64 v[14:15], v[14:15], s[16:17]
	s_mov_b32 s16, 0xd8758ef2
	s_mov_b32 s17, 0xbcc5d2a3
	v_fma_f64 v[16:17], v[1:2], v[14:15], -v[16:17]
	v_add_f64 v[16:17], v[16:17], s[16:17]
	s_mov_b32 s16, 0xefee81bd
	s_mov_b32 s17, 0x3ce25ced
	v_fma_f64 v[14:15], v[1:2], v[16:17], -v[14:15]
	v_add_f64 v[14:15], v[14:15], s[16:17]
	s_mov_b32 s16, 0x364185ab
	s_mov_b32 s17, 0xbcff9d52
	v_fma_f64 v[16:17], v[1:2], v[14:15], -v[16:17]
	v_add_f64 v[16:17], v[16:17], s[16:17]
	s_mov_b32 s16, 0x59151f65
	s_mov_b32 s17, 0x3d1be3e9
	v_fma_f64 v[14:15], v[1:2], v[16:17], -v[14:15]
	v_add_f64 v[14:15], v[14:15], s[16:17]
	s_mov_b32 s16, 0xd4cbcfb3
	s_mov_b32 s17, 0xbd394465
	v_fma_f64 v[16:17], v[1:2], v[14:15], -v[16:17]
	v_add_f64 v[16:17], v[16:17], s[16:17]
	s_mov_b32 s16, 0x40ab0b1
	s_mov_b32 s17, 0x3d578ffa
	v_fma_f64 v[14:15], v[1:2], v[16:17], -v[14:15]
	v_add_f64 v[14:15], v[14:15], s[16:17]
	s_mov_b32 s16, 0x61fc88f8
	s_mov_b32 s17, 0xbd76adec
	v_fma_f64 v[16:17], v[1:2], v[14:15], -v[16:17]
	v_add_f64 v[16:17], v[16:17], s[16:17]
	s_mov_b32 s16, 0x46c04f10
	s_mov_b32 s17, 0x3d969ab8
	v_fma_f64 v[14:15], v[1:2], v[16:17], -v[14:15]
	v_add_f64 v[14:15], v[14:15], s[16:17]
	s_mov_b32 s16, 0x9401ce7b
	s_mov_b32 s17, 0xbdb76b53
	v_fma_f64 v[16:17], v[1:2], v[14:15], -v[16:17]
	v_add_f64 v[16:17], v[16:17], s[16:17]
	s_mov_b32 s16, 0x8a42f6a
	s_mov_b32 s17, 0x3dd956d0
	v_fma_f64 v[14:15], v[1:2], v[16:17], -v[14:15]
	v_add_f64 v[14:15], v[14:15], s[16:17]
	s_mov_b32 s16, 0x365cf27
	s_mov_b32 s17, 0xbdfccbc0
	v_fma_f64 v[16:17], v[1:2], v[14:15], -v[16:17]
	v_add_f64 v[16:17], v[16:17], s[16:17]
	s_mov_b32 s16, 0x2a73d24e
	s_mov_b32 s17, 0x3e214f24
	v_fma_f64 v[14:15], v[1:2], v[16:17], -v[14:15]
	v_add_f64 v[14:15], v[14:15], s[16:17]
	s_mov_b32 s16, 0x9fe1e088
	s_mov_b32 s17, 0xbe4637a4
	v_fma_f64 v[16:17], v[1:2], v[14:15], -v[16:17]
	v_add_f64 v[16:17], v[16:17], s[16:17]
	s_mov_b32 s16, 0x668fc461
	s_mov_b32 s17, 0x3e6ed27c
	v_fma_f64 v[14:15], v[1:2], v[16:17], -v[14:15]
	v_add_f64 v[14:15], v[14:15], s[16:17]
	s_mov_b32 s16, 0x652b82fe
	s_mov_b32 s17, 0xbff71547
	v_mul_f64 v[18:19], v[9:10], s[16:17]
	s_mov_b32 s16, 0x8fada5c6
	s_mov_b32 s17, 0xbe978052
	v_fma_f64 v[16:17], v[1:2], v[14:15], -v[16:17]
	v_rndne_f64_e32 v[18:19], v[18:19]
	v_add_f64 v[16:17], v[16:17], s[16:17]
	s_mov_b32 s16, 0xfefa39ef
	s_mov_b32 s17, 0xbfe62e42
	v_fma_f64 v[20:21], v[18:19], s[16:17], -v[9:10]
	s_mov_b32 s16, 0x3b39803f
	s_mov_b32 s17, 0xbc7abc9e
	v_cndmask_b32_e64 v9, 0, 0xffffff80, vcc_lo
	v_cmp_class_f64_e64 vcc_lo, v[24:25], 0x260
	v_fma_f64 v[14:15], v[1:2], v[16:17], -v[14:15]
	v_fma_f64 v[20:21], v[18:19], s[16:17], v[20:21]
	s_mov_b32 s16, 0x1752d1b6
	s_mov_b32 s17, 0x3ec42fe3
	v_add_f64 v[14:15], v[14:15], s[16:17]
	s_mov_b32 s16, 0xfca7ab0c
	s_mov_b32 s17, 0x3e928af3
	v_fma_f64 v[22:23], v[20:21], s[18:19], s[16:17]
	s_mov_b32 s16, 0x623fde64
	s_mov_b32 s17, 0x3ec71dee
	v_fma_f64 v[16:17], v[1:2], v[14:15], -v[16:17]
	v_fma_f64 v[22:23], v[20:21], v[22:23], s[16:17]
	s_mov_b32 s16, 0x1dcdb2e5
	s_mov_b32 s17, 0xbef44d71
	v_add_f64 v[16:17], v[16:17], s[16:17]
	s_mov_b32 s16, 0x7c89e6b0
	s_mov_b32 s17, 0x3efa0199
	v_fma_f64 v[22:23], v[20:21], v[22:23], s[16:17]
	s_mov_b32 s16, 0x14761f6e
	s_mov_b32 s17, 0x3f2a01a0
	;; [unrolled: 10-line block ×5, first 2 shown]
	v_fma_f64 v[1:2], v[1:2], v[14:15], -v[16:17]
	v_fma_f64 v[14:15], v[30:31], v[26:27], v[28:29]
	v_cvt_i32_f64_e32 v30, v[18:19]
	v_fma_f64 v[22:23], v[20:21], v[22:23], 1.0
	v_add_f64 v[1:2], v[1:2], s[16:17]
	v_fma_f64 v[28:29], -v[14:15], v[14:15], v[24:25]
	v_fma_f64 v[18:19], v[20:21], v[22:23], 1.0
	v_add_f64 v[1:2], v[1:2], -v[16:17]
	v_fma_f64 v[14:15], v[28:29], v[26:27], v[14:15]
	v_ldexp_f64 v[16:17], v[18:19], v30
	v_mul_f64 v[1:2], v[1:2], 0.5
	v_ldexp_f64 v[9:10], v[14:15], v9
	v_cndmask_b32_e64 v15, 0, v17, s4
	v_cndmask_b32_e64 v14, 0, v16, s4
	v_mul_f64 v[1:2], v[14:15], v[1:2]
	v_cndmask_b32_e32 v10, v10, v25, vcc_lo
	v_cndmask_b32_e32 v9, v9, v24, vcc_lo
	v_div_scale_f64 v[14:15], null, v[9:10], v[9:10], v[1:2]
	v_rcp_f64_e32 v[16:17], v[14:15]
	v_fma_f64 v[18:19], -v[14:15], v[16:17], 1.0
	v_fma_f64 v[16:17], v[16:17], v[18:19], v[16:17]
	v_fma_f64 v[18:19], -v[14:15], v[16:17], 1.0
	v_fma_f64 v[16:17], v[16:17], v[18:19], v[16:17]
	v_div_scale_f64 v[18:19], vcc_lo, v[1:2], v[9:10], v[1:2]
	v_mul_f64 v[20:21], v[18:19], v[16:17]
	v_fma_f64 v[14:15], -v[14:15], v[20:21], v[18:19]
	v_div_fmas_f64 v[14:15], v[14:15], v[16:17], v[20:21]
	v_div_fixup_f64 v[1:2], v[14:15], v[9:10], v[1:2]
.LBB5_9:
	s_or_b32 exec_lo, exec_lo, s5
.LBB5_10:
	s_or_b32 exec_lo, exec_lo, s15
.LBB5_11:
	s_or_b32 exec_lo, exec_lo, s14
	s_mov_b32 s14, exec_lo
	v_cmpx_neq_f64_e32 0, v[11:12]
	s_cbranch_execz .LBB5_19
; %bb.12:
	v_mov_b32_e32 v3, 0
	v_mov_b32_e32 v4, 0x7ff80000
	s_mov_b32 s15, exec_lo
	v_cmpx_ngt_f64_e32 0, v[11:12]
	s_cbranch_execz .LBB5_18
; %bb.13:
	s_mov_b32 s4, exec_lo
	v_cmpx_ge_f64_e32 2.0, v[11:12]
	s_xor_b32 s16, exec_lo, s4
	s_cbranch_execz .LBB5_15
; %bb.14:
	v_fma_f64 v[3:4], v[11:12], 0.5, -2.0
	s_mov_b32 s4, 0xc38a0576
	s_mov_b32 s5, 0xbc7857d0
	;; [unrolled: 1-line block ×4, first 2 shown]
	v_mul_f64 v[16:17], v[11:12], 0.5
	v_fma_f64 v[32:33], v[11:12], v[11:12], -2.0
	s_mov_b32 s21, 0xbc603228
	s_mov_b32 s20, 0x3d3cda56
	;; [unrolled: 1-line block ×4, first 2 shown]
	v_fma_f64 v[9:10], v[3:4], s[18:19], s[4:5]
	s_mov_b32 s19, 0xbc499f2a
	s_mov_b32 s4, 0xe593bfac
	;; [unrolled: 1-line block ×3, first 2 shown]
	v_frexp_mant_f64_e32 v[18:19], v[16:17]
	v_frexp_exp_i32_f64_e32 v36, v[16:17]
	v_fma_f64 v[14:15], v[3:4], v[9:10], s[18:19]
	s_mov_b32 s18, 0x97eb07de
	s_mov_b32 s19, 0xbdd25103
	v_add_f64 v[14:15], v[14:15], s[4:5]
	s_mov_b32 s4, 0x7e0d1573
	s_mov_b32 s5, 0xbcd3eaaa
	v_fma_f64 v[9:10], v[3:4], v[14:15], -v[9:10]
	v_add_f64 v[9:10], v[9:10], s[4:5]
	s_mov_b32 s4, 0x615290c
	s_mov_b32 s5, 0x3d011d7f
	v_fma_f64 v[14:15], v[3:4], v[9:10], -v[14:15]
	;; [unrolled: 4-line block ×6, first 2 shown]
	v_add_f64 v[14:15], v[14:15], s[4:5]
	s_mov_b32 s5, 0x3fe55555
	s_mov_b32 s4, 0x55555555
	v_cmp_gt_f64_e32 vcc_lo, s[4:5], v[18:19]
	s_mov_b32 s4, 0x55555780
	v_fma_f64 v[9:10], v[3:4], v[14:15], -v[9:10]
	v_cndmask_b32_e64 v20, 0, 1, vcc_lo
	v_ldexp_f64 v[18:19], v[18:19], v20
	v_add_f64 v[9:10], v[9:10], s[18:19]
	s_mov_b32 s18, 0xb43fdf6c
	s_mov_b32 s19, 0x3df8ea34
	v_add_f64 v[20:21], v[18:19], 1.0
	v_add_f64 v[26:27], v[18:19], -1.0
	v_fma_f64 v[14:15], v[3:4], v[9:10], -v[14:15]
	v_rcp_f64_e32 v[22:23], v[20:21]
	v_add_f64 v[28:29], v[20:21], -1.0
	v_add_f64 v[14:15], v[14:15], s[18:19]
	s_mov_b32 s18, 0x28ea67e6
	s_mov_b32 s19, 0xbe20361b
	v_add_f64 v[18:19], v[18:19], -v[28:29]
	v_fma_f64 v[24:25], -v[20:21], v[22:23], 1.0
	v_fma_f64 v[9:10], v[3:4], v[14:15], -v[9:10]
	v_fma_f64 v[22:23], v[24:25], v[22:23], v[22:23]
	v_add_f64 v[9:10], v[9:10], s[18:19]
	s_mov_b32 s18, 0x2395010
	s_mov_b32 s19, 0x3e44258e
	v_fma_f64 v[24:25], -v[20:21], v[22:23], 1.0
	v_fma_f64 v[14:15], v[3:4], v[9:10], -v[14:15]
	v_fma_f64 v[22:23], v[24:25], v[22:23], v[22:23]
	v_add_f64 v[14:15], v[14:15], s[18:19]
	s_mov_b32 s18, 0x24b8c3e8
	s_mov_b32 s19, 0xbe67dd3e
	v_mul_f64 v[24:25], v[26:27], v[22:23]
	v_fma_f64 v[9:10], v[3:4], v[14:15], -v[9:10]
	v_mul_f64 v[30:31], v[20:21], v[24:25]
	v_add_f64 v[9:10], v[9:10], s[18:19]
	s_mov_b32 s18, 0xb347d108
	s_mov_b32 s19, 0x3e8ae344
	v_fma_f64 v[20:21], v[24:25], v[20:21], -v[30:31]
	v_fma_f64 v[14:15], v[3:4], v[9:10], -v[14:15]
	v_fma_f64 v[18:19], v[24:25], v[18:19], v[20:21]
	v_add_f64 v[14:15], v[14:15], s[18:19]
	s_mov_b32 s18, 0x7a0399e0
	s_mov_b32 s19, 0xbce5dd51
	v_fma_f64 v[34:35], v[32:33], s[20:21], s[18:19]
	s_mov_b32 s21, 0x3c603228
	s_mov_b32 s18, 0xddd0e045
	;; [unrolled: 1-line block ×3, first 2 shown]
	v_add_f64 v[20:21], v[30:31], v[18:19]
	v_fma_f64 v[9:10], v[3:4], v[14:15], -v[9:10]
	v_add_f64 v[28:29], v[26:27], -v[20:21]
	v_add_f64 v[30:31], v[20:21], -v[30:31]
	v_add_f64 v[9:10], v[9:10], s[22:23]
	s_mov_b32 s22, 0xd3d694fe
	s_mov_b32 s23, 0xbf2533ca
	v_add_f64 v[26:27], v[26:27], -v[28:29]
	v_add_f64 v[18:19], v[30:31], -v[18:19]
	v_fma_f64 v[14:15], v[3:4], v[9:10], -v[14:15]
	v_add_f64 v[20:21], v[26:27], -v[20:21]
	v_fma_f64 v[26:27], v[32:33], v[34:35], s[20:21]
	s_mov_b32 s20, 0xd511afc5
	s_mov_b32 s21, 0x3ecd1c4e
	v_add_f64 v[14:15], v[14:15], s[20:21]
	s_mov_b32 s20, 0xb8debbcf
	s_mov_b32 s21, 0xbeebd5f9
	v_add_f64 v[18:19], v[18:19], v[20:21]
	v_add_f64 v[20:21], v[26:27], s[18:19]
	s_mov_b32 s18, 0xb84626ca
	s_mov_b32 s19, 0xbde3663b
	v_fma_f64 v[9:10], v[3:4], v[14:15], -v[9:10]
	v_add_f64 v[18:19], v[28:29], v[18:19]
	v_fma_f64 v[26:27], v[32:33], v[20:21], -v[34:35]
	v_add_f64 v[9:10], v[9:10], s[20:21]
	s_mov_b32 s20, 0x42c70d0b
	s_mov_b32 s21, 0x3f0911b5
	v_mul_f64 v[18:19], v[22:23], v[18:19]
	v_add_f64 v[22:23], v[26:27], s[18:19]
	s_mov_b32 s18, 0x145c31d0
	s_mov_b32 s19, 0xbe57c41d
	v_fma_f64 v[14:15], v[3:4], v[9:10], -v[14:15]
	v_add_f64 v[26:27], v[24:25], v[18:19]
	v_fma_f64 v[20:21], v[32:33], v[22:23], -v[20:21]
	v_add_f64 v[14:15], v[14:15], s[20:21]
	s_mov_b32 s20, 0xbf559e2b
	s_mov_b32 s21, 0x3fc3ab76
	v_mul_f64 v[28:29], v[26:27], v[26:27]
	v_add_f64 v[20:21], v[20:21], s[18:19]
	s_mov_b32 s18, 0x6b47b09a
	s_mov_b32 s19, 0x3fc38538
	v_add_f64 v[24:25], v[26:27], -v[24:25]
	v_fma_f64 v[9:10], v[3:4], v[14:15], -v[9:10]
	v_fma_f64 v[30:31], v[28:29], s[20:21], s[18:19]
	v_fma_f64 v[22:23], v[32:33], v[20:21], -v[22:23]
	s_mov_b32 s18, 0x2c832e3a
	s_mov_b32 s19, 0xbec469b3
	;; [unrolled: 1-line block ×4, first 2 shown]
	v_mul_f64 v[34:35], v[26:27], v[28:29]
	v_add_f64 v[18:19], v[18:19], -v[24:25]
	v_add_f64 v[9:10], v[9:10], s[22:23]
	s_mov_b32 s22, 0xb6c6df7d
	s_mov_b32 s23, 0x3f40c95d
	v_fma_f64 v[30:31], v[28:29], v[30:31], s[20:21]
	v_add_f64 v[22:23], v[22:23], s[18:19]
	s_mov_b32 s18, 0x16291751
	s_mov_b32 s19, 0x3fcc71c0
	s_mov_b32 s20, 0x9b27acf1
	s_mov_b32 s21, 0x3fd24924
	v_ldexp_f64 v[18:19], v[18:19], 1
	v_fma_f64 v[14:15], v[3:4], v[9:10], -v[14:15]
	v_fma_f64 v[30:31], v[28:29], v[30:31], s[18:19]
	v_fma_f64 v[20:21], v[32:33], v[22:23], -v[20:21]
	s_mov_b32 s18, 0xe5a3bd02
	s_mov_b32 s19, 0xbf26ade2
	v_add_f64 v[14:15], v[14:15], s[22:23]
	s_mov_b32 s22, 0xe7bb2349
	s_mov_b32 s23, 0x3f9951e3
	v_fma_f64 v[30:31], v[28:29], v[30:31], s[20:21]
	v_add_f64 v[20:21], v[20:21], s[18:19]
	s_mov_b32 s18, 0x998ef7b6
	s_mov_b32 s19, 0x3fd99999
	;; [unrolled: 1-line block ×4, first 2 shown]
	v_fma_f64 v[9:10], v[3:4], v[14:15], -v[9:10]
	v_fma_f64 v[30:31], v[28:29], v[30:31], s[18:19]
	v_fma_f64 v[22:23], v[32:33], v[20:21], -v[22:23]
	s_mov_b32 s18, 0x9d7d4192
	s_mov_b32 s19, 0xbf7c9293
	v_add_f64 v[9:10], v[9:10], s[20:21]
	s_mov_b32 s20, 0x49d3a1b4
	s_mov_b32 s21, 0x3f710653
	v_fma_f64 v[28:29], v[28:29], v[30:31], s[4:5]
	v_add_f64 v[22:23], v[22:23], s[18:19]
	v_ldexp_f64 v[30:31], v[26:27], 1
	s_mov_b32 s4, 0x43c1db74
	s_mov_b32 s5, 0xbfbf6372
	s_mov_b32 s18, 0x652b82fe
	s_mov_b32 s19, 0x3ff71547
	v_fma_f64 v[14:15], v[3:4], v[9:10], -v[14:15]
	v_mul_f64 v[28:29], v[34:35], v[28:29]
	v_fma_f64 v[20:21], v[32:33], v[22:23], -v[20:21]
	v_subrev_co_ci_u32_e64 v34, null, 0, v36, vcc_lo
	v_mul_f64 v[36:37], v[11:12], s[18:19]
	s_mov_b32 s18, 0x757b0dd4
	s_mov_b32 s19, 0xbfd69a1b
	v_cvt_f64_i32_e32 v[34:35], v34
	v_add_f64 v[14:15], v[14:15], s[20:21]
	s_mov_b32 s20, 0x7913a26a
	s_mov_b32 s21, 0xbf85a29f
	v_add_f64 v[26:27], v[30:31], v[28:29]
	v_add_f64 v[20:21], v[20:21], s[4:5]
	s_mov_b32 s5, 0x3fe62e42
	s_mov_b32 s4, 0xfefa39ef
	v_mul_f64 v[38:39], v[34:35], s[4:5]
	v_fma_f64 v[9:10], v[3:4], v[14:15], -v[9:10]
	v_add_f64 v[24:25], v[26:27], -v[30:31]
	v_fma_f64 v[22:23], v[32:33], v[20:21], -v[22:23]
	v_rndne_f64_e32 v[30:31], v[36:37]
	v_fma_f64 v[36:37], v[34:35], s[4:5], -v[38:39]
	s_mov_b32 s5, 0xbfe62e42
	v_add_f64 v[9:10], v[9:10], s[20:21]
	s_mov_b32 s20, 0x6a5dcb37
	s_mov_b32 s21, 0x3e5ade15
	v_add_f64 v[24:25], v[28:29], -v[24:25]
	v_add_f64 v[22:23], v[22:23], s[18:19]
	v_fma_f64 v[28:29], v[30:31], s[4:5], v[11:12]
	s_mov_b32 s5, 0x3c7abc9e
	s_mov_b32 s4, 0x3b39803f
	;; [unrolled: 1-line block ×4, first 2 shown]
	v_fma_f64 v[34:35], v[34:35], s[4:5], v[36:37]
	s_mov_b32 s5, 0xbc7abc9e
	v_fma_f64 v[14:15], v[3:4], v[9:10], -v[14:15]
	v_add_f64 v[18:19], v[18:19], v[24:25]
	v_fma_f64 v[22:23], v[32:33], v[22:23], -v[20:21]
	v_fma_f64 v[24:25], v[30:31], s[4:5], v[28:29]
	s_mov_b32 s4, 0x361008ca
	s_mov_b32 s5, 0x3ff867a1
	v_add_f64 v[28:29], v[38:39], v[34:35]
	v_add_f64 v[14:15], v[14:15], s[22:23]
	;; [unrolled: 1-line block ×4, first 2 shown]
	v_fma_f64 v[36:37], v[24:25], s[20:21], s[18:19]
	s_mov_b32 s4, 0x623fde64
	s_mov_b32 s5, 0x3ec71dee
	;; [unrolled: 1-line block ×4, first 2 shown]
	v_add_f64 v[38:39], v[28:29], -v[38:39]
	v_fma_f64 v[9:10], v[3:4], v[14:15], -v[9:10]
	v_add_f64 v[40:41], v[28:29], v[32:33]
	v_add_f64 v[20:21], v[22:23], -v[20:21]
	v_fma_f64 v[36:37], v[24:25], v[36:37], s[4:5]
	s_mov_b32 s4, 0x7c89e6b0
	s_mov_b32 s5, 0x3efa0199
	v_add_f64 v[26:27], v[32:33], -v[26:27]
	v_add_f64 v[34:35], v[34:35], -v[38:39]
	v_add_f64 v[9:10], v[9:10], s[18:19]
	s_mov_b32 s18, 0xd536f53c
	s_mov_b32 s19, 0x3fba46da
	v_add_f64 v[22:23], v[40:41], -v[28:29]
	v_mul_f64 v[20:21], v[20:21], 0.5
	v_fma_f64 v[36:37], v[24:25], v[36:37], s[4:5]
	s_mov_b32 s4, 0x14761f6e
	s_mov_b32 s5, 0x3f2a01a0
	v_add_f64 v[18:19], v[18:19], -v[26:27]
	v_fma_f64 v[14:15], v[3:4], v[9:10], -v[14:15]
	v_add_f64 v[42:43], v[40:41], -v[22:23]
	v_div_scale_f64 v[44:45], null, v[11:12], v[11:12], v[20:21]
	v_fma_f64 v[36:37], v[24:25], v[36:37], s[4:5]
	s_mov_b32 s4, 0x1852b7b0
	s_mov_b32 s5, 0x3f56c16c
	v_add_f64 v[22:23], v[32:33], -v[22:23]
	v_add_f64 v[14:15], v[14:15], s[18:19]
	s_mov_b32 s18, 0x469192e
	s_mov_b32 s19, 0xbfc694d1
	v_add_f64 v[26:27], v[28:29], -v[42:43]
	v_rcp_f64_e32 v[32:33], v[44:45]
	v_fma_f64 v[28:29], v[24:25], v[36:37], s[4:5]
	s_mov_b32 s4, 0x11122322
	s_mov_b32 s5, 0x3f811111
	v_add_f64 v[36:37], v[34:35], v[18:19]
	v_fma_f64 v[9:10], v[3:4], v[14:15], -v[9:10]
	v_add_f64 v[22:23], v[22:23], v[26:27]
	v_fma_f64 v[26:27], v[24:25], v[28:29], s[4:5]
	v_fma_f64 v[28:29], -v[44:45], v[32:33], 1.0
	s_mov_b32 s4, 0x555502a1
	s_mov_b32 s5, 0x3fa55555
	v_add_f64 v[38:39], v[36:37], -v[34:35]
	v_add_f64 v[9:10], v[9:10], s[18:19]
	s_mov_b32 s18, 0x724a7ffa
	s_mov_b32 s19, 0x3fd02a63
	v_add_f64 v[22:23], v[36:37], v[22:23]
	v_fma_f64 v[26:27], v[24:25], v[26:27], s[4:5]
	v_fma_f64 v[28:29], v[32:33], v[28:29], v[32:33]
	s_mov_b32 s4, 0x55555511
	s_mov_b32 s5, 0x3fc55555
	v_add_f64 v[32:33], v[36:37], -v[38:39]
	v_add_f64 v[18:19], v[18:19], -v[38:39]
	v_div_scale_f64 v[38:39], vcc_lo, v[20:21], v[11:12], v[20:21]
	v_fma_f64 v[3:4], v[3:4], v[9:10], -v[14:15]
	v_add_f64 v[36:37], v[40:41], v[22:23]
	v_fma_f64 v[26:27], v[24:25], v[26:27], s[4:5]
	v_fma_f64 v[9:10], -v[44:45], v[28:29], 1.0
	s_mov_b32 s4, 11
	s_mov_b32 s5, 0x3fe00000
	v_add_f64 v[32:33], v[34:35], -v[32:33]
	v_add_f64 v[3:4], v[3:4], s[18:19]
	v_add_f64 v[34:35], v[36:37], -v[40:41]
	v_fma_f64 v[26:27], v[24:25], v[26:27], s[4:5]
	v_fma_f64 v[9:10], v[28:29], v[9:10], v[28:29]
	v_cvt_i32_f64_e32 v28, v[30:31]
	v_cmp_neq_f64_e64 s4, 0, v[16:17]
	v_add_f64 v[18:19], v[18:19], v[32:33]
	v_add_f64 v[3:4], v[3:4], -v[14:15]
	v_add_f64 v[22:23], v[22:23], -v[34:35]
	v_fma_f64 v[26:27], v[24:25], v[26:27], 1.0
	v_mul_f64 v[14:15], v[38:39], v[9:10]
	v_mul_f64 v[3:4], v[3:4], 0.5
	v_add_f64 v[18:19], v[18:19], v[22:23]
	v_fma_f64 v[22:23], v[24:25], v[26:27], 1.0
	v_fma_f64 v[24:25], -v[44:45], v[14:15], v[38:39]
	v_mul_f64 v[3:4], v[11:12], v[3:4]
	v_add_f64 v[18:19], v[36:37], v[18:19]
	v_ldexp_f64 v[22:23], v[22:23], v28
	v_div_fmas_f64 v[9:10], v[24:25], v[9:10], v[14:15]
	v_cmp_neq_f64_e32 vcc_lo, 0x7ff00000, v[16:17]
	v_mul_f64 v[3:4], v[22:23], v[3:4]
	v_div_fixup_f64 v[9:10], v[9:10], v[11:12], v[20:21]
	v_cndmask_b32_e32 v14, 0x7ff00000, v19, vcc_lo
	s_and_b32 vcc_lo, s4, vcc_lo
	v_cndmask_b32_e32 v11, 0, v18, vcc_lo
	v_cndmask_b32_e64 v12, 0xfff00000, v14, s4
	v_fma_f64 v[3:4], v[11:12], v[3:4], v[9:10]
                                        ; implicit-def: $vgpr11_vgpr12
.LBB5_15:
	s_andn2_saveexec_b32 s5, s16
	s_cbranch_execz .LBB5_17
; %bb.16:
	v_div_scale_f64 v[3:4], null, v[11:12], v[11:12], 0x40200000
	v_div_scale_f64 v[16:17], vcc_lo, 0x40200000, v[11:12], 0x40200000
	s_mov_b32 s16, 0x838f5ed3
	s_mov_b32 s17, 0x3c74af1a
	;; [unrolled: 1-line block ×4, first 2 shown]
	v_cmp_nlt_f64_e64 s4, 0x4090cc00, v[11:12]
	v_rcp_f64_e32 v[9:10], v[3:4]
	v_fma_f64 v[14:15], -v[3:4], v[9:10], 1.0
	v_fma_f64 v[9:10], v[9:10], v[14:15], v[9:10]
	v_fma_f64 v[14:15], -v[3:4], v[9:10], 1.0
	v_fma_f64 v[9:10], v[9:10], v[14:15], v[9:10]
	v_mul_f64 v[14:15], v[16:17], v[9:10]
	v_fma_f64 v[3:4], -v[3:4], v[14:15], v[16:17]
	v_div_fmas_f64 v[3:4], v[3:4], v[9:10], v[14:15]
	v_cmp_gt_f64_e32 vcc_lo, 0x10000000, v[11:12]
	v_div_fixup_f64 v[3:4], v[3:4], v[11:12], 0x40200000
	v_cndmask_b32_e64 v22, 0, 0x100, vcc_lo
	v_ldexp_f64 v[22:23], v[11:12], v22
	v_add_f64 v[3:4], v[3:4], -2.0
	v_rsq_f64_e32 v[24:25], v[22:23]
	v_fma_f64 v[9:10], v[3:4], s[18:19], s[16:17]
	s_mov_b32 s19, 0x3c5a8c5d
	s_mov_b32 s16, 0x17771d52
	;; [unrolled: 1-line block ×3, first 2 shown]
	v_mul_f64 v[26:27], v[22:23], v[24:25]
	v_mul_f64 v[24:25], v[24:25], 0.5
	v_fma_f64 v[14:15], v[3:4], v[9:10], s[18:19]
	s_mov_b32 s18, 0x6a5dcb37
	s_mov_b32 s19, 0x3e5ade15
	v_fma_f64 v[28:29], -v[24:25], v[26:27], 0.5
	v_add_f64 v[14:15], v[14:15], s[16:17]
	s_mov_b32 s16, 0x44ee2c0b
	s_mov_b32 s17, 0x3caa7d5e
	v_fma_f64 v[26:27], v[26:27], v[28:29], v[26:27]
	v_fma_f64 v[24:25], v[24:25], v[28:29], v[24:25]
	v_fma_f64 v[9:10], v[3:4], v[14:15], -v[9:10]
	v_fma_f64 v[28:29], -v[26:27], v[26:27], v[22:23]
	v_add_f64 v[9:10], v[9:10], s[16:17]
	s_mov_b32 s16, 0xd8758ef2
	s_mov_b32 s17, 0xbcc5d2a3
	v_fma_f64 v[14:15], v[3:4], v[9:10], -v[14:15]
	v_add_f64 v[14:15], v[14:15], s[16:17]
	s_mov_b32 s16, 0xefee81bd
	s_mov_b32 s17, 0x3ce25ced
	v_fma_f64 v[9:10], v[3:4], v[14:15], -v[9:10]
	;; [unrolled: 4-line block ×14, first 2 shown]
	v_add_f64 v[9:10], v[9:10], s[16:17]
	s_mov_b32 s16, 0x652b82fe
	s_mov_b32 s17, 0xbff71547
	v_mul_f64 v[16:17], v[11:12], s[16:17]
	s_mov_b32 s16, 0x8fada5c6
	s_mov_b32 s17, 0xbe978052
	v_fma_f64 v[14:15], v[3:4], v[9:10], -v[14:15]
	v_rndne_f64_e32 v[16:17], v[16:17]
	v_add_f64 v[14:15], v[14:15], s[16:17]
	s_mov_b32 s16, 0xfefa39ef
	s_mov_b32 s17, 0xbfe62e42
	v_fma_f64 v[18:19], v[16:17], s[16:17], -v[11:12]
	s_mov_b32 s16, 0x3b39803f
	s_mov_b32 s17, 0xbc7abc9e
	v_cndmask_b32_e64 v11, 0, 0xffffff80, vcc_lo
	v_cmp_class_f64_e64 vcc_lo, v[22:23], 0x260
	v_fma_f64 v[9:10], v[3:4], v[14:15], -v[9:10]
	v_fma_f64 v[18:19], v[16:17], s[16:17], v[18:19]
	s_mov_b32 s16, 0x1752d1b6
	s_mov_b32 s17, 0x3ec42fe3
	v_add_f64 v[9:10], v[9:10], s[16:17]
	s_mov_b32 s16, 0xfca7ab0c
	s_mov_b32 s17, 0x3e928af3
	v_fma_f64 v[20:21], v[18:19], s[18:19], s[16:17]
	s_mov_b32 s16, 0x623fde64
	s_mov_b32 s17, 0x3ec71dee
	v_fma_f64 v[14:15], v[3:4], v[9:10], -v[14:15]
	v_fma_f64 v[20:21], v[18:19], v[20:21], s[16:17]
	s_mov_b32 s16, 0x1dcdb2e5
	s_mov_b32 s17, 0xbef44d71
	v_add_f64 v[14:15], v[14:15], s[16:17]
	s_mov_b32 s16, 0x7c89e6b0
	s_mov_b32 s17, 0x3efa0199
	v_fma_f64 v[20:21], v[18:19], v[20:21], s[16:17]
	s_mov_b32 s16, 0x14761f6e
	s_mov_b32 s17, 0x3f2a01a0
	;; [unrolled: 10-line block ×5, first 2 shown]
	v_fma_f64 v[3:4], v[3:4], v[9:10], -v[14:15]
	v_fma_f64 v[9:10], v[28:29], v[24:25], v[26:27]
	v_cvt_i32_f64_e32 v28, v[16:17]
	v_fma_f64 v[20:21], v[18:19], v[20:21], 1.0
	v_add_f64 v[3:4], v[3:4], s[16:17]
	v_fma_f64 v[26:27], -v[9:10], v[9:10], v[22:23]
	v_fma_f64 v[16:17], v[18:19], v[20:21], 1.0
	v_add_f64 v[3:4], v[3:4], -v[14:15]
	v_fma_f64 v[9:10], v[26:27], v[24:25], v[9:10]
	v_ldexp_f64 v[14:15], v[16:17], v28
	v_mul_f64 v[3:4], v[3:4], 0.5
	v_ldexp_f64 v[9:10], v[9:10], v11
	v_cndmask_b32_e64 v12, 0, v15, s4
	v_cndmask_b32_e64 v11, 0, v14, s4
	v_mul_f64 v[3:4], v[11:12], v[3:4]
	v_cndmask_b32_e32 v10, v10, v23, vcc_lo
	v_cndmask_b32_e32 v9, v9, v22, vcc_lo
	v_div_scale_f64 v[11:12], null, v[9:10], v[9:10], v[3:4]
	v_rcp_f64_e32 v[14:15], v[11:12]
	v_fma_f64 v[16:17], -v[11:12], v[14:15], 1.0
	v_fma_f64 v[14:15], v[14:15], v[16:17], v[14:15]
	v_fma_f64 v[16:17], -v[11:12], v[14:15], 1.0
	v_fma_f64 v[14:15], v[14:15], v[16:17], v[14:15]
	v_div_scale_f64 v[16:17], vcc_lo, v[3:4], v[9:10], v[3:4]
	v_mul_f64 v[18:19], v[16:17], v[14:15]
	v_fma_f64 v[11:12], -v[11:12], v[18:19], v[16:17]
	v_div_fmas_f64 v[11:12], v[11:12], v[14:15], v[18:19]
	v_div_fixup_f64 v[3:4], v[11:12], v[9:10], v[3:4]
.LBB5_17:
	s_or_b32 exec_lo, exec_lo, s5
.LBB5_18:
	s_or_b32 exec_lo, exec_lo, s15
.LBB5_19:
	s_or_b32 exec_lo, exec_lo, s14
	v_mov_b32_e32 v11, 0
	v_mov_b32_e32 v9, 0
	;; [unrolled: 1-line block ×4, first 2 shown]
	s_mov_b32 s14, exec_lo
	s_waitcnt vmcnt(0)
	v_cmpx_neq_f64_e32 0, v[5:6]
	s_cbranch_execz .LBB5_27
; %bb.20:
	v_mov_b32_e32 v9, 0
	v_mov_b32_e32 v10, 0x7ff80000
	s_mov_b32 s15, exec_lo
	v_cmpx_ngt_f64_e32 0, v[5:6]
	s_cbranch_execz .LBB5_26
; %bb.21:
	s_mov_b32 s4, exec_lo
	v_cmpx_ge_f64_e32 2.0, v[5:6]
	s_xor_b32 s16, exec_lo, s4
	s_cbranch_execz .LBB5_23
; %bb.22:
	v_fma_f64 v[9:10], v[5:6], 0.5, -2.0
	s_mov_b32 s4, 0xc38a0576
	s_mov_b32 s5, 0xbc7857d0
	;; [unrolled: 1-line block ×4, first 2 shown]
	v_mul_f64 v[18:19], v[5:6], 0.5
	v_fma_f64 v[34:35], v[5:6], v[5:6], -2.0
	s_mov_b32 s21, 0xbc603228
	s_mov_b32 s20, 0x3d3cda56
	;; [unrolled: 1-line block ×4, first 2 shown]
	v_fma_f64 v[14:15], v[9:10], s[18:19], s[4:5]
	s_mov_b32 s19, 0xbc499f2a
	s_mov_b32 s4, 0xe593bfac
	;; [unrolled: 1-line block ×3, first 2 shown]
	v_frexp_mant_f64_e32 v[20:21], v[18:19]
	v_frexp_exp_i32_f64_e32 v38, v[18:19]
	v_fma_f64 v[16:17], v[9:10], v[14:15], s[18:19]
	s_mov_b32 s18, 0x97eb07de
	s_mov_b32 s19, 0xbdd25103
	v_add_f64 v[16:17], v[16:17], s[4:5]
	s_mov_b32 s4, 0x7e0d1573
	s_mov_b32 s5, 0xbcd3eaaa
	v_fma_f64 v[14:15], v[9:10], v[16:17], -v[14:15]
	v_add_f64 v[14:15], v[14:15], s[4:5]
	s_mov_b32 s4, 0x615290c
	s_mov_b32 s5, 0x3d011d7f
	v_fma_f64 v[16:17], v[9:10], v[14:15], -v[16:17]
	v_add_f64 v[16:17], v[16:17], s[4:5]
	s_mov_b32 s4, 0x1c8f0b3b
	s_mov_b32 s5, 0xbd2c628e
	v_fma_f64 v[14:15], v[9:10], v[16:17], -v[14:15]
	v_add_f64 v[14:15], v[14:15], s[4:5]
	s_mov_b32 s4, 0x4779d955
	s_mov_b32 s5, 0x3d56af78
	v_fma_f64 v[16:17], v[9:10], v[14:15], -v[16:17]
	v_add_f64 v[16:17], v[16:17], s[4:5]
	s_mov_b32 s4, 0x5fb70366
	s_mov_b32 s5, 0xbd817383
	v_fma_f64 v[14:15], v[9:10], v[16:17], -v[14:15]
	v_add_f64 v[14:15], v[14:15], s[4:5]
	s_mov_b32 s4, 0xb21d3154
	s_mov_b32 s5, 0x3da9cee2
	v_fma_f64 v[16:17], v[9:10], v[14:15], -v[16:17]
	v_add_f64 v[16:17], v[16:17], s[4:5]
	s_mov_b32 s5, 0x3fe55555
	s_mov_b32 s4, 0x55555555
	v_cmp_gt_f64_e32 vcc_lo, s[4:5], v[20:21]
	s_mov_b32 s4, 0x55555780
	v_fma_f64 v[14:15], v[9:10], v[16:17], -v[14:15]
	v_cndmask_b32_e64 v22, 0, 1, vcc_lo
	v_ldexp_f64 v[20:21], v[20:21], v22
	v_add_f64 v[14:15], v[14:15], s[18:19]
	s_mov_b32 s18, 0xb43fdf6c
	s_mov_b32 s19, 0x3df8ea34
	v_add_f64 v[22:23], v[20:21], 1.0
	v_add_f64 v[28:29], v[20:21], -1.0
	v_fma_f64 v[16:17], v[9:10], v[14:15], -v[16:17]
	v_rcp_f64_e32 v[24:25], v[22:23]
	v_add_f64 v[30:31], v[22:23], -1.0
	v_add_f64 v[16:17], v[16:17], s[18:19]
	s_mov_b32 s18, 0x28ea67e6
	s_mov_b32 s19, 0xbe20361b
	v_add_f64 v[20:21], v[20:21], -v[30:31]
	v_fma_f64 v[26:27], -v[22:23], v[24:25], 1.0
	v_fma_f64 v[14:15], v[9:10], v[16:17], -v[14:15]
	v_fma_f64 v[24:25], v[26:27], v[24:25], v[24:25]
	v_add_f64 v[14:15], v[14:15], s[18:19]
	s_mov_b32 s18, 0x2395010
	s_mov_b32 s19, 0x3e44258e
	v_fma_f64 v[26:27], -v[22:23], v[24:25], 1.0
	v_fma_f64 v[16:17], v[9:10], v[14:15], -v[16:17]
	v_fma_f64 v[24:25], v[26:27], v[24:25], v[24:25]
	v_add_f64 v[16:17], v[16:17], s[18:19]
	s_mov_b32 s18, 0x24b8c3e8
	s_mov_b32 s19, 0xbe67dd3e
	v_mul_f64 v[26:27], v[28:29], v[24:25]
	v_fma_f64 v[14:15], v[9:10], v[16:17], -v[14:15]
	v_mul_f64 v[32:33], v[22:23], v[26:27]
	v_add_f64 v[14:15], v[14:15], s[18:19]
	s_mov_b32 s18, 0xb347d108
	s_mov_b32 s19, 0x3e8ae344
	v_fma_f64 v[22:23], v[26:27], v[22:23], -v[32:33]
	v_fma_f64 v[16:17], v[9:10], v[14:15], -v[16:17]
	v_fma_f64 v[20:21], v[26:27], v[20:21], v[22:23]
	v_add_f64 v[16:17], v[16:17], s[18:19]
	s_mov_b32 s18, 0x7a0399e0
	s_mov_b32 s19, 0xbce5dd51
	v_fma_f64 v[36:37], v[34:35], s[20:21], s[18:19]
	s_mov_b32 s21, 0x3c603228
	s_mov_b32 s18, 0xddd0e045
	;; [unrolled: 1-line block ×3, first 2 shown]
	v_add_f64 v[22:23], v[32:33], v[20:21]
	v_fma_f64 v[14:15], v[9:10], v[16:17], -v[14:15]
	v_add_f64 v[30:31], v[28:29], -v[22:23]
	v_add_f64 v[32:33], v[22:23], -v[32:33]
	v_add_f64 v[14:15], v[14:15], s[22:23]
	s_mov_b32 s22, 0xd3d694fe
	s_mov_b32 s23, 0xbf2533ca
	v_add_f64 v[28:29], v[28:29], -v[30:31]
	v_add_f64 v[20:21], v[32:33], -v[20:21]
	v_fma_f64 v[16:17], v[9:10], v[14:15], -v[16:17]
	v_add_f64 v[22:23], v[28:29], -v[22:23]
	v_fma_f64 v[28:29], v[34:35], v[36:37], s[20:21]
	s_mov_b32 s20, 0xd511afc5
	s_mov_b32 s21, 0x3ecd1c4e
	v_add_f64 v[16:17], v[16:17], s[20:21]
	s_mov_b32 s20, 0xb8debbcf
	s_mov_b32 s21, 0xbeebd5f9
	v_add_f64 v[20:21], v[20:21], v[22:23]
	v_add_f64 v[22:23], v[28:29], s[18:19]
	s_mov_b32 s18, 0xb84626ca
	s_mov_b32 s19, 0xbde3663b
	v_fma_f64 v[14:15], v[9:10], v[16:17], -v[14:15]
	v_add_f64 v[20:21], v[30:31], v[20:21]
	v_fma_f64 v[28:29], v[34:35], v[22:23], -v[36:37]
	v_add_f64 v[14:15], v[14:15], s[20:21]
	s_mov_b32 s20, 0x42c70d0b
	s_mov_b32 s21, 0x3f0911b5
	v_mul_f64 v[20:21], v[24:25], v[20:21]
	v_add_f64 v[24:25], v[28:29], s[18:19]
	s_mov_b32 s18, 0x145c31d0
	s_mov_b32 s19, 0xbe57c41d
	v_fma_f64 v[16:17], v[9:10], v[14:15], -v[16:17]
	v_add_f64 v[28:29], v[26:27], v[20:21]
	v_fma_f64 v[22:23], v[34:35], v[24:25], -v[22:23]
	v_add_f64 v[16:17], v[16:17], s[20:21]
	s_mov_b32 s20, 0xbf559e2b
	s_mov_b32 s21, 0x3fc3ab76
	v_mul_f64 v[30:31], v[28:29], v[28:29]
	v_add_f64 v[22:23], v[22:23], s[18:19]
	s_mov_b32 s18, 0x6b47b09a
	s_mov_b32 s19, 0x3fc38538
	v_add_f64 v[26:27], v[28:29], -v[26:27]
	v_fma_f64 v[14:15], v[9:10], v[16:17], -v[14:15]
	v_fma_f64 v[32:33], v[30:31], s[20:21], s[18:19]
	v_fma_f64 v[24:25], v[34:35], v[22:23], -v[24:25]
	s_mov_b32 s18, 0x2c832e3a
	s_mov_b32 s19, 0xbec469b3
	;; [unrolled: 1-line block ×4, first 2 shown]
	v_mul_f64 v[36:37], v[28:29], v[30:31]
	v_add_f64 v[20:21], v[20:21], -v[26:27]
	v_add_f64 v[14:15], v[14:15], s[22:23]
	s_mov_b32 s22, 0xb6c6df7d
	s_mov_b32 s23, 0x3f40c95d
	v_fma_f64 v[32:33], v[30:31], v[32:33], s[20:21]
	v_add_f64 v[24:25], v[24:25], s[18:19]
	s_mov_b32 s18, 0x16291751
	s_mov_b32 s19, 0x3fcc71c0
	;; [unrolled: 1-line block ×4, first 2 shown]
	v_ldexp_f64 v[20:21], v[20:21], 1
	v_fma_f64 v[16:17], v[9:10], v[14:15], -v[16:17]
	v_fma_f64 v[32:33], v[30:31], v[32:33], s[18:19]
	v_fma_f64 v[22:23], v[34:35], v[24:25], -v[22:23]
	s_mov_b32 s18, 0xe5a3bd02
	s_mov_b32 s19, 0xbf26ade2
	v_add_f64 v[16:17], v[16:17], s[22:23]
	s_mov_b32 s22, 0xe7bb2349
	s_mov_b32 s23, 0x3f9951e3
	v_fma_f64 v[32:33], v[30:31], v[32:33], s[20:21]
	v_add_f64 v[22:23], v[22:23], s[18:19]
	s_mov_b32 s18, 0x998ef7b6
	s_mov_b32 s19, 0x3fd99999
	;; [unrolled: 1-line block ×4, first 2 shown]
	v_fma_f64 v[14:15], v[9:10], v[16:17], -v[14:15]
	v_fma_f64 v[32:33], v[30:31], v[32:33], s[18:19]
	v_fma_f64 v[24:25], v[34:35], v[22:23], -v[24:25]
	s_mov_b32 s18, 0x9d7d4192
	s_mov_b32 s19, 0xbf7c9293
	v_add_f64 v[14:15], v[14:15], s[20:21]
	s_mov_b32 s20, 0x49d3a1b4
	s_mov_b32 s21, 0x3f710653
	v_fma_f64 v[30:31], v[30:31], v[32:33], s[4:5]
	v_add_f64 v[24:25], v[24:25], s[18:19]
	v_ldexp_f64 v[32:33], v[28:29], 1
	s_mov_b32 s4, 0x43c1db74
	s_mov_b32 s5, 0xbfbf6372
	;; [unrolled: 1-line block ×4, first 2 shown]
	v_fma_f64 v[16:17], v[9:10], v[14:15], -v[16:17]
	v_mul_f64 v[30:31], v[36:37], v[30:31]
	v_fma_f64 v[22:23], v[34:35], v[24:25], -v[22:23]
	v_subrev_co_ci_u32_e64 v36, null, 0, v38, vcc_lo
	v_mul_f64 v[38:39], v[5:6], s[18:19]
	s_mov_b32 s18, 0x757b0dd4
	s_mov_b32 s19, 0xbfd69a1b
	v_cvt_f64_i32_e32 v[36:37], v36
	v_add_f64 v[16:17], v[16:17], s[20:21]
	s_mov_b32 s20, 0x7913a26a
	s_mov_b32 s21, 0xbf85a29f
	v_add_f64 v[28:29], v[32:33], v[30:31]
	v_add_f64 v[22:23], v[22:23], s[4:5]
	s_mov_b32 s5, 0x3fe62e42
	s_mov_b32 s4, 0xfefa39ef
	v_mul_f64 v[40:41], v[36:37], s[4:5]
	v_fma_f64 v[14:15], v[9:10], v[16:17], -v[14:15]
	v_add_f64 v[26:27], v[28:29], -v[32:33]
	v_fma_f64 v[24:25], v[34:35], v[22:23], -v[24:25]
	v_rndne_f64_e32 v[32:33], v[38:39]
	v_fma_f64 v[38:39], v[36:37], s[4:5], -v[40:41]
	s_mov_b32 s5, 0xbfe62e42
	v_add_f64 v[14:15], v[14:15], s[20:21]
	s_mov_b32 s20, 0x6a5dcb37
	s_mov_b32 s21, 0x3e5ade15
	v_add_f64 v[26:27], v[30:31], -v[26:27]
	v_add_f64 v[24:25], v[24:25], s[18:19]
	v_fma_f64 v[30:31], v[32:33], s[4:5], v[5:6]
	s_mov_b32 s5, 0x3c7abc9e
	s_mov_b32 s4, 0x3b39803f
	s_mov_b32 s18, 0xfca7ab0c
	s_mov_b32 s19, 0x3e928af3
	v_fma_f64 v[36:37], v[36:37], s[4:5], v[38:39]
	s_mov_b32 s5, 0xbc7abc9e
	v_fma_f64 v[16:17], v[9:10], v[14:15], -v[16:17]
	v_add_f64 v[20:21], v[20:21], v[26:27]
	v_fma_f64 v[24:25], v[34:35], v[24:25], -v[22:23]
	v_fma_f64 v[26:27], v[32:33], s[4:5], v[30:31]
	s_mov_b32 s4, 0x361008ca
	s_mov_b32 s5, 0x3ff867a1
	v_add_f64 v[30:31], v[40:41], v[36:37]
	v_add_f64 v[16:17], v[16:17], s[22:23]
	;; [unrolled: 1-line block ×4, first 2 shown]
	v_fma_f64 v[38:39], v[26:27], s[20:21], s[18:19]
	s_mov_b32 s4, 0x623fde64
	s_mov_b32 s5, 0x3ec71dee
	;; [unrolled: 1-line block ×4, first 2 shown]
	v_add_f64 v[40:41], v[30:31], -v[40:41]
	v_fma_f64 v[14:15], v[9:10], v[16:17], -v[14:15]
	v_add_f64 v[42:43], v[30:31], v[34:35]
	v_add_f64 v[22:23], v[24:25], -v[22:23]
	v_fma_f64 v[38:39], v[26:27], v[38:39], s[4:5]
	s_mov_b32 s4, 0x7c89e6b0
	s_mov_b32 s5, 0x3efa0199
	v_add_f64 v[28:29], v[34:35], -v[28:29]
	v_add_f64 v[36:37], v[36:37], -v[40:41]
	v_add_f64 v[14:15], v[14:15], s[18:19]
	s_mov_b32 s18, 0xd536f53c
	s_mov_b32 s19, 0x3fba46da
	v_add_f64 v[24:25], v[42:43], -v[30:31]
	v_mul_f64 v[22:23], v[22:23], 0.5
	v_fma_f64 v[38:39], v[26:27], v[38:39], s[4:5]
	s_mov_b32 s4, 0x14761f6e
	s_mov_b32 s5, 0x3f2a01a0
	v_add_f64 v[20:21], v[20:21], -v[28:29]
	v_fma_f64 v[16:17], v[9:10], v[14:15], -v[16:17]
	v_add_f64 v[44:45], v[42:43], -v[24:25]
	v_div_scale_f64 v[46:47], null, v[5:6], v[5:6], v[22:23]
	v_fma_f64 v[38:39], v[26:27], v[38:39], s[4:5]
	s_mov_b32 s4, 0x1852b7b0
	s_mov_b32 s5, 0x3f56c16c
	v_add_f64 v[24:25], v[34:35], -v[24:25]
	v_add_f64 v[16:17], v[16:17], s[18:19]
	s_mov_b32 s18, 0x469192e
	s_mov_b32 s19, 0xbfc694d1
	v_add_f64 v[28:29], v[30:31], -v[44:45]
	v_rcp_f64_e32 v[34:35], v[46:47]
	v_fma_f64 v[30:31], v[26:27], v[38:39], s[4:5]
	s_mov_b32 s4, 0x11122322
	s_mov_b32 s5, 0x3f811111
	v_add_f64 v[38:39], v[36:37], v[20:21]
	v_fma_f64 v[14:15], v[9:10], v[16:17], -v[14:15]
	v_add_f64 v[24:25], v[24:25], v[28:29]
	v_fma_f64 v[28:29], v[26:27], v[30:31], s[4:5]
	v_fma_f64 v[30:31], -v[46:47], v[34:35], 1.0
	s_mov_b32 s4, 0x555502a1
	s_mov_b32 s5, 0x3fa55555
	v_add_f64 v[40:41], v[38:39], -v[36:37]
	v_add_f64 v[14:15], v[14:15], s[18:19]
	s_mov_b32 s18, 0x724a7ffa
	s_mov_b32 s19, 0x3fd02a63
	v_add_f64 v[24:25], v[38:39], v[24:25]
	v_fma_f64 v[28:29], v[26:27], v[28:29], s[4:5]
	v_fma_f64 v[30:31], v[34:35], v[30:31], v[34:35]
	s_mov_b32 s4, 0x55555511
	s_mov_b32 s5, 0x3fc55555
	v_add_f64 v[34:35], v[38:39], -v[40:41]
	v_add_f64 v[20:21], v[20:21], -v[40:41]
	v_div_scale_f64 v[40:41], vcc_lo, v[22:23], v[5:6], v[22:23]
	v_fma_f64 v[9:10], v[9:10], v[14:15], -v[16:17]
	v_add_f64 v[38:39], v[42:43], v[24:25]
	v_fma_f64 v[28:29], v[26:27], v[28:29], s[4:5]
	v_fma_f64 v[14:15], -v[46:47], v[30:31], 1.0
	s_mov_b32 s4, 11
	s_mov_b32 s5, 0x3fe00000
	v_add_f64 v[34:35], v[36:37], -v[34:35]
	v_add_f64 v[9:10], v[9:10], s[18:19]
	v_add_f64 v[36:37], v[38:39], -v[42:43]
	v_fma_f64 v[28:29], v[26:27], v[28:29], s[4:5]
	v_fma_f64 v[14:15], v[30:31], v[14:15], v[30:31]
	v_cvt_i32_f64_e32 v30, v[32:33]
	v_cmp_neq_f64_e64 s4, 0, v[18:19]
	v_add_f64 v[20:21], v[20:21], v[34:35]
	v_add_f64 v[9:10], v[9:10], -v[16:17]
	v_add_f64 v[24:25], v[24:25], -v[36:37]
	v_fma_f64 v[28:29], v[26:27], v[28:29], 1.0
	v_mul_f64 v[16:17], v[40:41], v[14:15]
	v_mul_f64 v[9:10], v[9:10], 0.5
	v_add_f64 v[20:21], v[20:21], v[24:25]
	v_fma_f64 v[24:25], v[26:27], v[28:29], 1.0
	v_fma_f64 v[26:27], -v[46:47], v[16:17], v[40:41]
	v_mul_f64 v[9:10], v[5:6], v[9:10]
	v_add_f64 v[20:21], v[38:39], v[20:21]
	v_ldexp_f64 v[24:25], v[24:25], v30
	v_div_fmas_f64 v[14:15], v[26:27], v[14:15], v[16:17]
	v_cmp_neq_f64_e32 vcc_lo, 0x7ff00000, v[18:19]
	v_mul_f64 v[9:10], v[24:25], v[9:10]
	v_div_fixup_f64 v[5:6], v[14:15], v[5:6], v[22:23]
	v_cndmask_b32_e32 v16, 0x7ff00000, v21, vcc_lo
	s_and_b32 vcc_lo, s4, vcc_lo
	v_cndmask_b32_e32 v14, 0, v20, vcc_lo
	v_cndmask_b32_e64 v15, 0xfff00000, v16, s4
	v_fma_f64 v[9:10], v[14:15], v[9:10], v[5:6]
.LBB5_23:
	s_andn2_saveexec_b32 s5, s16
	s_cbranch_execz .LBB5_25
; %bb.24:
	v_div_scale_f64 v[9:10], null, v[5:6], v[5:6], 0x40200000
	v_div_scale_f64 v[18:19], vcc_lo, 0x40200000, v[5:6], 0x40200000
	s_mov_b32 s16, 0x838f5ed3
	s_mov_b32 s17, 0x3c74af1a
	;; [unrolled: 1-line block ×4, first 2 shown]
	v_cmp_nlt_f64_e64 s4, 0x4090cc00, v[5:6]
	v_rcp_f64_e32 v[14:15], v[9:10]
	v_fma_f64 v[16:17], -v[9:10], v[14:15], 1.0
	v_fma_f64 v[14:15], v[14:15], v[16:17], v[14:15]
	v_fma_f64 v[16:17], -v[9:10], v[14:15], 1.0
	v_fma_f64 v[14:15], v[14:15], v[16:17], v[14:15]
	v_mul_f64 v[16:17], v[18:19], v[14:15]
	v_fma_f64 v[9:10], -v[9:10], v[16:17], v[18:19]
	v_div_fmas_f64 v[9:10], v[9:10], v[14:15], v[16:17]
	v_cmp_gt_f64_e32 vcc_lo, 0x10000000, v[5:6]
	v_div_fixup_f64 v[9:10], v[9:10], v[5:6], 0x40200000
	v_cndmask_b32_e64 v24, 0, 0x100, vcc_lo
	v_ldexp_f64 v[24:25], v[5:6], v24
	v_add_f64 v[9:10], v[9:10], -2.0
	v_rsq_f64_e32 v[26:27], v[24:25]
	v_fma_f64 v[14:15], v[9:10], s[18:19], s[16:17]
	s_mov_b32 s19, 0x3c5a8c5d
	s_mov_b32 s16, 0x17771d52
	;; [unrolled: 1-line block ×3, first 2 shown]
	v_mul_f64 v[28:29], v[24:25], v[26:27]
	v_mul_f64 v[26:27], v[26:27], 0.5
	v_fma_f64 v[16:17], v[9:10], v[14:15], s[18:19]
	s_mov_b32 s18, 0x6a5dcb37
	s_mov_b32 s19, 0x3e5ade15
	v_fma_f64 v[30:31], -v[26:27], v[28:29], 0.5
	v_add_f64 v[16:17], v[16:17], s[16:17]
	s_mov_b32 s16, 0x44ee2c0b
	s_mov_b32 s17, 0x3caa7d5e
	v_fma_f64 v[28:29], v[28:29], v[30:31], v[28:29]
	v_fma_f64 v[26:27], v[26:27], v[30:31], v[26:27]
	v_fma_f64 v[14:15], v[9:10], v[16:17], -v[14:15]
	v_fma_f64 v[30:31], -v[28:29], v[28:29], v[24:25]
	v_add_f64 v[14:15], v[14:15], s[16:17]
	s_mov_b32 s16, 0xd8758ef2
	s_mov_b32 s17, 0xbcc5d2a3
	v_fma_f64 v[16:17], v[9:10], v[14:15], -v[16:17]
	v_add_f64 v[16:17], v[16:17], s[16:17]
	s_mov_b32 s16, 0xefee81bd
	s_mov_b32 s17, 0x3ce25ced
	v_fma_f64 v[14:15], v[9:10], v[16:17], -v[14:15]
	;; [unrolled: 4-line block ×14, first 2 shown]
	v_add_f64 v[14:15], v[14:15], s[16:17]
	s_mov_b32 s16, 0x652b82fe
	s_mov_b32 s17, 0xbff71547
	v_mul_f64 v[18:19], v[5:6], s[16:17]
	s_mov_b32 s16, 0x8fada5c6
	s_mov_b32 s17, 0xbe978052
	v_fma_f64 v[16:17], v[9:10], v[14:15], -v[16:17]
	v_rndne_f64_e32 v[18:19], v[18:19]
	v_add_f64 v[16:17], v[16:17], s[16:17]
	s_mov_b32 s16, 0xfefa39ef
	s_mov_b32 s17, 0xbfe62e42
	v_fma_f64 v[20:21], v[18:19], s[16:17], -v[5:6]
	s_mov_b32 s16, 0x3b39803f
	s_mov_b32 s17, 0xbc7abc9e
	v_fma_f64 v[14:15], v[9:10], v[16:17], -v[14:15]
	v_fma_f64 v[20:21], v[18:19], s[16:17], v[20:21]
	s_mov_b32 s16, 0x1752d1b6
	s_mov_b32 s17, 0x3ec42fe3
	v_add_f64 v[14:15], v[14:15], s[16:17]
	s_mov_b32 s16, 0xfca7ab0c
	s_mov_b32 s17, 0x3e928af3
	v_fma_f64 v[22:23], v[20:21], s[18:19], s[16:17]
	s_mov_b32 s16, 0x623fde64
	s_mov_b32 s17, 0x3ec71dee
	v_fma_f64 v[16:17], v[9:10], v[14:15], -v[16:17]
	v_fma_f64 v[22:23], v[20:21], v[22:23], s[16:17]
	s_mov_b32 s16, 0x1dcdb2e5
	s_mov_b32 s17, 0xbef44d71
	v_add_f64 v[16:17], v[16:17], s[16:17]
	s_mov_b32 s16, 0x7c89e6b0
	s_mov_b32 s17, 0x3efa0199
	v_fma_f64 v[22:23], v[20:21], v[22:23], s[16:17]
	;; [unrolled: 10-line block ×5, first 2 shown]
	s_mov_b32 s16, 0xaa062c8a
	s_mov_b32 s17, 0x4005c3d7
	v_fma_f64 v[9:10], v[9:10], v[14:15], -v[16:17]
	v_fma_f64 v[14:15], v[30:31], v[26:27], v[28:29]
	v_cvt_i32_f64_e32 v30, v[18:19]
	v_fma_f64 v[22:23], v[20:21], v[22:23], 1.0
	v_add_f64 v[9:10], v[9:10], s[16:17]
	v_fma_f64 v[28:29], -v[14:15], v[14:15], v[24:25]
	v_fma_f64 v[18:19], v[20:21], v[22:23], 1.0
	v_add_f64 v[9:10], v[9:10], -v[16:17]
	v_fma_f64 v[14:15], v[28:29], v[26:27], v[14:15]
	v_ldexp_f64 v[16:17], v[18:19], v30
	v_mul_f64 v[5:6], v[9:10], 0.5
	v_cndmask_b32_e64 v9, 0, 0xffffff80, vcc_lo
	v_cmp_class_f64_e64 vcc_lo, v[24:25], 0x260
	v_ldexp_f64 v[9:10], v[14:15], v9
	v_cndmask_b32_e64 v15, 0, v17, s4
	v_cndmask_b32_e64 v14, 0, v16, s4
	v_mul_f64 v[5:6], v[14:15], v[5:6]
	v_cndmask_b32_e32 v10, v10, v25, vcc_lo
	v_cndmask_b32_e32 v9, v9, v24, vcc_lo
	v_div_scale_f64 v[14:15], null, v[9:10], v[9:10], v[5:6]
	v_rcp_f64_e32 v[16:17], v[14:15]
	v_fma_f64 v[18:19], -v[14:15], v[16:17], 1.0
	v_fma_f64 v[16:17], v[16:17], v[18:19], v[16:17]
	v_fma_f64 v[18:19], -v[14:15], v[16:17], 1.0
	v_fma_f64 v[16:17], v[16:17], v[18:19], v[16:17]
	v_div_scale_f64 v[18:19], vcc_lo, v[5:6], v[9:10], v[5:6]
	v_mul_f64 v[20:21], v[18:19], v[16:17]
	v_fma_f64 v[14:15], -v[14:15], v[20:21], v[18:19]
	v_div_fmas_f64 v[14:15], v[14:15], v[16:17], v[20:21]
	v_div_fixup_f64 v[9:10], v[14:15], v[9:10], v[5:6]
.LBB5_25:
	s_or_b32 exec_lo, exec_lo, s5
.LBB5_26:
	s_or_b32 exec_lo, exec_lo, s15
.LBB5_27:
	s_or_b32 exec_lo, exec_lo, s14
	s_mov_b32 s14, exec_lo
	v_cmpx_neq_f64_e32 0, v[7:8]
	s_cbranch_execz .LBB5_35
; %bb.28:
	v_mov_b32_e32 v11, 0
	v_mov_b32_e32 v12, 0x7ff80000
	s_mov_b32 s15, exec_lo
	v_cmpx_ngt_f64_e32 0, v[7:8]
	s_cbranch_execz .LBB5_34
; %bb.29:
	s_mov_b32 s4, exec_lo
	v_cmpx_ge_f64_e32 2.0, v[7:8]
	s_xor_b32 s16, exec_lo, s4
	s_cbranch_execz .LBB5_31
; %bb.30:
	v_fma_f64 v[5:6], v[7:8], 0.5, -2.0
	s_mov_b32 s4, 0xc38a0576
	s_mov_b32 s5, 0xbc7857d0
	;; [unrolled: 1-line block ×4, first 2 shown]
	v_mul_f64 v[16:17], v[7:8], 0.5
	v_fma_f64 v[32:33], v[7:8], v[7:8], -2.0
	s_mov_b32 s21, 0xbc603228
	s_mov_b32 s20, 0x3d3cda56
	;; [unrolled: 1-line block ×4, first 2 shown]
	v_fma_f64 v[11:12], v[5:6], s[18:19], s[4:5]
	s_mov_b32 s19, 0xbc499f2a
	s_mov_b32 s4, 0xe593bfac
	;; [unrolled: 1-line block ×3, first 2 shown]
	v_frexp_mant_f64_e32 v[18:19], v[16:17]
	v_frexp_exp_i32_f64_e32 v36, v[16:17]
	v_fma_f64 v[14:15], v[5:6], v[11:12], s[18:19]
	s_mov_b32 s18, 0x97eb07de
	s_mov_b32 s19, 0xbdd25103
	v_add_f64 v[14:15], v[14:15], s[4:5]
	s_mov_b32 s4, 0x7e0d1573
	s_mov_b32 s5, 0xbcd3eaaa
	v_fma_f64 v[11:12], v[5:6], v[14:15], -v[11:12]
	v_add_f64 v[11:12], v[11:12], s[4:5]
	s_mov_b32 s4, 0x615290c
	s_mov_b32 s5, 0x3d011d7f
	v_fma_f64 v[14:15], v[5:6], v[11:12], -v[14:15]
	;; [unrolled: 4-line block ×6, first 2 shown]
	v_add_f64 v[14:15], v[14:15], s[4:5]
	s_mov_b32 s5, 0x3fe55555
	s_mov_b32 s4, 0x55555555
	v_cmp_gt_f64_e32 vcc_lo, s[4:5], v[18:19]
	s_mov_b32 s4, 0x55555780
	v_fma_f64 v[11:12], v[5:6], v[14:15], -v[11:12]
	v_cndmask_b32_e64 v20, 0, 1, vcc_lo
	v_ldexp_f64 v[18:19], v[18:19], v20
	v_add_f64 v[11:12], v[11:12], s[18:19]
	s_mov_b32 s18, 0xb43fdf6c
	s_mov_b32 s19, 0x3df8ea34
	v_add_f64 v[20:21], v[18:19], 1.0
	v_add_f64 v[26:27], v[18:19], -1.0
	v_fma_f64 v[14:15], v[5:6], v[11:12], -v[14:15]
	v_rcp_f64_e32 v[22:23], v[20:21]
	v_add_f64 v[28:29], v[20:21], -1.0
	v_add_f64 v[14:15], v[14:15], s[18:19]
	s_mov_b32 s18, 0x28ea67e6
	s_mov_b32 s19, 0xbe20361b
	v_add_f64 v[18:19], v[18:19], -v[28:29]
	v_fma_f64 v[24:25], -v[20:21], v[22:23], 1.0
	v_fma_f64 v[11:12], v[5:6], v[14:15], -v[11:12]
	v_fma_f64 v[22:23], v[24:25], v[22:23], v[22:23]
	v_add_f64 v[11:12], v[11:12], s[18:19]
	s_mov_b32 s18, 0x2395010
	s_mov_b32 s19, 0x3e44258e
	v_fma_f64 v[24:25], -v[20:21], v[22:23], 1.0
	v_fma_f64 v[14:15], v[5:6], v[11:12], -v[14:15]
	v_fma_f64 v[22:23], v[24:25], v[22:23], v[22:23]
	v_add_f64 v[14:15], v[14:15], s[18:19]
	s_mov_b32 s18, 0x24b8c3e8
	s_mov_b32 s19, 0xbe67dd3e
	v_mul_f64 v[24:25], v[26:27], v[22:23]
	v_fma_f64 v[11:12], v[5:6], v[14:15], -v[11:12]
	v_mul_f64 v[30:31], v[20:21], v[24:25]
	v_add_f64 v[11:12], v[11:12], s[18:19]
	s_mov_b32 s18, 0xb347d108
	s_mov_b32 s19, 0x3e8ae344
	v_fma_f64 v[20:21], v[24:25], v[20:21], -v[30:31]
	v_fma_f64 v[14:15], v[5:6], v[11:12], -v[14:15]
	v_fma_f64 v[18:19], v[24:25], v[18:19], v[20:21]
	v_add_f64 v[14:15], v[14:15], s[18:19]
	s_mov_b32 s18, 0x7a0399e0
	s_mov_b32 s19, 0xbce5dd51
	v_fma_f64 v[34:35], v[32:33], s[20:21], s[18:19]
	s_mov_b32 s21, 0x3c603228
	s_mov_b32 s18, 0xddd0e045
	;; [unrolled: 1-line block ×3, first 2 shown]
	v_add_f64 v[20:21], v[30:31], v[18:19]
	v_fma_f64 v[11:12], v[5:6], v[14:15], -v[11:12]
	v_add_f64 v[28:29], v[26:27], -v[20:21]
	v_add_f64 v[30:31], v[20:21], -v[30:31]
	v_add_f64 v[11:12], v[11:12], s[22:23]
	s_mov_b32 s22, 0xd3d694fe
	s_mov_b32 s23, 0xbf2533ca
	v_add_f64 v[26:27], v[26:27], -v[28:29]
	v_add_f64 v[18:19], v[30:31], -v[18:19]
	v_fma_f64 v[14:15], v[5:6], v[11:12], -v[14:15]
	v_add_f64 v[20:21], v[26:27], -v[20:21]
	v_fma_f64 v[26:27], v[32:33], v[34:35], s[20:21]
	s_mov_b32 s20, 0xd511afc5
	s_mov_b32 s21, 0x3ecd1c4e
	v_add_f64 v[14:15], v[14:15], s[20:21]
	s_mov_b32 s20, 0xb8debbcf
	s_mov_b32 s21, 0xbeebd5f9
	v_add_f64 v[18:19], v[18:19], v[20:21]
	v_add_f64 v[20:21], v[26:27], s[18:19]
	s_mov_b32 s18, 0xb84626ca
	s_mov_b32 s19, 0xbde3663b
	v_fma_f64 v[11:12], v[5:6], v[14:15], -v[11:12]
	v_add_f64 v[18:19], v[28:29], v[18:19]
	v_fma_f64 v[26:27], v[32:33], v[20:21], -v[34:35]
	v_add_f64 v[11:12], v[11:12], s[20:21]
	s_mov_b32 s20, 0x42c70d0b
	s_mov_b32 s21, 0x3f0911b5
	v_mul_f64 v[18:19], v[22:23], v[18:19]
	v_add_f64 v[22:23], v[26:27], s[18:19]
	s_mov_b32 s18, 0x145c31d0
	s_mov_b32 s19, 0xbe57c41d
	v_fma_f64 v[14:15], v[5:6], v[11:12], -v[14:15]
	v_add_f64 v[26:27], v[24:25], v[18:19]
	v_fma_f64 v[20:21], v[32:33], v[22:23], -v[20:21]
	v_add_f64 v[14:15], v[14:15], s[20:21]
	s_mov_b32 s20, 0xbf559e2b
	s_mov_b32 s21, 0x3fc3ab76
	v_mul_f64 v[28:29], v[26:27], v[26:27]
	v_add_f64 v[20:21], v[20:21], s[18:19]
	s_mov_b32 s18, 0x6b47b09a
	s_mov_b32 s19, 0x3fc38538
	v_add_f64 v[24:25], v[26:27], -v[24:25]
	v_fma_f64 v[11:12], v[5:6], v[14:15], -v[11:12]
	v_fma_f64 v[30:31], v[28:29], s[20:21], s[18:19]
	v_fma_f64 v[22:23], v[32:33], v[20:21], -v[22:23]
	s_mov_b32 s18, 0x2c832e3a
	s_mov_b32 s19, 0xbec469b3
	;; [unrolled: 1-line block ×4, first 2 shown]
	v_mul_f64 v[34:35], v[26:27], v[28:29]
	v_add_f64 v[18:19], v[18:19], -v[24:25]
	v_add_f64 v[11:12], v[11:12], s[22:23]
	s_mov_b32 s22, 0xb6c6df7d
	s_mov_b32 s23, 0x3f40c95d
	v_fma_f64 v[30:31], v[28:29], v[30:31], s[20:21]
	v_add_f64 v[22:23], v[22:23], s[18:19]
	s_mov_b32 s18, 0x16291751
	s_mov_b32 s19, 0x3fcc71c0
	;; [unrolled: 1-line block ×4, first 2 shown]
	v_ldexp_f64 v[18:19], v[18:19], 1
	v_fma_f64 v[14:15], v[5:6], v[11:12], -v[14:15]
	v_fma_f64 v[30:31], v[28:29], v[30:31], s[18:19]
	v_fma_f64 v[20:21], v[32:33], v[22:23], -v[20:21]
	s_mov_b32 s18, 0xe5a3bd02
	s_mov_b32 s19, 0xbf26ade2
	v_add_f64 v[14:15], v[14:15], s[22:23]
	s_mov_b32 s22, 0xe7bb2349
	s_mov_b32 s23, 0x3f9951e3
	v_fma_f64 v[30:31], v[28:29], v[30:31], s[20:21]
	v_add_f64 v[20:21], v[20:21], s[18:19]
	s_mov_b32 s18, 0x998ef7b6
	s_mov_b32 s19, 0x3fd99999
	;; [unrolled: 1-line block ×4, first 2 shown]
	v_fma_f64 v[11:12], v[5:6], v[14:15], -v[11:12]
	v_fma_f64 v[30:31], v[28:29], v[30:31], s[18:19]
	v_fma_f64 v[22:23], v[32:33], v[20:21], -v[22:23]
	s_mov_b32 s18, 0x9d7d4192
	s_mov_b32 s19, 0xbf7c9293
	v_add_f64 v[11:12], v[11:12], s[20:21]
	s_mov_b32 s20, 0x49d3a1b4
	s_mov_b32 s21, 0x3f710653
	v_fma_f64 v[28:29], v[28:29], v[30:31], s[4:5]
	v_add_f64 v[22:23], v[22:23], s[18:19]
	v_ldexp_f64 v[30:31], v[26:27], 1
	s_mov_b32 s4, 0x43c1db74
	s_mov_b32 s5, 0xbfbf6372
	;; [unrolled: 1-line block ×4, first 2 shown]
	v_fma_f64 v[14:15], v[5:6], v[11:12], -v[14:15]
	v_mul_f64 v[28:29], v[34:35], v[28:29]
	v_fma_f64 v[20:21], v[32:33], v[22:23], -v[20:21]
	v_subrev_co_ci_u32_e64 v34, null, 0, v36, vcc_lo
	v_mul_f64 v[36:37], v[7:8], s[18:19]
	s_mov_b32 s18, 0x757b0dd4
	s_mov_b32 s19, 0xbfd69a1b
	v_cvt_f64_i32_e32 v[34:35], v34
	v_add_f64 v[14:15], v[14:15], s[20:21]
	s_mov_b32 s20, 0x7913a26a
	s_mov_b32 s21, 0xbf85a29f
	v_add_f64 v[26:27], v[30:31], v[28:29]
	v_add_f64 v[20:21], v[20:21], s[4:5]
	s_mov_b32 s5, 0x3fe62e42
	s_mov_b32 s4, 0xfefa39ef
	v_mul_f64 v[38:39], v[34:35], s[4:5]
	v_fma_f64 v[11:12], v[5:6], v[14:15], -v[11:12]
	v_add_f64 v[24:25], v[26:27], -v[30:31]
	v_fma_f64 v[22:23], v[32:33], v[20:21], -v[22:23]
	v_rndne_f64_e32 v[30:31], v[36:37]
	v_fma_f64 v[36:37], v[34:35], s[4:5], -v[38:39]
	s_mov_b32 s5, 0xbfe62e42
	v_add_f64 v[11:12], v[11:12], s[20:21]
	s_mov_b32 s20, 0x6a5dcb37
	s_mov_b32 s21, 0x3e5ade15
	v_add_f64 v[24:25], v[28:29], -v[24:25]
	v_add_f64 v[22:23], v[22:23], s[18:19]
	v_fma_f64 v[28:29], v[30:31], s[4:5], v[7:8]
	s_mov_b32 s5, 0x3c7abc9e
	s_mov_b32 s4, 0x3b39803f
	;; [unrolled: 1-line block ×4, first 2 shown]
	v_fma_f64 v[34:35], v[34:35], s[4:5], v[36:37]
	s_mov_b32 s5, 0xbc7abc9e
	v_fma_f64 v[14:15], v[5:6], v[11:12], -v[14:15]
	v_add_f64 v[18:19], v[18:19], v[24:25]
	v_fma_f64 v[22:23], v[32:33], v[22:23], -v[20:21]
	v_fma_f64 v[24:25], v[30:31], s[4:5], v[28:29]
	s_mov_b32 s4, 0x361008ca
	s_mov_b32 s5, 0x3ff867a1
	v_add_f64 v[28:29], v[38:39], v[34:35]
	v_add_f64 v[14:15], v[14:15], s[22:23]
	;; [unrolled: 1-line block ×4, first 2 shown]
	v_fma_f64 v[36:37], v[24:25], s[20:21], s[18:19]
	s_mov_b32 s4, 0x623fde64
	s_mov_b32 s5, 0x3ec71dee
	;; [unrolled: 1-line block ×4, first 2 shown]
	v_add_f64 v[38:39], v[28:29], -v[38:39]
	v_fma_f64 v[11:12], v[5:6], v[14:15], -v[11:12]
	v_add_f64 v[40:41], v[28:29], v[32:33]
	v_add_f64 v[20:21], v[22:23], -v[20:21]
	v_fma_f64 v[36:37], v[24:25], v[36:37], s[4:5]
	s_mov_b32 s4, 0x7c89e6b0
	s_mov_b32 s5, 0x3efa0199
	v_add_f64 v[26:27], v[32:33], -v[26:27]
	v_add_f64 v[34:35], v[34:35], -v[38:39]
	v_add_f64 v[11:12], v[11:12], s[18:19]
	s_mov_b32 s18, 0xd536f53c
	s_mov_b32 s19, 0x3fba46da
	v_add_f64 v[22:23], v[40:41], -v[28:29]
	v_mul_f64 v[20:21], v[20:21], 0.5
	v_fma_f64 v[36:37], v[24:25], v[36:37], s[4:5]
	s_mov_b32 s4, 0x14761f6e
	s_mov_b32 s5, 0x3f2a01a0
	v_add_f64 v[18:19], v[18:19], -v[26:27]
	v_fma_f64 v[14:15], v[5:6], v[11:12], -v[14:15]
	v_add_f64 v[42:43], v[40:41], -v[22:23]
	v_div_scale_f64 v[44:45], null, v[7:8], v[7:8], v[20:21]
	v_fma_f64 v[36:37], v[24:25], v[36:37], s[4:5]
	s_mov_b32 s4, 0x1852b7b0
	s_mov_b32 s5, 0x3f56c16c
	v_add_f64 v[22:23], v[32:33], -v[22:23]
	v_add_f64 v[14:15], v[14:15], s[18:19]
	s_mov_b32 s18, 0x469192e
	s_mov_b32 s19, 0xbfc694d1
	v_add_f64 v[26:27], v[28:29], -v[42:43]
	v_rcp_f64_e32 v[32:33], v[44:45]
	v_fma_f64 v[28:29], v[24:25], v[36:37], s[4:5]
	s_mov_b32 s4, 0x11122322
	s_mov_b32 s5, 0x3f811111
	v_add_f64 v[36:37], v[34:35], v[18:19]
	v_fma_f64 v[11:12], v[5:6], v[14:15], -v[11:12]
	v_add_f64 v[22:23], v[22:23], v[26:27]
	v_fma_f64 v[26:27], v[24:25], v[28:29], s[4:5]
	v_fma_f64 v[28:29], -v[44:45], v[32:33], 1.0
	s_mov_b32 s4, 0x555502a1
	s_mov_b32 s5, 0x3fa55555
	v_add_f64 v[38:39], v[36:37], -v[34:35]
	v_add_f64 v[11:12], v[11:12], s[18:19]
	s_mov_b32 s18, 0x724a7ffa
	s_mov_b32 s19, 0x3fd02a63
	v_add_f64 v[22:23], v[36:37], v[22:23]
	v_fma_f64 v[26:27], v[24:25], v[26:27], s[4:5]
	v_fma_f64 v[28:29], v[32:33], v[28:29], v[32:33]
	s_mov_b32 s4, 0x55555511
	s_mov_b32 s5, 0x3fc55555
	v_add_f64 v[32:33], v[36:37], -v[38:39]
	v_add_f64 v[18:19], v[18:19], -v[38:39]
	v_div_scale_f64 v[38:39], vcc_lo, v[20:21], v[7:8], v[20:21]
	v_fma_f64 v[5:6], v[5:6], v[11:12], -v[14:15]
	v_add_f64 v[36:37], v[40:41], v[22:23]
	v_fma_f64 v[26:27], v[24:25], v[26:27], s[4:5]
	v_fma_f64 v[11:12], -v[44:45], v[28:29], 1.0
	s_mov_b32 s4, 11
	s_mov_b32 s5, 0x3fe00000
	v_add_f64 v[32:33], v[34:35], -v[32:33]
	v_add_f64 v[5:6], v[5:6], s[18:19]
	v_add_f64 v[34:35], v[36:37], -v[40:41]
	v_fma_f64 v[26:27], v[24:25], v[26:27], s[4:5]
	v_fma_f64 v[11:12], v[28:29], v[11:12], v[28:29]
	v_cvt_i32_f64_e32 v28, v[30:31]
	v_cmp_neq_f64_e64 s4, 0, v[16:17]
	v_add_f64 v[18:19], v[18:19], v[32:33]
	v_add_f64 v[5:6], v[5:6], -v[14:15]
	v_add_f64 v[22:23], v[22:23], -v[34:35]
	v_fma_f64 v[26:27], v[24:25], v[26:27], 1.0
	v_mul_f64 v[14:15], v[38:39], v[11:12]
	v_mul_f64 v[5:6], v[5:6], 0.5
	v_add_f64 v[18:19], v[18:19], v[22:23]
	v_fma_f64 v[22:23], v[24:25], v[26:27], 1.0
	v_fma_f64 v[24:25], -v[44:45], v[14:15], v[38:39]
	v_mul_f64 v[5:6], v[7:8], v[5:6]
	v_add_f64 v[18:19], v[36:37], v[18:19]
	v_ldexp_f64 v[22:23], v[22:23], v28
	v_div_fmas_f64 v[11:12], v[24:25], v[11:12], v[14:15]
	v_cmp_neq_f64_e32 vcc_lo, 0x7ff00000, v[16:17]
	v_mul_f64 v[5:6], v[22:23], v[5:6]
	v_div_fixup_f64 v[7:8], v[11:12], v[7:8], v[20:21]
	v_cndmask_b32_e32 v14, 0x7ff00000, v19, vcc_lo
	s_and_b32 vcc_lo, s4, vcc_lo
	v_cndmask_b32_e32 v11, 0, v18, vcc_lo
	v_cndmask_b32_e64 v12, 0xfff00000, v14, s4
	v_fma_f64 v[11:12], v[11:12], v[5:6], v[7:8]
                                        ; implicit-def: $vgpr7_vgpr8
.LBB5_31:
	s_andn2_saveexec_b32 s5, s16
	s_cbranch_execz .LBB5_33
; %bb.32:
	v_div_scale_f64 v[5:6], null, v[7:8], v[7:8], 0x40200000
	v_div_scale_f64 v[16:17], vcc_lo, 0x40200000, v[7:8], 0x40200000
	s_mov_b32 s16, 0x838f5ed3
	s_mov_b32 s17, 0x3c74af1a
	;; [unrolled: 1-line block ×4, first 2 shown]
	v_cmp_nlt_f64_e64 s4, 0x4090cc00, v[7:8]
	v_rcp_f64_e32 v[11:12], v[5:6]
	v_fma_f64 v[14:15], -v[5:6], v[11:12], 1.0
	v_fma_f64 v[11:12], v[11:12], v[14:15], v[11:12]
	v_fma_f64 v[14:15], -v[5:6], v[11:12], 1.0
	v_fma_f64 v[11:12], v[11:12], v[14:15], v[11:12]
	v_mul_f64 v[14:15], v[16:17], v[11:12]
	v_fma_f64 v[5:6], -v[5:6], v[14:15], v[16:17]
	v_div_fmas_f64 v[5:6], v[5:6], v[11:12], v[14:15]
	v_cmp_gt_f64_e32 vcc_lo, 0x10000000, v[7:8]
	v_div_fixup_f64 v[5:6], v[5:6], v[7:8], 0x40200000
	v_cndmask_b32_e64 v22, 0, 0x100, vcc_lo
	v_ldexp_f64 v[22:23], v[7:8], v22
	v_add_f64 v[5:6], v[5:6], -2.0
	v_rsq_f64_e32 v[24:25], v[22:23]
	v_fma_f64 v[11:12], v[5:6], s[18:19], s[16:17]
	s_mov_b32 s19, 0x3c5a8c5d
	s_mov_b32 s16, 0x17771d52
	;; [unrolled: 1-line block ×3, first 2 shown]
	v_mul_f64 v[26:27], v[22:23], v[24:25]
	v_mul_f64 v[24:25], v[24:25], 0.5
	v_fma_f64 v[14:15], v[5:6], v[11:12], s[18:19]
	s_mov_b32 s18, 0x6a5dcb37
	s_mov_b32 s19, 0x3e5ade15
	v_fma_f64 v[28:29], -v[24:25], v[26:27], 0.5
	v_add_f64 v[14:15], v[14:15], s[16:17]
	s_mov_b32 s16, 0x44ee2c0b
	s_mov_b32 s17, 0x3caa7d5e
	v_fma_f64 v[26:27], v[26:27], v[28:29], v[26:27]
	v_fma_f64 v[24:25], v[24:25], v[28:29], v[24:25]
	v_fma_f64 v[11:12], v[5:6], v[14:15], -v[11:12]
	v_fma_f64 v[28:29], -v[26:27], v[26:27], v[22:23]
	v_add_f64 v[11:12], v[11:12], s[16:17]
	s_mov_b32 s16, 0xd8758ef2
	s_mov_b32 s17, 0xbcc5d2a3
	v_fma_f64 v[14:15], v[5:6], v[11:12], -v[14:15]
	v_add_f64 v[14:15], v[14:15], s[16:17]
	s_mov_b32 s16, 0xefee81bd
	s_mov_b32 s17, 0x3ce25ced
	v_fma_f64 v[11:12], v[5:6], v[14:15], -v[11:12]
	;; [unrolled: 4-line block ×14, first 2 shown]
	v_add_f64 v[11:12], v[11:12], s[16:17]
	s_mov_b32 s16, 0x652b82fe
	s_mov_b32 s17, 0xbff71547
	v_mul_f64 v[16:17], v[7:8], s[16:17]
	s_mov_b32 s16, 0x8fada5c6
	s_mov_b32 s17, 0xbe978052
	v_fma_f64 v[14:15], v[5:6], v[11:12], -v[14:15]
	v_rndne_f64_e32 v[16:17], v[16:17]
	v_add_f64 v[14:15], v[14:15], s[16:17]
	s_mov_b32 s16, 0xfefa39ef
	s_mov_b32 s17, 0xbfe62e42
	v_fma_f64 v[18:19], v[16:17], s[16:17], -v[7:8]
	s_mov_b32 s16, 0x3b39803f
	s_mov_b32 s17, 0xbc7abc9e
	v_cndmask_b32_e64 v7, 0, 0xffffff80, vcc_lo
	v_cmp_class_f64_e64 vcc_lo, v[22:23], 0x260
	v_fma_f64 v[11:12], v[5:6], v[14:15], -v[11:12]
	v_fma_f64 v[18:19], v[16:17], s[16:17], v[18:19]
	s_mov_b32 s16, 0x1752d1b6
	s_mov_b32 s17, 0x3ec42fe3
	v_add_f64 v[11:12], v[11:12], s[16:17]
	s_mov_b32 s16, 0xfca7ab0c
	s_mov_b32 s17, 0x3e928af3
	v_fma_f64 v[20:21], v[18:19], s[18:19], s[16:17]
	s_mov_b32 s16, 0x623fde64
	s_mov_b32 s17, 0x3ec71dee
	v_fma_f64 v[14:15], v[5:6], v[11:12], -v[14:15]
	v_fma_f64 v[20:21], v[18:19], v[20:21], s[16:17]
	s_mov_b32 s16, 0x1dcdb2e5
	s_mov_b32 s17, 0xbef44d71
	v_add_f64 v[14:15], v[14:15], s[16:17]
	s_mov_b32 s16, 0x7c89e6b0
	s_mov_b32 s17, 0x3efa0199
	v_fma_f64 v[20:21], v[18:19], v[20:21], s[16:17]
	s_mov_b32 s16, 0x14761f6e
	s_mov_b32 s17, 0x3f2a01a0
	;; [unrolled: 10-line block ×5, first 2 shown]
	v_fma_f64 v[5:6], v[5:6], v[11:12], -v[14:15]
	v_fma_f64 v[11:12], v[28:29], v[24:25], v[26:27]
	v_cvt_i32_f64_e32 v28, v[16:17]
	v_fma_f64 v[20:21], v[18:19], v[20:21], 1.0
	v_add_f64 v[5:6], v[5:6], s[16:17]
	v_fma_f64 v[26:27], -v[11:12], v[11:12], v[22:23]
	v_fma_f64 v[16:17], v[18:19], v[20:21], 1.0
	v_add_f64 v[5:6], v[5:6], -v[14:15]
	v_fma_f64 v[11:12], v[26:27], v[24:25], v[11:12]
	v_ldexp_f64 v[14:15], v[16:17], v28
	v_mul_f64 v[5:6], v[5:6], 0.5
	v_ldexp_f64 v[7:8], v[11:12], v7
	v_cndmask_b32_e64 v12, 0, v15, s4
	v_cndmask_b32_e64 v11, 0, v14, s4
	v_mul_f64 v[5:6], v[11:12], v[5:6]
	v_cndmask_b32_e32 v8, v8, v23, vcc_lo
	v_cndmask_b32_e32 v7, v7, v22, vcc_lo
	v_div_scale_f64 v[11:12], null, v[7:8], v[7:8], v[5:6]
	v_rcp_f64_e32 v[14:15], v[11:12]
	v_fma_f64 v[16:17], -v[11:12], v[14:15], 1.0
	v_fma_f64 v[14:15], v[14:15], v[16:17], v[14:15]
	v_fma_f64 v[16:17], -v[11:12], v[14:15], 1.0
	v_fma_f64 v[14:15], v[14:15], v[16:17], v[14:15]
	v_div_scale_f64 v[16:17], vcc_lo, v[5:6], v[7:8], v[5:6]
	v_mul_f64 v[18:19], v[16:17], v[14:15]
	v_fma_f64 v[11:12], -v[11:12], v[18:19], v[16:17]
	v_div_fmas_f64 v[11:12], v[11:12], v[14:15], v[18:19]
	v_div_fixup_f64 v[11:12], v[11:12], v[7:8], v[5:6]
.LBB5_33:
	s_or_b32 exec_lo, exec_lo, s5
.LBB5_34:
	s_or_b32 exec_lo, exec_lo, s15
.LBB5_35:
	s_or_b32 exec_lo, exec_lo, s14
	s_add_u32 s4, s8, s12
	s_addc_u32 s5, s9, s13
	v_add_co_u32 v5, s12, s4, v13
	v_add_co_ci_u32_e64 v6, null, s5, 0, s12
	global_store_dwordx4 v13, v[1:4], s[4:5]
	v_add_co_u32 v5, vcc_lo, 0x1000, v5
	v_add_co_ci_u32_e64 v6, null, 0, v6, vcc_lo
	global_store_dwordx4 v[5:6], v[9:12], off
	s_branch .LBB5_2
.LBB5_36:
	v_mov_b32_e32 v31, v0
	v_mov_b32_e32 v0, s8
	v_mov_b32_e32 v1, s9
	v_mov_b32_e32 v2, s10
	v_mov_b32_e32 v3, s11
	v_mov_b32_e32 v4, s7
	s_getpc_b64 s[4:5]
	s_add_u32 s4, s4, _ZN2at6native25elementwise_kernel_helperILb0EZZZNS0_12_GLOBAL__N_130modified_bessel_k1_kernel_cudaERNS_18TensorIteratorBaseEENKUlvE_clEvENKUlvE_clEvEUldE_NS0_6memory8policies11unroll_baseILi256ESt5arrayIPcLm2EE23TrivialOffsetCalculatorILi1EjESF_NS8_15LoadWithoutCastENS8_16StoreWithoutCastELi4ELi1EEEEEvT0_T1_@rel32@lo+4
	s_addc_u32 s5, s5, _ZN2at6native25elementwise_kernel_helperILb0EZZZNS0_12_GLOBAL__N_130modified_bessel_k1_kernel_cudaERNS_18TensorIteratorBaseEENKUlvE_clEvENKUlvE_clEvEUldE_NS0_6memory8policies11unroll_baseILi256ESt5arrayIPcLm2EE23TrivialOffsetCalculatorILi1EjESF_NS8_15LoadWithoutCastENS8_16StoreWithoutCastELi4ELi1EEEEEvT0_T1_@rel32@hi+12
	s_mov_b32 s12, s6
	s_swappc_b64 s[30:31], s[4:5]
	s_endpgm
	.section	.rodata,"a",@progbits
	.p2align	6, 0x0
	.amdhsa_kernel _ZN2at6native29vectorized_elementwise_kernelILi2EZZZNS0_12_GLOBAL__N_130modified_bessel_k1_kernel_cudaERNS_18TensorIteratorBaseEENKUlvE_clEvENKUlvE_clEvEUldE_St5arrayIPcLm2EEEEviT0_T1_
		.amdhsa_group_segment_fixed_size 0
		.amdhsa_private_segment_fixed_size 0
		.amdhsa_kernarg_size 24
		.amdhsa_user_sgpr_count 6
		.amdhsa_user_sgpr_private_segment_buffer 1
		.amdhsa_user_sgpr_dispatch_ptr 0
		.amdhsa_user_sgpr_queue_ptr 0
		.amdhsa_user_sgpr_kernarg_segment_ptr 1
		.amdhsa_user_sgpr_dispatch_id 0
		.amdhsa_user_sgpr_flat_scratch_init 0
		.amdhsa_user_sgpr_private_segment_size 0
		.amdhsa_wavefront_size32 1
		.amdhsa_uses_dynamic_stack 0
		.amdhsa_system_sgpr_private_segment_wavefront_offset 0
		.amdhsa_system_sgpr_workgroup_id_x 1
		.amdhsa_system_sgpr_workgroup_id_y 0
		.amdhsa_system_sgpr_workgroup_id_z 0
		.amdhsa_system_sgpr_workgroup_info 0
		.amdhsa_system_vgpr_workitem_id 0
		.amdhsa_next_free_vgpr 70
		.amdhsa_next_free_sgpr 33
		.amdhsa_reserve_vcc 1
		.amdhsa_reserve_flat_scratch 0
		.amdhsa_float_round_mode_32 0
		.amdhsa_float_round_mode_16_64 0
		.amdhsa_float_denorm_mode_32 3
		.amdhsa_float_denorm_mode_16_64 3
		.amdhsa_dx10_clamp 1
		.amdhsa_ieee_mode 1
		.amdhsa_fp16_overflow 0
		.amdhsa_workgroup_processor_mode 1
		.amdhsa_memory_ordered 1
		.amdhsa_forward_progress 1
		.amdhsa_shared_vgpr_count 0
		.amdhsa_exception_fp_ieee_invalid_op 0
		.amdhsa_exception_fp_denorm_src 0
		.amdhsa_exception_fp_ieee_div_zero 0
		.amdhsa_exception_fp_ieee_overflow 0
		.amdhsa_exception_fp_ieee_underflow 0
		.amdhsa_exception_fp_ieee_inexact 0
		.amdhsa_exception_int_div_zero 0
	.end_amdhsa_kernel
	.section	.text._ZN2at6native29vectorized_elementwise_kernelILi2EZZZNS0_12_GLOBAL__N_130modified_bessel_k1_kernel_cudaERNS_18TensorIteratorBaseEENKUlvE_clEvENKUlvE_clEvEUldE_St5arrayIPcLm2EEEEviT0_T1_,"axG",@progbits,_ZN2at6native29vectorized_elementwise_kernelILi2EZZZNS0_12_GLOBAL__N_130modified_bessel_k1_kernel_cudaERNS_18TensorIteratorBaseEENKUlvE_clEvENKUlvE_clEvEUldE_St5arrayIPcLm2EEEEviT0_T1_,comdat
.Lfunc_end5:
	.size	_ZN2at6native29vectorized_elementwise_kernelILi2EZZZNS0_12_GLOBAL__N_130modified_bessel_k1_kernel_cudaERNS_18TensorIteratorBaseEENKUlvE_clEvENKUlvE_clEvEUldE_St5arrayIPcLm2EEEEviT0_T1_, .Lfunc_end5-_ZN2at6native29vectorized_elementwise_kernelILi2EZZZNS0_12_GLOBAL__N_130modified_bessel_k1_kernel_cudaERNS_18TensorIteratorBaseEENKUlvE_clEvENKUlvE_clEvEUldE_St5arrayIPcLm2EEEEviT0_T1_
                                        ; -- End function
	.set _ZN2at6native29vectorized_elementwise_kernelILi2EZZZNS0_12_GLOBAL__N_130modified_bessel_k1_kernel_cudaERNS_18TensorIteratorBaseEENKUlvE_clEvENKUlvE_clEvEUldE_St5arrayIPcLm2EEEEviT0_T1_.num_vgpr, max(48, .L_ZN2at6native25elementwise_kernel_helperILb0EZZZNS0_12_GLOBAL__N_130modified_bessel_k1_kernel_cudaERNS_18TensorIteratorBaseEENKUlvE_clEvENKUlvE_clEvEUldE_NS0_6memory8policies11unroll_baseILi256ESt5arrayIPcLm2EE23TrivialOffsetCalculatorILi1EjESF_NS8_15LoadWithoutCastENS8_16StoreWithoutCastELi4ELi1EEEEEvT0_T1_.num_vgpr)
	.set _ZN2at6native29vectorized_elementwise_kernelILi2EZZZNS0_12_GLOBAL__N_130modified_bessel_k1_kernel_cudaERNS_18TensorIteratorBaseEENKUlvE_clEvENKUlvE_clEvEUldE_St5arrayIPcLm2EEEEviT0_T1_.num_agpr, max(0, .L_ZN2at6native25elementwise_kernel_helperILb0EZZZNS0_12_GLOBAL__N_130modified_bessel_k1_kernel_cudaERNS_18TensorIteratorBaseEENKUlvE_clEvENKUlvE_clEvEUldE_NS0_6memory8policies11unroll_baseILi256ESt5arrayIPcLm2EE23TrivialOffsetCalculatorILi1EjESF_NS8_15LoadWithoutCastENS8_16StoreWithoutCastELi4ELi1EEEEEvT0_T1_.num_agpr)
	.set _ZN2at6native29vectorized_elementwise_kernelILi2EZZZNS0_12_GLOBAL__N_130modified_bessel_k1_kernel_cudaERNS_18TensorIteratorBaseEENKUlvE_clEvENKUlvE_clEvEUldE_St5arrayIPcLm2EEEEviT0_T1_.numbered_sgpr, max(33, .L_ZN2at6native25elementwise_kernel_helperILb0EZZZNS0_12_GLOBAL__N_130modified_bessel_k1_kernel_cudaERNS_18TensorIteratorBaseEENKUlvE_clEvENKUlvE_clEvEUldE_NS0_6memory8policies11unroll_baseILi256ESt5arrayIPcLm2EE23TrivialOffsetCalculatorILi1EjESF_NS8_15LoadWithoutCastENS8_16StoreWithoutCastELi4ELi1EEEEEvT0_T1_.numbered_sgpr)
	.set _ZN2at6native29vectorized_elementwise_kernelILi2EZZZNS0_12_GLOBAL__N_130modified_bessel_k1_kernel_cudaERNS_18TensorIteratorBaseEENKUlvE_clEvENKUlvE_clEvEUldE_St5arrayIPcLm2EEEEviT0_T1_.num_named_barrier, max(0, .L_ZN2at6native25elementwise_kernel_helperILb0EZZZNS0_12_GLOBAL__N_130modified_bessel_k1_kernel_cudaERNS_18TensorIteratorBaseEENKUlvE_clEvENKUlvE_clEvEUldE_NS0_6memory8policies11unroll_baseILi256ESt5arrayIPcLm2EE23TrivialOffsetCalculatorILi1EjESF_NS8_15LoadWithoutCastENS8_16StoreWithoutCastELi4ELi1EEEEEvT0_T1_.num_named_barrier)
	.set _ZN2at6native29vectorized_elementwise_kernelILi2EZZZNS0_12_GLOBAL__N_130modified_bessel_k1_kernel_cudaERNS_18TensorIteratorBaseEENKUlvE_clEvENKUlvE_clEvEUldE_St5arrayIPcLm2EEEEviT0_T1_.private_seg_size, 0+max(.L_ZN2at6native25elementwise_kernel_helperILb0EZZZNS0_12_GLOBAL__N_130modified_bessel_k1_kernel_cudaERNS_18TensorIteratorBaseEENKUlvE_clEvENKUlvE_clEvEUldE_NS0_6memory8policies11unroll_baseILi256ESt5arrayIPcLm2EE23TrivialOffsetCalculatorILi1EjESF_NS8_15LoadWithoutCastENS8_16StoreWithoutCastELi4ELi1EEEEEvT0_T1_.private_seg_size)
	.set _ZN2at6native29vectorized_elementwise_kernelILi2EZZZNS0_12_GLOBAL__N_130modified_bessel_k1_kernel_cudaERNS_18TensorIteratorBaseEENKUlvE_clEvENKUlvE_clEvEUldE_St5arrayIPcLm2EEEEviT0_T1_.uses_vcc, or(1, .L_ZN2at6native25elementwise_kernel_helperILb0EZZZNS0_12_GLOBAL__N_130modified_bessel_k1_kernel_cudaERNS_18TensorIteratorBaseEENKUlvE_clEvENKUlvE_clEvEUldE_NS0_6memory8policies11unroll_baseILi256ESt5arrayIPcLm2EE23TrivialOffsetCalculatorILi1EjESF_NS8_15LoadWithoutCastENS8_16StoreWithoutCastELi4ELi1EEEEEvT0_T1_.uses_vcc)
	.set _ZN2at6native29vectorized_elementwise_kernelILi2EZZZNS0_12_GLOBAL__N_130modified_bessel_k1_kernel_cudaERNS_18TensorIteratorBaseEENKUlvE_clEvENKUlvE_clEvEUldE_St5arrayIPcLm2EEEEviT0_T1_.uses_flat_scratch, or(0, .L_ZN2at6native25elementwise_kernel_helperILb0EZZZNS0_12_GLOBAL__N_130modified_bessel_k1_kernel_cudaERNS_18TensorIteratorBaseEENKUlvE_clEvENKUlvE_clEvEUldE_NS0_6memory8policies11unroll_baseILi256ESt5arrayIPcLm2EE23TrivialOffsetCalculatorILi1EjESF_NS8_15LoadWithoutCastENS8_16StoreWithoutCastELi4ELi1EEEEEvT0_T1_.uses_flat_scratch)
	.set _ZN2at6native29vectorized_elementwise_kernelILi2EZZZNS0_12_GLOBAL__N_130modified_bessel_k1_kernel_cudaERNS_18TensorIteratorBaseEENKUlvE_clEvENKUlvE_clEvEUldE_St5arrayIPcLm2EEEEviT0_T1_.has_dyn_sized_stack, or(0, .L_ZN2at6native25elementwise_kernel_helperILb0EZZZNS0_12_GLOBAL__N_130modified_bessel_k1_kernel_cudaERNS_18TensorIteratorBaseEENKUlvE_clEvENKUlvE_clEvEUldE_NS0_6memory8policies11unroll_baseILi256ESt5arrayIPcLm2EE23TrivialOffsetCalculatorILi1EjESF_NS8_15LoadWithoutCastENS8_16StoreWithoutCastELi4ELi1EEEEEvT0_T1_.has_dyn_sized_stack)
	.set _ZN2at6native29vectorized_elementwise_kernelILi2EZZZNS0_12_GLOBAL__N_130modified_bessel_k1_kernel_cudaERNS_18TensorIteratorBaseEENKUlvE_clEvENKUlvE_clEvEUldE_St5arrayIPcLm2EEEEviT0_T1_.has_recursion, or(0, .L_ZN2at6native25elementwise_kernel_helperILb0EZZZNS0_12_GLOBAL__N_130modified_bessel_k1_kernel_cudaERNS_18TensorIteratorBaseEENKUlvE_clEvENKUlvE_clEvEUldE_NS0_6memory8policies11unroll_baseILi256ESt5arrayIPcLm2EE23TrivialOffsetCalculatorILi1EjESF_NS8_15LoadWithoutCastENS8_16StoreWithoutCastELi4ELi1EEEEEvT0_T1_.has_recursion)
	.set _ZN2at6native29vectorized_elementwise_kernelILi2EZZZNS0_12_GLOBAL__N_130modified_bessel_k1_kernel_cudaERNS_18TensorIteratorBaseEENKUlvE_clEvENKUlvE_clEvEUldE_St5arrayIPcLm2EEEEviT0_T1_.has_indirect_call, or(0, .L_ZN2at6native25elementwise_kernel_helperILb0EZZZNS0_12_GLOBAL__N_130modified_bessel_k1_kernel_cudaERNS_18TensorIteratorBaseEENKUlvE_clEvENKUlvE_clEvEUldE_NS0_6memory8policies11unroll_baseILi256ESt5arrayIPcLm2EE23TrivialOffsetCalculatorILi1EjESF_NS8_15LoadWithoutCastENS8_16StoreWithoutCastELi4ELi1EEEEEvT0_T1_.has_indirect_call)
	.section	.AMDGPU.csdata,"",@progbits
; Kernel info:
; codeLenInByte = 16588
; TotalNumSgprs: 35
; NumVgprs: 70
; ScratchSize: 0
; MemoryBound: 0
; FloatMode: 240
; IeeeMode: 1
; LDSByteSize: 0 bytes/workgroup (compile time only)
; SGPRBlocks: 0
; VGPRBlocks: 8
; NumSGPRsForWavesPerEU: 35
; NumVGPRsForWavesPerEU: 70
; Occupancy: 12
; WaveLimiterHint : 1
; COMPUTE_PGM_RSRC2:SCRATCH_EN: 0
; COMPUTE_PGM_RSRC2:USER_SGPR: 6
; COMPUTE_PGM_RSRC2:TRAP_HANDLER: 0
; COMPUTE_PGM_RSRC2:TGID_X_EN: 1
; COMPUTE_PGM_RSRC2:TGID_Y_EN: 0
; COMPUTE_PGM_RSRC2:TGID_Z_EN: 0
; COMPUTE_PGM_RSRC2:TIDIG_COMP_CNT: 0
	.section	.text._ZN2at6native27unrolled_elementwise_kernelIZZZNS0_12_GLOBAL__N_130modified_bessel_k1_kernel_cudaERNS_18TensorIteratorBaseEENKUlvE_clEvENKUlvE_clEvEUldE_St5arrayIPcLm2EELi4E23TrivialOffsetCalculatorILi1EjESC_NS0_6memory15LoadWithoutCastENSD_16StoreWithoutCastEEEviT_T0_T2_T3_T4_T5_,"axG",@progbits,_ZN2at6native27unrolled_elementwise_kernelIZZZNS0_12_GLOBAL__N_130modified_bessel_k1_kernel_cudaERNS_18TensorIteratorBaseEENKUlvE_clEvENKUlvE_clEvEUldE_St5arrayIPcLm2EELi4E23TrivialOffsetCalculatorILi1EjESC_NS0_6memory15LoadWithoutCastENSD_16StoreWithoutCastEEEviT_T0_T2_T3_T4_T5_,comdat
	.globl	_ZN2at6native27unrolled_elementwise_kernelIZZZNS0_12_GLOBAL__N_130modified_bessel_k1_kernel_cudaERNS_18TensorIteratorBaseEENKUlvE_clEvENKUlvE_clEvEUldE_St5arrayIPcLm2EELi4E23TrivialOffsetCalculatorILi1EjESC_NS0_6memory15LoadWithoutCastENSD_16StoreWithoutCastEEEviT_T0_T2_T3_T4_T5_ ; -- Begin function _ZN2at6native27unrolled_elementwise_kernelIZZZNS0_12_GLOBAL__N_130modified_bessel_k1_kernel_cudaERNS_18TensorIteratorBaseEENKUlvE_clEvENKUlvE_clEvEUldE_St5arrayIPcLm2EELi4E23TrivialOffsetCalculatorILi1EjESC_NS0_6memory15LoadWithoutCastENSD_16StoreWithoutCastEEEviT_T0_T2_T3_T4_T5_
	.p2align	8
	.type	_ZN2at6native27unrolled_elementwise_kernelIZZZNS0_12_GLOBAL__N_130modified_bessel_k1_kernel_cudaERNS_18TensorIteratorBaseEENKUlvE_clEvENKUlvE_clEvEUldE_St5arrayIPcLm2EELi4E23TrivialOffsetCalculatorILi1EjESC_NS0_6memory15LoadWithoutCastENSD_16StoreWithoutCastEEEviT_T0_T2_T3_T4_T5_,@function
_ZN2at6native27unrolled_elementwise_kernelIZZZNS0_12_GLOBAL__N_130modified_bessel_k1_kernel_cudaERNS_18TensorIteratorBaseEENKUlvE_clEvENKUlvE_clEvEUldE_St5arrayIPcLm2EELi4E23TrivialOffsetCalculatorILi1EjESC_NS0_6memory15LoadWithoutCastENSD_16StoreWithoutCastEEEviT_T0_T2_T3_T4_T5_: ; @_ZN2at6native27unrolled_elementwise_kernelIZZZNS0_12_GLOBAL__N_130modified_bessel_k1_kernel_cudaERNS_18TensorIteratorBaseEENKUlvE_clEvENKUlvE_clEvEUldE_St5arrayIPcLm2EELi4E23TrivialOffsetCalculatorILi1EjESC_NS0_6memory15LoadWithoutCastENSD_16StoreWithoutCastEEEviT_T0_T2_T3_T4_T5_
; %bb.0:
	s_add_u32 s0, s0, s7
	s_clause 0x1
	s_load_dword s7, s[4:5], 0x0
	s_load_dwordx4 s[8:11], s[4:5], 0x8
	s_addc_u32 s1, s1, 0
	s_lshl_b32 s12, s6, 10
	s_getpc_b64 s[4:5]
	s_add_u32 s4, s4, _ZN2at6native25elementwise_kernel_helperILb0EZZZNS0_12_GLOBAL__N_130modified_bessel_k1_kernel_cudaERNS_18TensorIteratorBaseEENKUlvE_clEvENKUlvE_clEvEUldE_NS0_6memory8policies11unroll_baseILi256ESt5arrayIPcLm2EE23TrivialOffsetCalculatorILi1EjESF_NS8_15LoadWithoutCastENS8_16StoreWithoutCastELi4ELi1EEEEEvT0_T1_@rel32@lo+4
	s_addc_u32 s5, s5, _ZN2at6native25elementwise_kernel_helperILb0EZZZNS0_12_GLOBAL__N_130modified_bessel_k1_kernel_cudaERNS_18TensorIteratorBaseEENKUlvE_clEvENKUlvE_clEvEUldE_NS0_6memory8policies11unroll_baseILi256ESt5arrayIPcLm2EE23TrivialOffsetCalculatorILi1EjESF_NS8_15LoadWithoutCastENS8_16StoreWithoutCastELi4ELi1EEEEEvT0_T1_@rel32@hi+12
	v_mov_b32_e32 v31, v0
	s_mov_b32 s32, 0
	s_waitcnt lgkmcnt(0)
	s_sub_i32 s7, s7, s12
	v_mov_b32_e32 v0, s8
	v_mov_b32_e32 v1, s9
	;; [unrolled: 1-line block ×5, first 2 shown]
	s_mov_b32 s12, s6
	s_swappc_b64 s[30:31], s[4:5]
	s_endpgm
	.section	.rodata,"a",@progbits
	.p2align	6, 0x0
	.amdhsa_kernel _ZN2at6native27unrolled_elementwise_kernelIZZZNS0_12_GLOBAL__N_130modified_bessel_k1_kernel_cudaERNS_18TensorIteratorBaseEENKUlvE_clEvENKUlvE_clEvEUldE_St5arrayIPcLm2EELi4E23TrivialOffsetCalculatorILi1EjESC_NS0_6memory15LoadWithoutCastENSD_16StoreWithoutCastEEEviT_T0_T2_T3_T4_T5_
		.amdhsa_group_segment_fixed_size 0
		.amdhsa_private_segment_fixed_size 0
		.amdhsa_kernarg_size 28
		.amdhsa_user_sgpr_count 6
		.amdhsa_user_sgpr_private_segment_buffer 1
		.amdhsa_user_sgpr_dispatch_ptr 0
		.amdhsa_user_sgpr_queue_ptr 0
		.amdhsa_user_sgpr_kernarg_segment_ptr 1
		.amdhsa_user_sgpr_dispatch_id 0
		.amdhsa_user_sgpr_flat_scratch_init 0
		.amdhsa_user_sgpr_private_segment_size 0
		.amdhsa_wavefront_size32 1
		.amdhsa_uses_dynamic_stack 0
		.amdhsa_system_sgpr_private_segment_wavefront_offset 0
		.amdhsa_system_sgpr_workgroup_id_x 1
		.amdhsa_system_sgpr_workgroup_id_y 0
		.amdhsa_system_sgpr_workgroup_id_z 0
		.amdhsa_system_sgpr_workgroup_info 0
		.amdhsa_system_vgpr_workitem_id 0
		.amdhsa_next_free_vgpr 70
		.amdhsa_next_free_sgpr 33
		.amdhsa_reserve_vcc 1
		.amdhsa_reserve_flat_scratch 0
		.amdhsa_float_round_mode_32 0
		.amdhsa_float_round_mode_16_64 0
		.amdhsa_float_denorm_mode_32 3
		.amdhsa_float_denorm_mode_16_64 3
		.amdhsa_dx10_clamp 1
		.amdhsa_ieee_mode 1
		.amdhsa_fp16_overflow 0
		.amdhsa_workgroup_processor_mode 1
		.amdhsa_memory_ordered 1
		.amdhsa_forward_progress 1
		.amdhsa_shared_vgpr_count 0
		.amdhsa_exception_fp_ieee_invalid_op 0
		.amdhsa_exception_fp_denorm_src 0
		.amdhsa_exception_fp_ieee_div_zero 0
		.amdhsa_exception_fp_ieee_overflow 0
		.amdhsa_exception_fp_ieee_underflow 0
		.amdhsa_exception_fp_ieee_inexact 0
		.amdhsa_exception_int_div_zero 0
	.end_amdhsa_kernel
	.section	.text._ZN2at6native27unrolled_elementwise_kernelIZZZNS0_12_GLOBAL__N_130modified_bessel_k1_kernel_cudaERNS_18TensorIteratorBaseEENKUlvE_clEvENKUlvE_clEvEUldE_St5arrayIPcLm2EELi4E23TrivialOffsetCalculatorILi1EjESC_NS0_6memory15LoadWithoutCastENSD_16StoreWithoutCastEEEviT_T0_T2_T3_T4_T5_,"axG",@progbits,_ZN2at6native27unrolled_elementwise_kernelIZZZNS0_12_GLOBAL__N_130modified_bessel_k1_kernel_cudaERNS_18TensorIteratorBaseEENKUlvE_clEvENKUlvE_clEvEUldE_St5arrayIPcLm2EELi4E23TrivialOffsetCalculatorILi1EjESC_NS0_6memory15LoadWithoutCastENSD_16StoreWithoutCastEEEviT_T0_T2_T3_T4_T5_,comdat
.Lfunc_end6:
	.size	_ZN2at6native27unrolled_elementwise_kernelIZZZNS0_12_GLOBAL__N_130modified_bessel_k1_kernel_cudaERNS_18TensorIteratorBaseEENKUlvE_clEvENKUlvE_clEvEUldE_St5arrayIPcLm2EELi4E23TrivialOffsetCalculatorILi1EjESC_NS0_6memory15LoadWithoutCastENSD_16StoreWithoutCastEEEviT_T0_T2_T3_T4_T5_, .Lfunc_end6-_ZN2at6native27unrolled_elementwise_kernelIZZZNS0_12_GLOBAL__N_130modified_bessel_k1_kernel_cudaERNS_18TensorIteratorBaseEENKUlvE_clEvENKUlvE_clEvEUldE_St5arrayIPcLm2EELi4E23TrivialOffsetCalculatorILi1EjESC_NS0_6memory15LoadWithoutCastENSD_16StoreWithoutCastEEEviT_T0_T2_T3_T4_T5_
                                        ; -- End function
	.set _ZN2at6native27unrolled_elementwise_kernelIZZZNS0_12_GLOBAL__N_130modified_bessel_k1_kernel_cudaERNS_18TensorIteratorBaseEENKUlvE_clEvENKUlvE_clEvEUldE_St5arrayIPcLm2EELi4E23TrivialOffsetCalculatorILi1EjESC_NS0_6memory15LoadWithoutCastENSD_16StoreWithoutCastEEEviT_T0_T2_T3_T4_T5_.num_vgpr, max(32, .L_ZN2at6native25elementwise_kernel_helperILb0EZZZNS0_12_GLOBAL__N_130modified_bessel_k1_kernel_cudaERNS_18TensorIteratorBaseEENKUlvE_clEvENKUlvE_clEvEUldE_NS0_6memory8policies11unroll_baseILi256ESt5arrayIPcLm2EE23TrivialOffsetCalculatorILi1EjESF_NS8_15LoadWithoutCastENS8_16StoreWithoutCastELi4ELi1EEEEEvT0_T1_.num_vgpr)
	.set _ZN2at6native27unrolled_elementwise_kernelIZZZNS0_12_GLOBAL__N_130modified_bessel_k1_kernel_cudaERNS_18TensorIteratorBaseEENKUlvE_clEvENKUlvE_clEvEUldE_St5arrayIPcLm2EELi4E23TrivialOffsetCalculatorILi1EjESC_NS0_6memory15LoadWithoutCastENSD_16StoreWithoutCastEEEviT_T0_T2_T3_T4_T5_.num_agpr, max(0, .L_ZN2at6native25elementwise_kernel_helperILb0EZZZNS0_12_GLOBAL__N_130modified_bessel_k1_kernel_cudaERNS_18TensorIteratorBaseEENKUlvE_clEvENKUlvE_clEvEUldE_NS0_6memory8policies11unroll_baseILi256ESt5arrayIPcLm2EE23TrivialOffsetCalculatorILi1EjESF_NS8_15LoadWithoutCastENS8_16StoreWithoutCastELi4ELi1EEEEEvT0_T1_.num_agpr)
	.set _ZN2at6native27unrolled_elementwise_kernelIZZZNS0_12_GLOBAL__N_130modified_bessel_k1_kernel_cudaERNS_18TensorIteratorBaseEENKUlvE_clEvENKUlvE_clEvEUldE_St5arrayIPcLm2EELi4E23TrivialOffsetCalculatorILi1EjESC_NS0_6memory15LoadWithoutCastENSD_16StoreWithoutCastEEEviT_T0_T2_T3_T4_T5_.numbered_sgpr, max(33, .L_ZN2at6native25elementwise_kernel_helperILb0EZZZNS0_12_GLOBAL__N_130modified_bessel_k1_kernel_cudaERNS_18TensorIteratorBaseEENKUlvE_clEvENKUlvE_clEvEUldE_NS0_6memory8policies11unroll_baseILi256ESt5arrayIPcLm2EE23TrivialOffsetCalculatorILi1EjESF_NS8_15LoadWithoutCastENS8_16StoreWithoutCastELi4ELi1EEEEEvT0_T1_.numbered_sgpr)
	.set _ZN2at6native27unrolled_elementwise_kernelIZZZNS0_12_GLOBAL__N_130modified_bessel_k1_kernel_cudaERNS_18TensorIteratorBaseEENKUlvE_clEvENKUlvE_clEvEUldE_St5arrayIPcLm2EELi4E23TrivialOffsetCalculatorILi1EjESC_NS0_6memory15LoadWithoutCastENSD_16StoreWithoutCastEEEviT_T0_T2_T3_T4_T5_.num_named_barrier, max(0, .L_ZN2at6native25elementwise_kernel_helperILb0EZZZNS0_12_GLOBAL__N_130modified_bessel_k1_kernel_cudaERNS_18TensorIteratorBaseEENKUlvE_clEvENKUlvE_clEvEUldE_NS0_6memory8policies11unroll_baseILi256ESt5arrayIPcLm2EE23TrivialOffsetCalculatorILi1EjESF_NS8_15LoadWithoutCastENS8_16StoreWithoutCastELi4ELi1EEEEEvT0_T1_.num_named_barrier)
	.set _ZN2at6native27unrolled_elementwise_kernelIZZZNS0_12_GLOBAL__N_130modified_bessel_k1_kernel_cudaERNS_18TensorIteratorBaseEENKUlvE_clEvENKUlvE_clEvEUldE_St5arrayIPcLm2EELi4E23TrivialOffsetCalculatorILi1EjESC_NS0_6memory15LoadWithoutCastENSD_16StoreWithoutCastEEEviT_T0_T2_T3_T4_T5_.private_seg_size, 0+max(.L_ZN2at6native25elementwise_kernel_helperILb0EZZZNS0_12_GLOBAL__N_130modified_bessel_k1_kernel_cudaERNS_18TensorIteratorBaseEENKUlvE_clEvENKUlvE_clEvEUldE_NS0_6memory8policies11unroll_baseILi256ESt5arrayIPcLm2EE23TrivialOffsetCalculatorILi1EjESF_NS8_15LoadWithoutCastENS8_16StoreWithoutCastELi4ELi1EEEEEvT0_T1_.private_seg_size)
	.set _ZN2at6native27unrolled_elementwise_kernelIZZZNS0_12_GLOBAL__N_130modified_bessel_k1_kernel_cudaERNS_18TensorIteratorBaseEENKUlvE_clEvENKUlvE_clEvEUldE_St5arrayIPcLm2EELi4E23TrivialOffsetCalculatorILi1EjESC_NS0_6memory15LoadWithoutCastENSD_16StoreWithoutCastEEEviT_T0_T2_T3_T4_T5_.uses_vcc, or(1, .L_ZN2at6native25elementwise_kernel_helperILb0EZZZNS0_12_GLOBAL__N_130modified_bessel_k1_kernel_cudaERNS_18TensorIteratorBaseEENKUlvE_clEvENKUlvE_clEvEUldE_NS0_6memory8policies11unroll_baseILi256ESt5arrayIPcLm2EE23TrivialOffsetCalculatorILi1EjESF_NS8_15LoadWithoutCastENS8_16StoreWithoutCastELi4ELi1EEEEEvT0_T1_.uses_vcc)
	.set _ZN2at6native27unrolled_elementwise_kernelIZZZNS0_12_GLOBAL__N_130modified_bessel_k1_kernel_cudaERNS_18TensorIteratorBaseEENKUlvE_clEvENKUlvE_clEvEUldE_St5arrayIPcLm2EELi4E23TrivialOffsetCalculatorILi1EjESC_NS0_6memory15LoadWithoutCastENSD_16StoreWithoutCastEEEviT_T0_T2_T3_T4_T5_.uses_flat_scratch, or(0, .L_ZN2at6native25elementwise_kernel_helperILb0EZZZNS0_12_GLOBAL__N_130modified_bessel_k1_kernel_cudaERNS_18TensorIteratorBaseEENKUlvE_clEvENKUlvE_clEvEUldE_NS0_6memory8policies11unroll_baseILi256ESt5arrayIPcLm2EE23TrivialOffsetCalculatorILi1EjESF_NS8_15LoadWithoutCastENS8_16StoreWithoutCastELi4ELi1EEEEEvT0_T1_.uses_flat_scratch)
	.set _ZN2at6native27unrolled_elementwise_kernelIZZZNS0_12_GLOBAL__N_130modified_bessel_k1_kernel_cudaERNS_18TensorIteratorBaseEENKUlvE_clEvENKUlvE_clEvEUldE_St5arrayIPcLm2EELi4E23TrivialOffsetCalculatorILi1EjESC_NS0_6memory15LoadWithoutCastENSD_16StoreWithoutCastEEEviT_T0_T2_T3_T4_T5_.has_dyn_sized_stack, or(0, .L_ZN2at6native25elementwise_kernel_helperILb0EZZZNS0_12_GLOBAL__N_130modified_bessel_k1_kernel_cudaERNS_18TensorIteratorBaseEENKUlvE_clEvENKUlvE_clEvEUldE_NS0_6memory8policies11unroll_baseILi256ESt5arrayIPcLm2EE23TrivialOffsetCalculatorILi1EjESF_NS8_15LoadWithoutCastENS8_16StoreWithoutCastELi4ELi1EEEEEvT0_T1_.has_dyn_sized_stack)
	.set _ZN2at6native27unrolled_elementwise_kernelIZZZNS0_12_GLOBAL__N_130modified_bessel_k1_kernel_cudaERNS_18TensorIteratorBaseEENKUlvE_clEvENKUlvE_clEvEUldE_St5arrayIPcLm2EELi4E23TrivialOffsetCalculatorILi1EjESC_NS0_6memory15LoadWithoutCastENSD_16StoreWithoutCastEEEviT_T0_T2_T3_T4_T5_.has_recursion, or(0, .L_ZN2at6native25elementwise_kernel_helperILb0EZZZNS0_12_GLOBAL__N_130modified_bessel_k1_kernel_cudaERNS_18TensorIteratorBaseEENKUlvE_clEvENKUlvE_clEvEUldE_NS0_6memory8policies11unroll_baseILi256ESt5arrayIPcLm2EE23TrivialOffsetCalculatorILi1EjESF_NS8_15LoadWithoutCastENS8_16StoreWithoutCastELi4ELi1EEEEEvT0_T1_.has_recursion)
	.set _ZN2at6native27unrolled_elementwise_kernelIZZZNS0_12_GLOBAL__N_130modified_bessel_k1_kernel_cudaERNS_18TensorIteratorBaseEENKUlvE_clEvENKUlvE_clEvEUldE_St5arrayIPcLm2EELi4E23TrivialOffsetCalculatorILi1EjESC_NS0_6memory15LoadWithoutCastENSD_16StoreWithoutCastEEEviT_T0_T2_T3_T4_T5_.has_indirect_call, or(0, .L_ZN2at6native25elementwise_kernel_helperILb0EZZZNS0_12_GLOBAL__N_130modified_bessel_k1_kernel_cudaERNS_18TensorIteratorBaseEENKUlvE_clEvENKUlvE_clEvEUldE_NS0_6memory8policies11unroll_baseILi256ESt5arrayIPcLm2EE23TrivialOffsetCalculatorILi1EjESF_NS8_15LoadWithoutCastENS8_16StoreWithoutCastELi4ELi1EEEEEvT0_T1_.has_indirect_call)
	.section	.AMDGPU.csdata,"",@progbits
; Kernel info:
; codeLenInByte = 100
; TotalNumSgprs: 35
; NumVgprs: 70
; ScratchSize: 0
; MemoryBound: 0
; FloatMode: 240
; IeeeMode: 1
; LDSByteSize: 0 bytes/workgroup (compile time only)
; SGPRBlocks: 0
; VGPRBlocks: 8
; NumSGPRsForWavesPerEU: 35
; NumVGPRsForWavesPerEU: 70
; Occupancy: 12
; WaveLimiterHint : 0
; COMPUTE_PGM_RSRC2:SCRATCH_EN: 0
; COMPUTE_PGM_RSRC2:USER_SGPR: 6
; COMPUTE_PGM_RSRC2:TRAP_HANDLER: 0
; COMPUTE_PGM_RSRC2:TGID_X_EN: 1
; COMPUTE_PGM_RSRC2:TGID_Y_EN: 0
; COMPUTE_PGM_RSRC2:TGID_Z_EN: 0
; COMPUTE_PGM_RSRC2:TIDIG_COMP_CNT: 0
	.section	.text._ZN2at6native32elementwise_kernel_manual_unrollILi128ELi4EZNS0_22gpu_kernel_impl_nocastIZZZNS0_12_GLOBAL__N_130modified_bessel_k1_kernel_cudaERNS_18TensorIteratorBaseEENKUlvE_clEvENKUlvE_clEvEUldE_EEvS5_RKT_EUlibE_EEviT1_,"axG",@progbits,_ZN2at6native32elementwise_kernel_manual_unrollILi128ELi4EZNS0_22gpu_kernel_impl_nocastIZZZNS0_12_GLOBAL__N_130modified_bessel_k1_kernel_cudaERNS_18TensorIteratorBaseEENKUlvE_clEvENKUlvE_clEvEUldE_EEvS5_RKT_EUlibE_EEviT1_,comdat
	.globl	_ZN2at6native32elementwise_kernel_manual_unrollILi128ELi4EZNS0_22gpu_kernel_impl_nocastIZZZNS0_12_GLOBAL__N_130modified_bessel_k1_kernel_cudaERNS_18TensorIteratorBaseEENKUlvE_clEvENKUlvE_clEvEUldE_EEvS5_RKT_EUlibE_EEviT1_ ; -- Begin function _ZN2at6native32elementwise_kernel_manual_unrollILi128ELi4EZNS0_22gpu_kernel_impl_nocastIZZZNS0_12_GLOBAL__N_130modified_bessel_k1_kernel_cudaERNS_18TensorIteratorBaseEENKUlvE_clEvENKUlvE_clEvEUldE_EEvS5_RKT_EUlibE_EEviT1_
	.p2align	8
	.type	_ZN2at6native32elementwise_kernel_manual_unrollILi128ELi4EZNS0_22gpu_kernel_impl_nocastIZZZNS0_12_GLOBAL__N_130modified_bessel_k1_kernel_cudaERNS_18TensorIteratorBaseEENKUlvE_clEvENKUlvE_clEvEUldE_EEvS5_RKT_EUlibE_EEviT1_,@function
_ZN2at6native32elementwise_kernel_manual_unrollILi128ELi4EZNS0_22gpu_kernel_impl_nocastIZZZNS0_12_GLOBAL__N_130modified_bessel_k1_kernel_cudaERNS_18TensorIteratorBaseEENKUlvE_clEvENKUlvE_clEvEUldE_EEvS5_RKT_EUlibE_EEviT1_: ; @_ZN2at6native32elementwise_kernel_manual_unrollILi128ELi4EZNS0_22gpu_kernel_impl_nocastIZZZNS0_12_GLOBAL__N_130modified_bessel_k1_kernel_cudaERNS_18TensorIteratorBaseEENKUlvE_clEvENKUlvE_clEvEUldE_EEvS5_RKT_EUlibE_EEviT1_
; %bb.0:
	s_clause 0x1
	s_load_dword s22, s[4:5], 0x8
	s_load_dword s27, s[4:5], 0x0
	v_lshl_or_b32 v5, s6, 9, v0
	s_add_u32 s2, s4, 8
	s_addc_u32 s3, s5, 0
	s_mov_b32 s0, exec_lo
	v_or_b32_e32 v9, 0x180, v5
	s_waitcnt lgkmcnt(0)
	s_add_i32 s23, s22, -1
	s_cmp_gt_u32 s23, 1
	s_cselect_b32 s24, -1, 0
	v_cmpx_le_i32_e64 s27, v9
	s_xor_b32 s25, exec_lo, s0
	s_cbranch_execz .LBB7_7
; %bb.1:
	s_clause 0x3
	s_load_dwordx4 s[12:15], s[2:3], 0x4
	s_load_dwordx2 s[16:17], s[2:3], 0x14
	s_load_dwordx4 s[8:11], s[2:3], 0xc4
	s_load_dwordx4 s[4:7], s[2:3], 0x148
	s_cmp_lg_u32 s22, 0
	s_mov_b32 s30, exec_lo
	s_cselect_b32 s29, -1, 0
	s_add_u32 s18, s2, 0xc4
	s_addc_u32 s19, s3, 0
	s_min_u32 s28, s23, 15
	s_cmp_gt_u32 s22, 1
	s_cselect_b32 s26, -1, 0
	v_cmpx_gt_i32_e64 s27, v5
	s_cbranch_execz .LBB7_14
; %bb.2:
	s_andn2_b32 vcc_lo, exec_lo, s24
	s_cbranch_vccnz .LBB7_21
; %bb.3:
	s_andn2_b32 vcc_lo, exec_lo, s29
	s_cbranch_vccnz .LBB7_105
; %bb.4:
	s_add_i32 s33, s28, 1
	s_cmp_eq_u32 s23, 2
	s_cbranch_scc1 .LBB7_107
; %bb.5:
	v_mov_b32_e32 v2, 0
	v_mov_b32_e32 v0, 0
	v_mov_b32_e32 v1, v5
	s_and_b32 s31, s33, 28
	s_mov_b32 s34, 0
	s_mov_b64 s[0:1], s[2:3]
	s_mov_b64 s[20:21], s[18:19]
.LBB7_6:                                ; =>This Inner Loop Header: Depth=1
	s_clause 0x1
	s_load_dwordx8 s[36:43], s[0:1], 0x4
	s_load_dwordx4 s[52:55], s[0:1], 0x24
	s_load_dwordx8 s[44:51], s[20:21], 0x0
	s_add_u32 s0, s0, 48
	s_addc_u32 s1, s1, 0
	s_add_i32 s34, s34, 4
	s_add_u32 s20, s20, 32
	s_addc_u32 s21, s21, 0
	s_cmp_lg_u32 s31, s34
	s_waitcnt lgkmcnt(0)
	v_mul_hi_u32 v3, s37, v1
	v_add_nc_u32_e32 v3, v1, v3
	v_lshrrev_b32_e32 v3, s38, v3
	v_mul_hi_u32 v4, s40, v3
	v_mul_lo_u32 v7, v3, s36
	v_add_nc_u32_e32 v4, v3, v4
	v_sub_nc_u32_e32 v1, v1, v7
	v_lshrrev_b32_e32 v4, s41, v4
	v_mul_lo_u32 v7, v1, s44
	v_mul_lo_u32 v9, v1, s45
	v_mul_hi_u32 v6, s43, v4
	v_add_nc_u32_e32 v6, v4, v6
	v_lshrrev_b32_e32 v6, s52, v6
	v_mul_hi_u32 v8, s54, v6
	v_mul_lo_u32 v10, v6, s42
	v_add_nc_u32_e32 v1, v6, v8
	v_mul_lo_u32 v8, v4, s39
	v_sub_nc_u32_e32 v4, v4, v10
	v_lshrrev_b32_e32 v1, s55, v1
	v_mul_lo_u32 v10, v4, s48
	v_mul_lo_u32 v4, v4, s49
	v_sub_nc_u32_e32 v3, v3, v8
	v_mul_lo_u32 v11, v1, s53
	v_mul_lo_u32 v8, v3, s46
	;; [unrolled: 1-line block ×3, first 2 shown]
	v_sub_nc_u32_e32 v6, v6, v11
	v_add3_u32 v0, v7, v0, v8
	v_mul_lo_u32 v11, v6, s50
	v_mul_lo_u32 v6, v6, s51
	v_add3_u32 v2, v9, v2, v3
	v_add3_u32 v0, v10, v0, v11
	;; [unrolled: 1-line block ×3, first 2 shown]
	s_cbranch_scc1 .LBB7_6
	s_branch .LBB7_108
.LBB7_7:
	s_andn2_saveexec_b32 s0, s25
	s_cbranch_execz .LBB7_149
.LBB7_8:
	v_cndmask_b32_e64 v4, 0, 1, s24
	s_andn2_b32 vcc_lo, exec_lo, s24
	s_cbranch_vccnz .LBB7_20
; %bb.9:
	s_cmp_lg_u32 s22, 0
	s_waitcnt lgkmcnt(0)
	s_mov_b32 s6, 0
	s_cbranch_scc0 .LBB7_23
; %bb.10:
	s_min_u32 s8, s23, 15
	s_add_i32 s8, s8, 1
	s_cmp_eq_u32 s23, 2
	s_cbranch_scc1 .LBB7_24
; %bb.11:
	v_mov_b32_e32 v7, 0
	v_mov_b32_e32 v0, 0
	;; [unrolled: 1-line block ×3, first 2 shown]
	s_and_b32 s7, s8, 28
	s_add_u32 s0, s2, 0xc4
	s_addc_u32 s1, s3, 0
	s_mov_b32 s9, 0
	s_mov_b64 s[4:5], s[2:3]
.LBB7_12:                               ; =>This Inner Loop Header: Depth=1
	s_clause 0x1
	s_load_dwordx8 s[12:19], s[4:5], 0x4
	s_load_dwordx4 s[36:39], s[4:5], 0x24
	s_load_dwordx8 s[24:31], s[0:1], 0x0
	s_add_u32 s4, s4, 48
	s_addc_u32 s5, s5, 0
	s_add_i32 s9, s9, 4
	s_add_u32 s0, s0, 32
	s_addc_u32 s1, s1, 0
	s_cmp_lg_u32 s7, s9
	s_waitcnt lgkmcnt(0)
	v_mul_hi_u32 v2, s13, v1
	v_add_nc_u32_e32 v2, v1, v2
	v_lshrrev_b32_e32 v2, s14, v2
	v_mul_hi_u32 v3, s16, v2
	v_mul_lo_u32 v8, v2, s12
	v_add_nc_u32_e32 v3, v2, v3
	v_sub_nc_u32_e32 v1, v1, v8
	v_lshrrev_b32_e32 v3, s17, v3
	v_mul_lo_u32 v8, v1, s24
	v_mul_lo_u32 v11, v1, s25
	v_mul_hi_u32 v6, s19, v3
	v_add_nc_u32_e32 v6, v3, v6
	v_lshrrev_b32_e32 v6, s36, v6
	v_mul_hi_u32 v10, s38, v6
	v_mul_lo_u32 v12, v6, s18
	v_add_nc_u32_e32 v1, v6, v10
	v_mul_lo_u32 v10, v3, s15
	v_sub_nc_u32_e32 v3, v3, v12
	v_lshrrev_b32_e32 v1, s39, v1
	v_mul_lo_u32 v12, v3, s28
	v_mul_lo_u32 v3, v3, s29
	v_sub_nc_u32_e32 v2, v2, v10
	v_mul_lo_u32 v13, v1, s37
	v_mul_lo_u32 v10, v2, s26
	;; [unrolled: 1-line block ×3, first 2 shown]
	v_sub_nc_u32_e32 v6, v6, v13
	v_add3_u32 v0, v8, v0, v10
	v_mul_lo_u32 v13, v6, s30
	v_mul_lo_u32 v6, v6, s31
	v_add3_u32 v2, v11, v7, v2
	v_add3_u32 v0, v12, v0, v13
	;; [unrolled: 1-line block ×3, first 2 shown]
	s_cbranch_scc1 .LBB7_12
; %bb.13:
	s_and_b32 s8, s8, 3
	s_cmp_eq_u32 s8, 0
	s_cbranch_scc0 .LBB7_25
	s_branch .LBB7_27
.LBB7_14:
	s_or_b32 exec_lo, exec_lo, s30
	s_mov_b32 s30, exec_lo
	v_cmpx_gt_i32_e64 s27, v5
	s_cbranch_execz .LBB7_123
.LBB7_15:
	s_andn2_b32 vcc_lo, exec_lo, s24
	s_cbranch_vccnz .LBB7_22
; %bb.16:
	s_andn2_b32 vcc_lo, exec_lo, s29
	s_cbranch_vccnz .LBB7_106
; %bb.17:
	s_add_i32 s33, s28, 1
	s_cmp_eq_u32 s23, 2
	s_cbranch_scc1 .LBB7_131
; %bb.18:
	v_mov_b32_e32 v2, 0
	v_mov_b32_e32 v0, 0
	;; [unrolled: 1-line block ×3, first 2 shown]
	s_and_b32 s31, s33, 28
	s_mov_b32 s34, 0
	s_mov_b64 s[0:1], s[2:3]
	s_mov_b64 s[20:21], s[18:19]
.LBB7_19:                               ; =>This Inner Loop Header: Depth=1
	s_clause 0x1
	s_load_dwordx8 s[36:43], s[0:1], 0x4
	s_load_dwordx4 s[52:55], s[0:1], 0x24
	s_load_dwordx8 s[44:51], s[20:21], 0x0
	s_add_u32 s0, s0, 48
	s_addc_u32 s1, s1, 0
	s_add_i32 s34, s34, 4
	s_add_u32 s20, s20, 32
	s_addc_u32 s21, s21, 0
	s_cmp_eq_u32 s31, s34
	s_waitcnt lgkmcnt(0)
	v_mul_hi_u32 v3, s37, v1
	v_add_nc_u32_e32 v3, v1, v3
	v_lshrrev_b32_e32 v3, s38, v3
	v_mul_hi_u32 v4, s40, v3
	v_mul_lo_u32 v7, v3, s36
	v_add_nc_u32_e32 v4, v3, v4
	v_sub_nc_u32_e32 v1, v1, v7
	v_lshrrev_b32_e32 v4, s41, v4
	v_mul_lo_u32 v7, v1, s44
	v_mul_lo_u32 v9, v1, s45
	v_mul_hi_u32 v6, s43, v4
	v_add_nc_u32_e32 v6, v4, v6
	v_lshrrev_b32_e32 v6, s52, v6
	v_mul_hi_u32 v8, s54, v6
	v_mul_lo_u32 v10, v6, s42
	v_add_nc_u32_e32 v1, v6, v8
	v_mul_lo_u32 v8, v4, s39
	v_sub_nc_u32_e32 v4, v4, v10
	v_lshrrev_b32_e32 v1, s55, v1
	v_mul_lo_u32 v10, v4, s48
	v_mul_lo_u32 v4, v4, s49
	v_sub_nc_u32_e32 v3, v3, v8
	v_mul_lo_u32 v11, v1, s53
	v_mul_lo_u32 v8, v3, s46
	;; [unrolled: 1-line block ×3, first 2 shown]
	v_sub_nc_u32_e32 v6, v6, v11
	v_add3_u32 v0, v7, v0, v8
	v_mul_lo_u32 v11, v6, s50
	v_mul_lo_u32 v6, v6, s51
	v_add3_u32 v2, v9, v2, v3
	v_add3_u32 v0, v10, v0, v11
	;; [unrolled: 1-line block ×3, first 2 shown]
	s_cbranch_scc0 .LBB7_19
	s_branch .LBB7_132
.LBB7_20:
	s_waitcnt lgkmcnt(0)
	s_mov_b32 s6, -1
                                        ; implicit-def: $vgpr0
                                        ; implicit-def: $vgpr7
	s_branch .LBB7_27
.LBB7_21:
                                        ; implicit-def: $vgpr0
                                        ; implicit-def: $vgpr2
	s_branch .LBB7_112
.LBB7_22:
                                        ; implicit-def: $vgpr0
                                        ; implicit-def: $vgpr2
	s_branch .LBB7_136
.LBB7_23:
	v_mov_b32_e32 v0, 0
	v_mov_b32_e32 v7, 0
	s_branch .LBB7_27
.LBB7_24:
	v_mov_b32_e32 v0, 0
	v_mov_b32_e32 v7, 0
	;; [unrolled: 1-line block ×3, first 2 shown]
	s_mov_b32 s7, 0
	s_and_b32 s8, s8, 3
	s_cmp_eq_u32 s8, 0
	s_cbranch_scc1 .LBB7_27
.LBB7_25:
	s_lshl_b32 s0, s7, 3
	s_mul_i32 s4, s7, 12
	s_add_u32 s0, s2, s0
	s_addc_u32 s1, s3, 0
	s_add_u32 s0, s0, 0xc4
	s_addc_u32 s1, s1, 0
	s_add_u32 s4, s2, s4
	s_addc_u32 s5, s3, 0
	.p2align	6
.LBB7_26:                               ; =>This Inner Loop Header: Depth=1
	s_clause 0x1
	s_load_dwordx2 s[10:11], s[4:5], 0x4
	s_load_dword s7, s[4:5], 0xc
	s_load_dwordx2 s[12:13], s[0:1], 0x0
	s_add_u32 s4, s4, 12
	s_addc_u32 s5, s5, 0
	s_add_u32 s0, s0, 8
	s_addc_u32 s1, s1, 0
	s_add_i32 s8, s8, -1
	s_cmp_lg_u32 s8, 0
	s_waitcnt lgkmcnt(0)
	v_mul_hi_u32 v2, s11, v1
	v_add_nc_u32_e32 v2, v1, v2
	v_lshrrev_b32_e32 v2, s7, v2
	v_mul_lo_u32 v3, v2, s10
	v_sub_nc_u32_e32 v3, v1, v3
	v_mad_u64_u32 v[0:1], null, v3, s12, v[0:1]
	v_mad_u64_u32 v[7:8], null, v3, s13, v[7:8]
	v_mov_b32_e32 v1, v2
	s_cbranch_scc1 .LBB7_26
.LBB7_27:
	s_andn2_b32 vcc_lo, exec_lo, s6
	s_cbranch_vccnz .LBB7_30
; %bb.28:
	s_clause 0x1
	s_load_dwordx4 s[4:7], s[2:3], 0x4
	s_load_dwordx2 s[0:1], s[2:3], 0xc4
	s_cmp_lt_u32 s22, 2
	s_waitcnt lgkmcnt(0)
	v_mul_hi_u32 v0, s5, v5
	v_add_nc_u32_e32 v0, v5, v0
	v_lshrrev_b32_e32 v1, s6, v0
	v_mul_lo_u32 v0, v1, s4
	v_sub_nc_u32_e32 v2, v5, v0
	v_mul_lo_u32 v0, v2, s0
	v_mul_lo_u32 v7, v2, s1
	s_cbranch_scc1 .LBB7_30
; %bb.29:
	s_clause 0x1
	s_load_dwordx4 s[4:7], s[2:3], 0x10
	s_load_dwordx2 s[0:1], s[2:3], 0xcc
	s_waitcnt lgkmcnt(0)
	v_mul_hi_u32 v2, s5, v1
	v_add_nc_u32_e32 v2, v1, v2
	v_lshrrev_b32_e32 v2, s6, v2
	v_mul_lo_u32 v2, v2, s4
	v_sub_nc_u32_e32 v2, v1, v2
	v_mad_u64_u32 v[0:1], null, v2, s0, v[0:1]
	v_mad_u64_u32 v[7:8], null, v2, s1, v[7:8]
.LBB7_30:
	v_cmp_ne_u32_e32 vcc_lo, 1, v4
	v_add_nc_u32_e32 v3, 0x80, v5
	s_cbranch_vccnz .LBB7_36
; %bb.31:
	s_cmp_lg_u32 s22, 0
	s_mov_b32 s6, 0
	s_cbranch_scc0 .LBB7_37
; %bb.32:
	s_min_u32 s8, s23, 15
	s_add_i32 s8, s8, 1
	s_cmp_eq_u32 s23, 2
	s_cbranch_scc1 .LBB7_38
; %bb.33:
	v_mov_b32_e32 v12, 0
	v_mov_b32_e32 v1, 0
	;; [unrolled: 1-line block ×3, first 2 shown]
	s_and_b32 s7, s8, 28
	s_add_u32 s0, s2, 0xc4
	s_addc_u32 s1, s3, 0
	s_mov_b32 s9, 0
	s_mov_b64 s[4:5], s[2:3]
.LBB7_34:                               ; =>This Inner Loop Header: Depth=1
	s_clause 0x1
	s_load_dwordx8 s[12:19], s[4:5], 0x4
	s_load_dwordx4 s[36:39], s[4:5], 0x24
	s_load_dwordx8 s[24:31], s[0:1], 0x0
	s_add_u32 s4, s4, 48
	s_addc_u32 s5, s5, 0
	s_add_i32 s9, s9, 4
	s_add_u32 s0, s0, 32
	s_addc_u32 s1, s1, 0
	s_cmp_lg_u32 s7, s9
	s_waitcnt lgkmcnt(0)
	v_mul_hi_u32 v6, s13, v2
	v_add_nc_u32_e32 v6, v2, v6
	v_lshrrev_b32_e32 v6, s14, v6
	v_mul_hi_u32 v8, s16, v6
	v_mul_lo_u32 v11, v6, s12
	v_add_nc_u32_e32 v8, v6, v8
	v_sub_nc_u32_e32 v2, v2, v11
	v_lshrrev_b32_e32 v8, s17, v8
	v_mul_lo_u32 v11, v2, s24
	v_mul_lo_u32 v14, v2, s25
	v_mul_hi_u32 v10, s19, v8
	v_add_nc_u32_e32 v10, v8, v10
	v_lshrrev_b32_e32 v10, s36, v10
	v_mul_hi_u32 v13, s38, v10
	v_mul_lo_u32 v15, v10, s18
	v_add_nc_u32_e32 v2, v10, v13
	v_mul_lo_u32 v13, v8, s15
	v_sub_nc_u32_e32 v8, v8, v15
	v_lshrrev_b32_e32 v2, s39, v2
	v_mul_lo_u32 v15, v8, s28
	v_mul_lo_u32 v8, v8, s29
	v_sub_nc_u32_e32 v6, v6, v13
	v_mul_lo_u32 v16, v2, s37
	v_mul_lo_u32 v13, v6, s26
	;; [unrolled: 1-line block ×3, first 2 shown]
	v_sub_nc_u32_e32 v10, v10, v16
	v_add3_u32 v1, v11, v1, v13
	v_mul_lo_u32 v16, v10, s30
	v_mul_lo_u32 v10, v10, s31
	v_add3_u32 v6, v14, v12, v6
	v_add3_u32 v1, v15, v1, v16
	;; [unrolled: 1-line block ×3, first 2 shown]
	s_cbranch_scc1 .LBB7_34
; %bb.35:
	s_and_b32 s8, s8, 3
	s_cmp_eq_u32 s8, 0
	s_cbranch_scc0 .LBB7_39
	s_branch .LBB7_41
.LBB7_36:
	s_mov_b32 s6, -1
                                        ; implicit-def: $vgpr1
                                        ; implicit-def: $vgpr12
	s_branch .LBB7_41
.LBB7_37:
	v_mov_b32_e32 v1, 0
	v_mov_b32_e32 v12, 0
	s_branch .LBB7_41
.LBB7_38:
	v_mov_b32_e32 v1, 0
	v_mov_b32_e32 v12, 0
	;; [unrolled: 1-line block ×3, first 2 shown]
	s_mov_b32 s7, 0
	s_and_b32 s8, s8, 3
	s_cmp_eq_u32 s8, 0
	s_cbranch_scc1 .LBB7_41
.LBB7_39:
	s_lshl_b32 s0, s7, 3
	s_mul_i32 s4, s7, 12
	s_add_u32 s0, s2, s0
	s_addc_u32 s1, s3, 0
	s_add_u32 s0, s0, 0xc4
	s_addc_u32 s1, s1, 0
	s_add_u32 s4, s2, s4
	s_addc_u32 s5, s3, 0
	.p2align	6
.LBB7_40:                               ; =>This Inner Loop Header: Depth=1
	s_clause 0x1
	s_load_dwordx2 s[10:11], s[4:5], 0x4
	s_load_dword s7, s[4:5], 0xc
	s_load_dwordx2 s[12:13], s[0:1], 0x0
	s_add_u32 s4, s4, 12
	s_addc_u32 s5, s5, 0
	s_add_u32 s0, s0, 8
	s_addc_u32 s1, s1, 0
	s_add_i32 s8, s8, -1
	s_cmp_lg_u32 s8, 0
	s_waitcnt lgkmcnt(0)
	v_mul_hi_u32 v6, s11, v2
	v_add_nc_u32_e32 v6, v2, v6
	v_lshrrev_b32_e32 v6, s7, v6
	v_mul_lo_u32 v8, v6, s10
	v_sub_nc_u32_e32 v8, v2, v8
	v_mad_u64_u32 v[1:2], null, v8, s12, v[1:2]
	v_mad_u64_u32 v[12:13], null, v8, s13, v[12:13]
	v_mov_b32_e32 v2, v6
	s_cbranch_scc1 .LBB7_40
.LBB7_41:
	s_andn2_b32 vcc_lo, exec_lo, s6
	s_cbranch_vccnz .LBB7_44
; %bb.42:
	s_clause 0x1
	s_load_dwordx4 s[4:7], s[2:3], 0x4
	s_load_dwordx2 s[0:1], s[2:3], 0xc4
	s_cmp_lt_u32 s22, 2
	s_waitcnt lgkmcnt(0)
	v_mul_hi_u32 v1, s5, v3
	v_add_nc_u32_e32 v1, v3, v1
	v_lshrrev_b32_e32 v2, s6, v1
	v_mul_lo_u32 v1, v2, s4
	v_sub_nc_u32_e32 v3, v3, v1
	v_mul_lo_u32 v1, v3, s0
	v_mul_lo_u32 v12, v3, s1
	s_cbranch_scc1 .LBB7_44
; %bb.43:
	s_clause 0x1
	s_load_dwordx4 s[4:7], s[2:3], 0x10
	s_load_dwordx2 s[0:1], s[2:3], 0xcc
	s_waitcnt lgkmcnt(0)
	v_mul_hi_u32 v3, s5, v2
	v_add_nc_u32_e32 v3, v2, v3
	v_lshrrev_b32_e32 v3, s6, v3
	v_mul_lo_u32 v3, v3, s4
	v_sub_nc_u32_e32 v3, v2, v3
	v_mad_u64_u32 v[1:2], null, v3, s0, v[1:2]
	v_mad_u64_u32 v[12:13], null, v3, s1, v[12:13]
.LBB7_44:
	v_cmp_ne_u32_e32 vcc_lo, 1, v4
	v_add_nc_u32_e32 v5, 0x100, v5
	s_cbranch_vccnz .LBB7_50
; %bb.45:
	s_cmp_lg_u32 s22, 0
	s_mov_b32 s6, 0
	s_cbranch_scc0 .LBB7_51
; %bb.46:
	s_min_u32 s8, s23, 15
	s_add_i32 s8, s8, 1
	s_cmp_eq_u32 s23, 2
	s_cbranch_scc1 .LBB7_52
; %bb.47:
	v_mov_b32_e32 v10, 0
	v_mov_b32_e32 v2, 0
	;; [unrolled: 1-line block ×3, first 2 shown]
	s_and_b32 s7, s8, 28
	s_add_u32 s0, s2, 0xc4
	s_addc_u32 s1, s3, 0
	s_mov_b32 s9, 0
	s_mov_b64 s[4:5], s[2:3]
.LBB7_48:                               ; =>This Inner Loop Header: Depth=1
	s_clause 0x1
	s_load_dwordx8 s[12:19], s[4:5], 0x4
	s_load_dwordx4 s[36:39], s[4:5], 0x24
	s_load_dwordx8 s[24:31], s[0:1], 0x0
	s_add_u32 s4, s4, 48
	s_addc_u32 s5, s5, 0
	s_add_i32 s9, s9, 4
	s_add_u32 s0, s0, 32
	s_addc_u32 s1, s1, 0
	s_cmp_lg_u32 s7, s9
	s_waitcnt lgkmcnt(0)
	v_mul_hi_u32 v6, s13, v3
	v_add_nc_u32_e32 v6, v3, v6
	v_lshrrev_b32_e32 v6, s14, v6
	v_mul_hi_u32 v8, s16, v6
	v_mul_lo_u32 v13, v6, s12
	v_add_nc_u32_e32 v8, v6, v8
	v_sub_nc_u32_e32 v3, v3, v13
	v_lshrrev_b32_e32 v8, s17, v8
	v_mul_lo_u32 v13, v3, s24
	v_mul_lo_u32 v15, v3, s25
	v_mul_hi_u32 v11, s19, v8
	v_add_nc_u32_e32 v11, v8, v11
	v_lshrrev_b32_e32 v11, s36, v11
	v_mul_hi_u32 v14, s38, v11
	v_mul_lo_u32 v16, v11, s18
	v_add_nc_u32_e32 v3, v11, v14
	v_mul_lo_u32 v14, v8, s15
	v_sub_nc_u32_e32 v8, v8, v16
	v_lshrrev_b32_e32 v3, s39, v3
	v_mul_lo_u32 v16, v8, s28
	v_mul_lo_u32 v8, v8, s29
	v_sub_nc_u32_e32 v6, v6, v14
	v_mul_lo_u32 v17, v3, s37
	v_mul_lo_u32 v14, v6, s26
	;; [unrolled: 1-line block ×3, first 2 shown]
	v_sub_nc_u32_e32 v11, v11, v17
	v_add3_u32 v2, v13, v2, v14
	v_mul_lo_u32 v17, v11, s30
	v_mul_lo_u32 v11, v11, s31
	v_add3_u32 v6, v15, v10, v6
	v_add3_u32 v2, v16, v2, v17
	;; [unrolled: 1-line block ×3, first 2 shown]
	s_cbranch_scc1 .LBB7_48
; %bb.49:
	s_and_b32 s8, s8, 3
	s_cmp_eq_u32 s8, 0
	s_cbranch_scc0 .LBB7_53
	s_branch .LBB7_55
.LBB7_50:
	s_mov_b32 s6, -1
                                        ; implicit-def: $vgpr2
                                        ; implicit-def: $vgpr10
	s_branch .LBB7_55
.LBB7_51:
	v_mov_b32_e32 v2, 0
	v_mov_b32_e32 v10, 0
	s_branch .LBB7_55
.LBB7_52:
	v_mov_b32_e32 v2, 0
	v_mov_b32_e32 v10, 0
	;; [unrolled: 1-line block ×3, first 2 shown]
	s_mov_b32 s7, 0
	s_and_b32 s8, s8, 3
	s_cmp_eq_u32 s8, 0
	s_cbranch_scc1 .LBB7_55
.LBB7_53:
	s_lshl_b32 s0, s7, 3
	s_mul_i32 s4, s7, 12
	s_add_u32 s0, s2, s0
	s_addc_u32 s1, s3, 0
	s_add_u32 s0, s0, 0xc4
	s_addc_u32 s1, s1, 0
	;; [unrolled: 2-line block ×3, first 2 shown]
	.p2align	6
.LBB7_54:                               ; =>This Inner Loop Header: Depth=1
	s_clause 0x1
	s_load_dwordx2 s[10:11], s[4:5], 0x4
	s_load_dword s7, s[4:5], 0xc
	s_load_dwordx2 s[12:13], s[0:1], 0x0
	s_add_u32 s4, s4, 12
	s_addc_u32 s5, s5, 0
	s_add_u32 s0, s0, 8
	s_addc_u32 s1, s1, 0
	s_add_i32 s8, s8, -1
	s_cmp_lg_u32 s8, 0
	s_waitcnt lgkmcnt(0)
	v_mul_hi_u32 v6, s11, v3
	v_add_nc_u32_e32 v6, v3, v6
	v_lshrrev_b32_e32 v6, s7, v6
	v_mul_lo_u32 v8, v6, s10
	v_sub_nc_u32_e32 v8, v3, v8
	v_mad_u64_u32 v[2:3], null, v8, s12, v[2:3]
	v_mad_u64_u32 v[10:11], null, v8, s13, v[10:11]
	v_mov_b32_e32 v3, v6
	s_cbranch_scc1 .LBB7_54
.LBB7_55:
	s_andn2_b32 vcc_lo, exec_lo, s6
	s_cbranch_vccnz .LBB7_58
; %bb.56:
	s_clause 0x1
	s_load_dwordx4 s[4:7], s[2:3], 0x4
	s_load_dwordx2 s[0:1], s[2:3], 0xc4
	s_cmp_lt_u32 s22, 2
	s_waitcnt lgkmcnt(0)
	v_mul_hi_u32 v2, s5, v5
	v_add_nc_u32_e32 v2, v5, v2
	v_lshrrev_b32_e32 v3, s6, v2
	v_mul_lo_u32 v2, v3, s4
	v_sub_nc_u32_e32 v5, v5, v2
	v_mul_lo_u32 v2, v5, s0
	v_mul_lo_u32 v10, v5, s1
	s_cbranch_scc1 .LBB7_58
; %bb.57:
	s_clause 0x1
	s_load_dwordx4 s[4:7], s[2:3], 0x10
	s_load_dwordx2 s[0:1], s[2:3], 0xcc
	s_waitcnt lgkmcnt(0)
	v_mul_hi_u32 v5, s5, v3
	v_add_nc_u32_e32 v5, v3, v5
	v_lshrrev_b32_e32 v5, s6, v5
	v_mul_lo_u32 v5, v5, s4
	v_sub_nc_u32_e32 v5, v3, v5
	v_mad_u64_u32 v[2:3], null, v5, s0, v[2:3]
	v_mad_u64_u32 v[10:11], null, v5, s1, v[10:11]
.LBB7_58:
	v_cmp_ne_u32_e32 vcc_lo, 1, v4
	s_cbranch_vccnz .LBB7_64
; %bb.59:
	s_cmp_lg_u32 s22, 0
	s_mov_b32 s6, 0
	s_cbranch_scc0 .LBB7_65
; %bb.60:
	s_min_u32 s8, s23, 15
	s_add_i32 s8, s8, 1
	s_cmp_eq_u32 s23, 2
	s_cbranch_scc1 .LBB7_66
; %bb.61:
	v_mov_b32_e32 v5, 0
	v_mov_b32_e32 v3, 0
	;; [unrolled: 1-line block ×3, first 2 shown]
	s_and_b32 s7, s8, 28
	s_add_u32 s0, s2, 0xc4
	s_addc_u32 s1, s3, 0
	s_mov_b32 s9, 0
	s_mov_b64 s[4:5], s[2:3]
.LBB7_62:                               ; =>This Inner Loop Header: Depth=1
	s_clause 0x1
	s_load_dwordx8 s[12:19], s[4:5], 0x4
	s_load_dwordx4 s[36:39], s[4:5], 0x24
	s_load_dwordx8 s[24:31], s[0:1], 0x0
	s_add_u32 s4, s4, 48
	s_addc_u32 s5, s5, 0
	s_add_i32 s9, s9, 4
	s_add_u32 s0, s0, 32
	s_addc_u32 s1, s1, 0
	s_cmp_lg_u32 s7, s9
	s_waitcnt lgkmcnt(0)
	v_mul_hi_u32 v6, s13, v4
	v_add_nc_u32_e32 v6, v4, v6
	v_lshrrev_b32_e32 v6, s14, v6
	v_mul_hi_u32 v8, s16, v6
	v_mul_lo_u32 v13, v6, s12
	v_add_nc_u32_e32 v8, v6, v8
	v_sub_nc_u32_e32 v4, v4, v13
	v_lshrrev_b32_e32 v8, s17, v8
	v_mul_lo_u32 v13, v4, s24
	v_mul_lo_u32 v15, v4, s25
	v_mul_hi_u32 v11, s19, v8
	v_add_nc_u32_e32 v11, v8, v11
	v_lshrrev_b32_e32 v11, s36, v11
	v_mul_hi_u32 v14, s38, v11
	v_mul_lo_u32 v16, v11, s18
	v_add_nc_u32_e32 v4, v11, v14
	v_mul_lo_u32 v14, v8, s15
	v_sub_nc_u32_e32 v8, v8, v16
	v_lshrrev_b32_e32 v4, s39, v4
	v_mul_lo_u32 v16, v8, s28
	v_mul_lo_u32 v8, v8, s29
	v_sub_nc_u32_e32 v6, v6, v14
	v_mul_lo_u32 v17, v4, s37
	v_mul_lo_u32 v14, v6, s26
	;; [unrolled: 1-line block ×3, first 2 shown]
	v_sub_nc_u32_e32 v11, v11, v17
	v_add3_u32 v3, v13, v3, v14
	v_mul_lo_u32 v17, v11, s30
	v_mul_lo_u32 v11, v11, s31
	v_add3_u32 v5, v15, v5, v6
	v_add3_u32 v3, v16, v3, v17
	;; [unrolled: 1-line block ×3, first 2 shown]
	s_cbranch_scc1 .LBB7_62
; %bb.63:
	s_and_b32 s8, s8, 3
	s_cmp_eq_u32 s8, 0
	s_cbranch_scc0 .LBB7_67
	s_branch .LBB7_69
.LBB7_64:
	s_mov_b32 s6, -1
                                        ; implicit-def: $vgpr3
                                        ; implicit-def: $vgpr5
	s_branch .LBB7_69
.LBB7_65:
	v_mov_b32_e32 v3, 0
	v_mov_b32_e32 v5, 0
	s_branch .LBB7_69
.LBB7_66:
	v_mov_b32_e32 v3, 0
	v_mov_b32_e32 v5, 0
	;; [unrolled: 1-line block ×3, first 2 shown]
	s_mov_b32 s7, 0
	s_and_b32 s8, s8, 3
	s_cmp_eq_u32 s8, 0
	s_cbranch_scc1 .LBB7_69
.LBB7_67:
	s_lshl_b32 s0, s7, 3
	s_mul_i32 s4, s7, 12
	s_add_u32 s0, s2, s0
	s_addc_u32 s1, s3, 0
	s_add_u32 s0, s0, 0xc4
	s_addc_u32 s1, s1, 0
	;; [unrolled: 2-line block ×3, first 2 shown]
	.p2align	6
.LBB7_68:                               ; =>This Inner Loop Header: Depth=1
	s_clause 0x1
	s_load_dwordx2 s[10:11], s[4:5], 0x4
	s_load_dword s7, s[4:5], 0xc
	s_load_dwordx2 s[12:13], s[0:1], 0x0
	s_add_u32 s4, s4, 12
	s_addc_u32 s5, s5, 0
	s_add_u32 s0, s0, 8
	s_addc_u32 s1, s1, 0
	s_add_i32 s8, s8, -1
	s_cmp_lg_u32 s8, 0
	s_waitcnt lgkmcnt(0)
	v_mul_hi_u32 v6, s11, v4
	v_add_nc_u32_e32 v6, v4, v6
	v_lshrrev_b32_e32 v8, s7, v6
	v_mul_lo_u32 v6, v8, s10
	v_sub_nc_u32_e32 v6, v4, v6
	v_mad_u64_u32 v[3:4], null, v6, s12, v[3:4]
	v_mad_u64_u32 v[5:6], null, v6, s13, v[5:6]
	v_mov_b32_e32 v4, v8
	s_cbranch_scc1 .LBB7_68
.LBB7_69:
	s_andn2_b32 vcc_lo, exec_lo, s6
	s_cbranch_vccnz .LBB7_72
; %bb.70:
	s_clause 0x1
	s_load_dwordx4 s[4:7], s[2:3], 0x4
	s_load_dwordx2 s[0:1], s[2:3], 0xc4
	s_cmp_lt_u32 s22, 2
	s_waitcnt lgkmcnt(0)
	v_mul_hi_u32 v3, s5, v9
	v_add_nc_u32_e32 v3, v9, v3
	v_lshrrev_b32_e32 v4, s6, v3
	v_mul_lo_u32 v3, v4, s4
	v_sub_nc_u32_e32 v5, v9, v3
	v_mul_lo_u32 v3, v5, s0
	v_mul_lo_u32 v5, v5, s1
	s_cbranch_scc1 .LBB7_72
; %bb.71:
	s_clause 0x1
	s_load_dwordx4 s[4:7], s[2:3], 0x10
	s_load_dwordx2 s[0:1], s[2:3], 0xcc
	s_waitcnt lgkmcnt(0)
	v_mul_hi_u32 v6, s5, v4
	v_add_nc_u32_e32 v6, v4, v6
	v_lshrrev_b32_e32 v6, s6, v6
	v_mul_lo_u32 v6, v6, s4
	v_sub_nc_u32_e32 v6, v4, v6
	v_mad_u64_u32 v[3:4], null, v6, s0, v[3:4]
	v_mad_u64_u32 v[5:6], null, v6, s1, v[5:6]
.LBB7_72:
	s_load_dwordx4 s[4:7], s[2:3], 0x148
	v_mov_b32_e32 v8, 0
	v_mov_b32_e32 v9, 0x7ff00000
	s_mov_b32 s2, exec_lo
	s_waitcnt lgkmcnt(0)
	global_load_dwordx2 v[13:14], v7, s[6:7]
	v_mov_b32_e32 v6, 0
	v_mov_b32_e32 v7, 0x7ff00000
	s_waitcnt vmcnt(0)
	v_cmpx_neq_f64_e32 0, v[13:14]
	s_cbranch_execz .LBB7_80
; %bb.73:
	v_mov_b32_e32 v8, 0
	v_mov_b32_e32 v9, 0x7ff80000
	s_mov_b32 s3, exec_lo
	v_cmpx_ngt_f64_e32 0, v[13:14]
	s_cbranch_execz .LBB7_79
; %bb.74:
                                        ; implicit-def: $vgpr8_vgpr9
	s_mov_b32 s0, exec_lo
	v_cmpx_ge_f64_e32 2.0, v[13:14]
	s_xor_b32 s8, exec_lo, s0
	s_cbranch_execz .LBB7_76
; %bb.75:
	v_fma_f64 v[8:9], v[13:14], 0.5, -2.0
	s_mov_b32 s0, 0xc38a0576
	s_mov_b32 s1, 0xbc7857d0
	;; [unrolled: 1-line block ×4, first 2 shown]
	v_mul_f64 v[19:20], v[13:14], 0.5
	v_fma_f64 v[35:36], v[13:14], v[13:14], -2.0
	s_mov_b32 s13, 0xbc603228
	s_mov_b32 s12, 0x3d3cda56
	;; [unrolled: 1-line block ×4, first 2 shown]
	v_fma_f64 v[15:16], v[8:9], s[10:11], s[0:1]
	s_mov_b32 s11, 0xbc499f2a
	s_mov_b32 s0, 0xe593bfac
	;; [unrolled: 1-line block ×3, first 2 shown]
	v_frexp_mant_f64_e32 v[21:22], v[19:20]
	v_fma_f64 v[17:18], v[8:9], v[15:16], s[10:11]
	s_mov_b32 s10, 0x97eb07de
	s_mov_b32 s11, 0xbdd25103
	v_add_f64 v[17:18], v[17:18], s[0:1]
	s_mov_b32 s0, 0x7e0d1573
	s_mov_b32 s1, 0xbcd3eaaa
	v_fma_f64 v[15:16], v[8:9], v[17:18], -v[15:16]
	v_add_f64 v[15:16], v[15:16], s[0:1]
	s_mov_b32 s0, 0x615290c
	s_mov_b32 s1, 0x3d011d7f
	v_fma_f64 v[17:18], v[8:9], v[15:16], -v[17:18]
	;; [unrolled: 4-line block ×6, first 2 shown]
	v_add_f64 v[17:18], v[17:18], s[0:1]
	s_mov_b32 s1, 0x3fe55555
	s_mov_b32 s0, 0x55555555
	v_cmp_gt_f64_e32 vcc_lo, s[0:1], v[21:22]
	s_mov_b32 s0, 0x55555780
	v_fma_f64 v[15:16], v[8:9], v[17:18], -v[15:16]
	v_cndmask_b32_e64 v4, 0, 1, vcc_lo
	v_ldexp_f64 v[21:22], v[21:22], v4
	v_frexp_exp_i32_f64_e32 v4, v[19:20]
	v_add_f64 v[15:16], v[15:16], s[10:11]
	s_mov_b32 s10, 0xb43fdf6c
	s_mov_b32 s11, 0x3df8ea34
	v_add_f64 v[23:24], v[21:22], 1.0
	v_add_f64 v[29:30], v[21:22], -1.0
	v_subrev_co_ci_u32_e64 v4, null, 0, v4, vcc_lo
	v_fma_f64 v[17:18], v[8:9], v[15:16], -v[17:18]
	v_rcp_f64_e32 v[25:26], v[23:24]
	v_add_f64 v[31:32], v[23:24], -1.0
	v_add_f64 v[17:18], v[17:18], s[10:11]
	s_mov_b32 s10, 0x28ea67e6
	s_mov_b32 s11, 0xbe20361b
	v_add_f64 v[21:22], v[21:22], -v[31:32]
	v_fma_f64 v[27:28], -v[23:24], v[25:26], 1.0
	v_fma_f64 v[15:16], v[8:9], v[17:18], -v[15:16]
	v_fma_f64 v[25:26], v[27:28], v[25:26], v[25:26]
	v_add_f64 v[15:16], v[15:16], s[10:11]
	s_mov_b32 s10, 0x2395010
	s_mov_b32 s11, 0x3e44258e
	v_fma_f64 v[27:28], -v[23:24], v[25:26], 1.0
	v_fma_f64 v[17:18], v[8:9], v[15:16], -v[17:18]
	v_fma_f64 v[25:26], v[27:28], v[25:26], v[25:26]
	v_add_f64 v[17:18], v[17:18], s[10:11]
	s_mov_b32 s10, 0x24b8c3e8
	s_mov_b32 s11, 0xbe67dd3e
	v_mul_f64 v[27:28], v[29:30], v[25:26]
	v_fma_f64 v[15:16], v[8:9], v[17:18], -v[15:16]
	v_mul_f64 v[33:34], v[23:24], v[27:28]
	v_add_f64 v[15:16], v[15:16], s[10:11]
	s_mov_b32 s10, 0xb347d108
	s_mov_b32 s11, 0x3e8ae344
	v_fma_f64 v[23:24], v[27:28], v[23:24], -v[33:34]
	v_fma_f64 v[17:18], v[8:9], v[15:16], -v[17:18]
	v_fma_f64 v[21:22], v[27:28], v[21:22], v[23:24]
	v_add_f64 v[17:18], v[17:18], s[10:11]
	s_mov_b32 s10, 0x7a0399e0
	s_mov_b32 s11, 0xbce5dd51
	v_fma_f64 v[37:38], v[35:36], s[12:13], s[10:11]
	s_mov_b32 s13, 0x3c603228
	s_mov_b32 s10, 0xddd0e045
	;; [unrolled: 1-line block ×3, first 2 shown]
	v_add_f64 v[23:24], v[33:34], v[21:22]
	v_fma_f64 v[15:16], v[8:9], v[17:18], -v[15:16]
	v_add_f64 v[31:32], v[29:30], -v[23:24]
	v_add_f64 v[33:34], v[23:24], -v[33:34]
	v_add_f64 v[15:16], v[15:16], s[14:15]
	s_mov_b32 s14, 0xd3d694fe
	s_mov_b32 s15, 0xbf2533ca
	v_add_f64 v[29:30], v[29:30], -v[31:32]
	v_add_f64 v[21:22], v[33:34], -v[21:22]
	v_fma_f64 v[17:18], v[8:9], v[15:16], -v[17:18]
	v_add_f64 v[23:24], v[29:30], -v[23:24]
	v_fma_f64 v[29:30], v[35:36], v[37:38], s[12:13]
	s_mov_b32 s12, 0xd511afc5
	s_mov_b32 s13, 0x3ecd1c4e
	v_add_f64 v[17:18], v[17:18], s[12:13]
	s_mov_b32 s12, 0xb8debbcf
	s_mov_b32 s13, 0xbeebd5f9
	v_add_f64 v[21:22], v[21:22], v[23:24]
	v_add_f64 v[23:24], v[29:30], s[10:11]
	s_mov_b32 s10, 0xb84626ca
	s_mov_b32 s11, 0xbde3663b
	v_fma_f64 v[15:16], v[8:9], v[17:18], -v[15:16]
	v_add_f64 v[21:22], v[31:32], v[21:22]
	v_fma_f64 v[29:30], v[35:36], v[23:24], -v[37:38]
	v_add_f64 v[15:16], v[15:16], s[12:13]
	s_mov_b32 s12, 0x42c70d0b
	s_mov_b32 s13, 0x3f0911b5
	v_mul_f64 v[21:22], v[25:26], v[21:22]
	v_add_f64 v[25:26], v[29:30], s[10:11]
	s_mov_b32 s10, 0x145c31d0
	s_mov_b32 s11, 0xbe57c41d
	v_fma_f64 v[17:18], v[8:9], v[15:16], -v[17:18]
	v_add_f64 v[29:30], v[27:28], v[21:22]
	v_fma_f64 v[23:24], v[35:36], v[25:26], -v[23:24]
	v_add_f64 v[17:18], v[17:18], s[12:13]
	s_mov_b32 s12, 0xbf559e2b
	s_mov_b32 s13, 0x3fc3ab76
	v_mul_f64 v[31:32], v[29:30], v[29:30]
	v_add_f64 v[23:24], v[23:24], s[10:11]
	s_mov_b32 s10, 0x6b47b09a
	s_mov_b32 s11, 0x3fc38538
	v_add_f64 v[27:28], v[29:30], -v[27:28]
	v_fma_f64 v[15:16], v[8:9], v[17:18], -v[15:16]
	v_fma_f64 v[33:34], v[31:32], s[12:13], s[10:11]
	v_fma_f64 v[25:26], v[35:36], v[23:24], -v[25:26]
	s_mov_b32 s10, 0x2c832e3a
	s_mov_b32 s11, 0xbec469b3
	;; [unrolled: 1-line block ×4, first 2 shown]
	v_mul_f64 v[37:38], v[29:30], v[31:32]
	v_add_f64 v[21:22], v[21:22], -v[27:28]
	v_add_f64 v[15:16], v[15:16], s[14:15]
	s_mov_b32 s14, 0xb6c6df7d
	s_mov_b32 s15, 0x3f40c95d
	v_fma_f64 v[33:34], v[31:32], v[33:34], s[12:13]
	v_add_f64 v[25:26], v[25:26], s[10:11]
	s_mov_b32 s10, 0x16291751
	s_mov_b32 s11, 0x3fcc71c0
	;; [unrolled: 1-line block ×4, first 2 shown]
	v_ldexp_f64 v[21:22], v[21:22], 1
	v_fma_f64 v[17:18], v[8:9], v[15:16], -v[17:18]
	v_fma_f64 v[33:34], v[31:32], v[33:34], s[10:11]
	v_fma_f64 v[23:24], v[35:36], v[25:26], -v[23:24]
	s_mov_b32 s10, 0xe5a3bd02
	s_mov_b32 s11, 0xbf26ade2
	v_add_f64 v[17:18], v[17:18], s[14:15]
	s_mov_b32 s14, 0xe7bb2349
	s_mov_b32 s15, 0x3f9951e3
	v_fma_f64 v[33:34], v[31:32], v[33:34], s[12:13]
	v_add_f64 v[23:24], v[23:24], s[10:11]
	s_mov_b32 s10, 0x998ef7b6
	s_mov_b32 s11, 0x3fd99999
	;; [unrolled: 1-line block ×4, first 2 shown]
	v_fma_f64 v[15:16], v[8:9], v[17:18], -v[15:16]
	v_fma_f64 v[33:34], v[31:32], v[33:34], s[10:11]
	v_fma_f64 v[25:26], v[35:36], v[23:24], -v[25:26]
	s_mov_b32 s10, 0x9d7d4192
	s_mov_b32 s11, 0xbf7c9293
	v_add_f64 v[15:16], v[15:16], s[12:13]
	s_mov_b32 s12, 0x49d3a1b4
	s_mov_b32 s13, 0x3f710653
	v_fma_f64 v[31:32], v[31:32], v[33:34], s[0:1]
	v_add_f64 v[25:26], v[25:26], s[10:11]
	v_ldexp_f64 v[33:34], v[29:30], 1
	s_mov_b32 s0, 0x43c1db74
	s_mov_b32 s1, 0xbfbf6372
	;; [unrolled: 1-line block ×4, first 2 shown]
	v_mul_f64 v[39:40], v[13:14], s[10:11]
	s_mov_b32 s10, 0x757b0dd4
	s_mov_b32 s11, 0xbfd69a1b
	v_fma_f64 v[17:18], v[8:9], v[15:16], -v[17:18]
	v_mul_f64 v[31:32], v[37:38], v[31:32]
	v_fma_f64 v[23:24], v[35:36], v[25:26], -v[23:24]
	v_cvt_f64_i32_e32 v[37:38], v4
	v_add_f64 v[17:18], v[17:18], s[12:13]
	s_mov_b32 s12, 0x7913a26a
	s_mov_b32 s13, 0xbf85a29f
	v_add_f64 v[29:30], v[33:34], v[31:32]
	v_add_f64 v[23:24], v[23:24], s[0:1]
	s_mov_b32 s1, 0x3fe62e42
	s_mov_b32 s0, 0xfefa39ef
	v_mul_f64 v[41:42], v[37:38], s[0:1]
	v_fma_f64 v[15:16], v[8:9], v[17:18], -v[15:16]
	v_add_f64 v[27:28], v[29:30], -v[33:34]
	v_fma_f64 v[25:26], v[35:36], v[23:24], -v[25:26]
	v_rndne_f64_e32 v[33:34], v[39:40]
	v_fma_f64 v[39:40], v[37:38], s[0:1], -v[41:42]
	s_mov_b32 s1, 0xbfe62e42
	v_add_f64 v[15:16], v[15:16], s[12:13]
	s_mov_b32 s12, 0x6a5dcb37
	s_mov_b32 s13, 0x3e5ade15
	v_add_f64 v[27:28], v[31:32], -v[27:28]
	v_add_f64 v[25:26], v[25:26], s[10:11]
	v_fma_f64 v[31:32], v[33:34], s[0:1], v[13:14]
	s_mov_b32 s1, 0x3c7abc9e
	s_mov_b32 s0, 0x3b39803f
	;; [unrolled: 1-line block ×3, first 2 shown]
	v_fma_f64 v[37:38], v[37:38], s[0:1], v[39:40]
	s_mov_b32 s1, 0xbc7abc9e
	s_mov_b32 s11, 0x3e928af3
	v_cvt_i32_f64_e32 v4, v[33:34]
	v_fma_f64 v[17:18], v[8:9], v[15:16], -v[17:18]
	v_add_f64 v[21:22], v[21:22], v[27:28]
	v_fma_f64 v[25:26], v[35:36], v[25:26], -v[23:24]
	v_fma_f64 v[27:28], v[33:34], s[0:1], v[31:32]
	s_mov_b32 s0, 0x361008ca
	s_mov_b32 s1, 0x3ff867a1
	v_add_f64 v[31:32], v[41:42], v[37:38]
	v_add_f64 v[17:18], v[17:18], s[14:15]
	;; [unrolled: 1-line block ×4, first 2 shown]
	v_fma_f64 v[39:40], v[27:28], s[12:13], s[10:11]
	s_mov_b32 s0, 0x623fde64
	s_mov_b32 s1, 0x3ec71dee
	;; [unrolled: 1-line block ×4, first 2 shown]
	v_add_f64 v[41:42], v[31:32], -v[41:42]
	v_fma_f64 v[15:16], v[8:9], v[17:18], -v[15:16]
	v_add_f64 v[43:44], v[31:32], v[35:36]
	v_add_f64 v[23:24], v[25:26], -v[23:24]
	v_fma_f64 v[39:40], v[27:28], v[39:40], s[0:1]
	s_mov_b32 s0, 0x7c89e6b0
	s_mov_b32 s1, 0x3efa0199
	v_add_f64 v[29:30], v[35:36], -v[29:30]
	v_add_f64 v[37:38], v[37:38], -v[41:42]
	v_add_f64 v[15:16], v[15:16], s[10:11]
	s_mov_b32 s10, 0xd536f53c
	s_mov_b32 s11, 0x3fba46da
	v_add_f64 v[25:26], v[43:44], -v[31:32]
	v_mul_f64 v[23:24], v[23:24], 0.5
	v_fma_f64 v[39:40], v[27:28], v[39:40], s[0:1]
	s_mov_b32 s0, 0x14761f6e
	s_mov_b32 s1, 0x3f2a01a0
	v_add_f64 v[21:22], v[21:22], -v[29:30]
	v_fma_f64 v[17:18], v[8:9], v[15:16], -v[17:18]
	v_add_f64 v[45:46], v[43:44], -v[25:26]
	v_div_scale_f64 v[47:48], null, v[13:14], v[13:14], v[23:24]
	v_fma_f64 v[39:40], v[27:28], v[39:40], s[0:1]
	s_mov_b32 s0, 0x1852b7b0
	s_mov_b32 s1, 0x3f56c16c
	v_add_f64 v[25:26], v[35:36], -v[25:26]
	v_add_f64 v[17:18], v[17:18], s[10:11]
	s_mov_b32 s10, 0x469192e
	s_mov_b32 s11, 0xbfc694d1
	v_add_f64 v[29:30], v[31:32], -v[45:46]
	v_rcp_f64_e32 v[35:36], v[47:48]
	v_fma_f64 v[31:32], v[27:28], v[39:40], s[0:1]
	s_mov_b32 s0, 0x11122322
	s_mov_b32 s1, 0x3f811111
	v_add_f64 v[39:40], v[37:38], v[21:22]
	v_fma_f64 v[15:16], v[8:9], v[17:18], -v[15:16]
	v_add_f64 v[25:26], v[25:26], v[29:30]
	v_fma_f64 v[29:30], v[27:28], v[31:32], s[0:1]
	v_fma_f64 v[31:32], -v[47:48], v[35:36], 1.0
	s_mov_b32 s0, 0x555502a1
	s_mov_b32 s1, 0x3fa55555
	v_add_f64 v[41:42], v[39:40], -v[37:38]
	v_add_f64 v[15:16], v[15:16], s[10:11]
	s_mov_b32 s10, 0x724a7ffa
	s_mov_b32 s11, 0x3fd02a63
	v_add_f64 v[25:26], v[39:40], v[25:26]
	v_fma_f64 v[29:30], v[27:28], v[29:30], s[0:1]
	v_fma_f64 v[31:32], v[35:36], v[31:32], v[35:36]
	s_mov_b32 s0, 0x55555511
	s_mov_b32 s1, 0x3fc55555
	v_add_f64 v[35:36], v[39:40], -v[41:42]
	v_add_f64 v[21:22], v[21:22], -v[41:42]
	v_div_scale_f64 v[41:42], vcc_lo, v[23:24], v[13:14], v[23:24]
	v_fma_f64 v[8:9], v[8:9], v[15:16], -v[17:18]
	v_add_f64 v[39:40], v[43:44], v[25:26]
	v_fma_f64 v[29:30], v[27:28], v[29:30], s[0:1]
	v_fma_f64 v[15:16], -v[47:48], v[31:32], 1.0
	s_mov_b32 s0, 11
	s_mov_b32 s1, 0x3fe00000
	v_add_f64 v[35:36], v[37:38], -v[35:36]
	v_add_f64 v[8:9], v[8:9], s[10:11]
	v_add_f64 v[37:38], v[39:40], -v[43:44]
	v_fma_f64 v[29:30], v[27:28], v[29:30], s[0:1]
	v_fma_f64 v[15:16], v[31:32], v[15:16], v[31:32]
	v_cmp_neq_f64_e64 s0, 0, v[19:20]
	v_add_f64 v[21:22], v[21:22], v[35:36]
	v_add_f64 v[8:9], v[8:9], -v[17:18]
	v_add_f64 v[25:26], v[25:26], -v[37:38]
	v_fma_f64 v[29:30], v[27:28], v[29:30], 1.0
	v_mul_f64 v[17:18], v[41:42], v[15:16]
	v_mul_f64 v[8:9], v[8:9], 0.5
	v_add_f64 v[21:22], v[21:22], v[25:26]
	v_fma_f64 v[25:26], v[27:28], v[29:30], 1.0
	v_fma_f64 v[27:28], -v[47:48], v[17:18], v[41:42]
	v_mul_f64 v[8:9], v[13:14], v[8:9]
	v_add_f64 v[21:22], v[39:40], v[21:22]
	v_ldexp_f64 v[25:26], v[25:26], v4
	v_div_fmas_f64 v[15:16], v[27:28], v[15:16], v[17:18]
	v_cmp_neq_f64_e32 vcc_lo, 0x7ff00000, v[19:20]
	v_mul_f64 v[8:9], v[25:26], v[8:9]
	v_div_fixup_f64 v[13:14], v[15:16], v[13:14], v[23:24]
	v_cndmask_b32_e32 v4, 0x7ff00000, v22, vcc_lo
	s_and_b32 vcc_lo, s0, vcc_lo
	v_cndmask_b32_e32 v15, 0, v21, vcc_lo
	v_cndmask_b32_e64 v16, 0xfff00000, v4, s0
	v_fma_f64 v[8:9], v[15:16], v[8:9], v[13:14]
                                        ; implicit-def: $vgpr13_vgpr14
.LBB7_76:
	s_andn2_saveexec_b32 s1, s8
	s_cbranch_execz .LBB7_78
; %bb.77:
	v_div_scale_f64 v[8:9], null, v[13:14], v[13:14], 0x40200000
	v_div_scale_f64 v[19:20], vcc_lo, 0x40200000, v[13:14], 0x40200000
	s_mov_b32 s8, 0x838f5ed3
	s_mov_b32 s9, 0x3c74af1a
	s_mov_b32 s11, 0xbc5a8c5d
	s_mov_b32 s10, 0x42c43a08
	v_cmp_nlt_f64_e64 s0, 0x4090cc00, v[13:14]
	v_rcp_f64_e32 v[15:16], v[8:9]
	v_fma_f64 v[17:18], -v[8:9], v[15:16], 1.0
	v_fma_f64 v[15:16], v[15:16], v[17:18], v[15:16]
	v_fma_f64 v[17:18], -v[8:9], v[15:16], 1.0
	v_fma_f64 v[15:16], v[15:16], v[17:18], v[15:16]
	v_mul_f64 v[17:18], v[19:20], v[15:16]
	v_fma_f64 v[8:9], -v[8:9], v[17:18], v[19:20]
	v_div_fmas_f64 v[8:9], v[8:9], v[15:16], v[17:18]
	v_cmp_gt_f64_e32 vcc_lo, 0x10000000, v[13:14]
	v_div_fixup_f64 v[8:9], v[8:9], v[13:14], 0x40200000
	v_cndmask_b32_e64 v4, 0, 0x100, vcc_lo
	v_ldexp_f64 v[25:26], v[13:14], v4
	v_add_f64 v[8:9], v[8:9], -2.0
	v_rsq_f64_e32 v[27:28], v[25:26]
	v_fma_f64 v[15:16], v[8:9], s[10:11], s[8:9]
	s_mov_b32 s11, 0x3c5a8c5d
	s_mov_b32 s8, 0x17771d52
	;; [unrolled: 1-line block ×3, first 2 shown]
	v_mul_f64 v[29:30], v[25:26], v[27:28]
	v_mul_f64 v[27:28], v[27:28], 0.5
	v_fma_f64 v[17:18], v[8:9], v[15:16], s[10:11]
	s_mov_b32 s10, 0x6a5dcb37
	s_mov_b32 s11, 0x3e5ade15
	v_fma_f64 v[31:32], -v[27:28], v[29:30], 0.5
	v_add_f64 v[17:18], v[17:18], s[8:9]
	s_mov_b32 s8, 0x44ee2c0b
	s_mov_b32 s9, 0x3caa7d5e
	v_fma_f64 v[29:30], v[29:30], v[31:32], v[29:30]
	v_fma_f64 v[27:28], v[27:28], v[31:32], v[27:28]
	v_fma_f64 v[15:16], v[8:9], v[17:18], -v[15:16]
	v_fma_f64 v[31:32], -v[29:30], v[29:30], v[25:26]
	v_add_f64 v[15:16], v[15:16], s[8:9]
	s_mov_b32 s8, 0xd8758ef2
	s_mov_b32 s9, 0xbcc5d2a3
	v_fma_f64 v[17:18], v[8:9], v[15:16], -v[17:18]
	v_add_f64 v[17:18], v[17:18], s[8:9]
	s_mov_b32 s8, 0xefee81bd
	s_mov_b32 s9, 0x3ce25ced
	v_fma_f64 v[15:16], v[8:9], v[17:18], -v[15:16]
	;; [unrolled: 4-line block ×14, first 2 shown]
	v_add_f64 v[15:16], v[15:16], s[8:9]
	s_mov_b32 s8, 0x652b82fe
	s_mov_b32 s9, 0xbff71547
	v_mul_f64 v[19:20], v[13:14], s[8:9]
	s_mov_b32 s8, 0x8fada5c6
	s_mov_b32 s9, 0xbe978052
	v_fma_f64 v[17:18], v[8:9], v[15:16], -v[17:18]
	v_rndne_f64_e32 v[19:20], v[19:20]
	v_add_f64 v[17:18], v[17:18], s[8:9]
	s_mov_b32 s8, 0xfefa39ef
	s_mov_b32 s9, 0xbfe62e42
	v_fma_f64 v[21:22], v[19:20], s[8:9], -v[13:14]
	s_mov_b32 s8, 0x3b39803f
	s_mov_b32 s9, 0xbc7abc9e
	v_cvt_i32_f64_e32 v4, v[19:20]
	v_fma_f64 v[15:16], v[8:9], v[17:18], -v[15:16]
	v_fma_f64 v[21:22], v[19:20], s[8:9], v[21:22]
	s_mov_b32 s8, 0x1752d1b6
	s_mov_b32 s9, 0x3ec42fe3
	v_add_f64 v[15:16], v[15:16], s[8:9]
	s_mov_b32 s8, 0xfca7ab0c
	s_mov_b32 s9, 0x3e928af3
	v_fma_f64 v[23:24], v[21:22], s[10:11], s[8:9]
	s_mov_b32 s8, 0x623fde64
	s_mov_b32 s9, 0x3ec71dee
	v_fma_f64 v[17:18], v[8:9], v[15:16], -v[17:18]
	v_fma_f64 v[23:24], v[21:22], v[23:24], s[8:9]
	s_mov_b32 s8, 0x1dcdb2e5
	s_mov_b32 s9, 0xbef44d71
	v_add_f64 v[17:18], v[17:18], s[8:9]
	s_mov_b32 s8, 0x7c89e6b0
	s_mov_b32 s9, 0x3efa0199
	v_fma_f64 v[23:24], v[21:22], v[23:24], s[8:9]
	s_mov_b32 s8, 0x14761f6e
	s_mov_b32 s9, 0x3f2a01a0
	;; [unrolled: 10-line block ×5, first 2 shown]
	v_fma_f64 v[8:9], v[8:9], v[15:16], -v[17:18]
	v_fma_f64 v[15:16], v[31:32], v[27:28], v[29:30]
	v_fma_f64 v[23:24], v[21:22], v[23:24], 1.0
	v_add_f64 v[8:9], v[8:9], s[8:9]
	v_fma_f64 v[29:30], -v[15:16], v[15:16], v[25:26]
	v_fma_f64 v[19:20], v[21:22], v[23:24], 1.0
	v_add_f64 v[8:9], v[8:9], -v[17:18]
	v_fma_f64 v[15:16], v[29:30], v[27:28], v[15:16]
	v_ldexp_f64 v[17:18], v[19:20], v4
	v_cndmask_b32_e64 v4, 0, 0xffffff80, vcc_lo
	v_cmp_class_f64_e64 vcc_lo, v[25:26], 0x260
	v_mul_f64 v[8:9], v[8:9], 0.5
	v_ldexp_f64 v[13:14], v[15:16], v4
	v_cndmask_b32_e64 v16, 0, v18, s0
	v_cndmask_b32_e64 v15, 0, v17, s0
	v_mul_f64 v[8:9], v[15:16], v[8:9]
	v_cndmask_b32_e32 v14, v14, v26, vcc_lo
	v_cndmask_b32_e32 v13, v13, v25, vcc_lo
	v_div_scale_f64 v[15:16], null, v[13:14], v[13:14], v[8:9]
	v_rcp_f64_e32 v[17:18], v[15:16]
	v_fma_f64 v[19:20], -v[15:16], v[17:18], 1.0
	v_fma_f64 v[17:18], v[17:18], v[19:20], v[17:18]
	v_fma_f64 v[19:20], -v[15:16], v[17:18], 1.0
	v_fma_f64 v[17:18], v[17:18], v[19:20], v[17:18]
	v_div_scale_f64 v[19:20], vcc_lo, v[8:9], v[13:14], v[8:9]
	v_mul_f64 v[21:22], v[19:20], v[17:18]
	v_fma_f64 v[15:16], -v[15:16], v[21:22], v[19:20]
	v_div_fmas_f64 v[15:16], v[15:16], v[17:18], v[21:22]
	v_div_fixup_f64 v[8:9], v[15:16], v[13:14], v[8:9]
.LBB7_78:
	s_or_b32 exec_lo, exec_lo, s1
.LBB7_79:
	s_or_b32 exec_lo, exec_lo, s3
.LBB7_80:
	s_or_b32 exec_lo, exec_lo, s2
	global_load_dwordx2 v[11:12], v12, s[6:7]
	s_mov_b32 s2, exec_lo
	s_waitcnt vmcnt(0)
	v_cmpx_neq_f64_e32 0, v[11:12]
	s_cbranch_execz .LBB7_88
; %bb.81:
	v_mov_b32_e32 v6, 0
	v_mov_b32_e32 v7, 0x7ff80000
	s_mov_b32 s3, exec_lo
	v_cmpx_ngt_f64_e32 0, v[11:12]
	s_cbranch_execz .LBB7_87
; %bb.82:
                                        ; implicit-def: $vgpr6_vgpr7
	s_mov_b32 s0, exec_lo
	v_cmpx_ge_f64_e32 2.0, v[11:12]
	s_xor_b32 s8, exec_lo, s0
	s_cbranch_execz .LBB7_84
; %bb.83:
	v_fma_f64 v[6:7], v[11:12], 0.5, -2.0
	s_mov_b32 s0, 0xc38a0576
	s_mov_b32 s1, 0xbc7857d0
	;; [unrolled: 1-line block ×4, first 2 shown]
	v_mul_f64 v[17:18], v[11:12], 0.5
	v_fma_f64 v[33:34], v[11:12], v[11:12], -2.0
	s_mov_b32 s13, 0xbc603228
	s_mov_b32 s12, 0x3d3cda56
	;; [unrolled: 1-line block ×4, first 2 shown]
	v_fma_f64 v[13:14], v[6:7], s[10:11], s[0:1]
	s_mov_b32 s11, 0xbc499f2a
	s_mov_b32 s0, 0xe593bfac
	;; [unrolled: 1-line block ×3, first 2 shown]
	v_frexp_mant_f64_e32 v[19:20], v[17:18]
	v_fma_f64 v[15:16], v[6:7], v[13:14], s[10:11]
	s_mov_b32 s10, 0x97eb07de
	s_mov_b32 s11, 0xbdd25103
	v_add_f64 v[15:16], v[15:16], s[0:1]
	s_mov_b32 s0, 0x7e0d1573
	s_mov_b32 s1, 0xbcd3eaaa
	v_fma_f64 v[13:14], v[6:7], v[15:16], -v[13:14]
	v_add_f64 v[13:14], v[13:14], s[0:1]
	s_mov_b32 s0, 0x615290c
	s_mov_b32 s1, 0x3d011d7f
	v_fma_f64 v[15:16], v[6:7], v[13:14], -v[15:16]
	;; [unrolled: 4-line block ×6, first 2 shown]
	v_add_f64 v[15:16], v[15:16], s[0:1]
	s_mov_b32 s1, 0x3fe55555
	s_mov_b32 s0, 0x55555555
	v_cmp_gt_f64_e32 vcc_lo, s[0:1], v[19:20]
	s_mov_b32 s0, 0x55555780
	v_fma_f64 v[13:14], v[6:7], v[15:16], -v[13:14]
	v_cndmask_b32_e64 v4, 0, 1, vcc_lo
	v_ldexp_f64 v[19:20], v[19:20], v4
	v_frexp_exp_i32_f64_e32 v4, v[17:18]
	v_add_f64 v[13:14], v[13:14], s[10:11]
	s_mov_b32 s10, 0xb43fdf6c
	s_mov_b32 s11, 0x3df8ea34
	v_add_f64 v[21:22], v[19:20], 1.0
	v_add_f64 v[27:28], v[19:20], -1.0
	v_subrev_co_ci_u32_e64 v4, null, 0, v4, vcc_lo
	v_fma_f64 v[15:16], v[6:7], v[13:14], -v[15:16]
	v_rcp_f64_e32 v[23:24], v[21:22]
	v_add_f64 v[29:30], v[21:22], -1.0
	v_add_f64 v[15:16], v[15:16], s[10:11]
	s_mov_b32 s10, 0x28ea67e6
	s_mov_b32 s11, 0xbe20361b
	v_add_f64 v[19:20], v[19:20], -v[29:30]
	v_fma_f64 v[25:26], -v[21:22], v[23:24], 1.0
	v_fma_f64 v[13:14], v[6:7], v[15:16], -v[13:14]
	v_fma_f64 v[23:24], v[25:26], v[23:24], v[23:24]
	v_add_f64 v[13:14], v[13:14], s[10:11]
	s_mov_b32 s10, 0x2395010
	s_mov_b32 s11, 0x3e44258e
	v_fma_f64 v[25:26], -v[21:22], v[23:24], 1.0
	v_fma_f64 v[15:16], v[6:7], v[13:14], -v[15:16]
	v_fma_f64 v[23:24], v[25:26], v[23:24], v[23:24]
	v_add_f64 v[15:16], v[15:16], s[10:11]
	s_mov_b32 s10, 0x24b8c3e8
	s_mov_b32 s11, 0xbe67dd3e
	v_mul_f64 v[25:26], v[27:28], v[23:24]
	v_fma_f64 v[13:14], v[6:7], v[15:16], -v[13:14]
	v_mul_f64 v[31:32], v[21:22], v[25:26]
	v_add_f64 v[13:14], v[13:14], s[10:11]
	s_mov_b32 s10, 0xb347d108
	s_mov_b32 s11, 0x3e8ae344
	v_fma_f64 v[21:22], v[25:26], v[21:22], -v[31:32]
	v_fma_f64 v[15:16], v[6:7], v[13:14], -v[15:16]
	v_fma_f64 v[19:20], v[25:26], v[19:20], v[21:22]
	v_add_f64 v[15:16], v[15:16], s[10:11]
	s_mov_b32 s10, 0x7a0399e0
	s_mov_b32 s11, 0xbce5dd51
	v_fma_f64 v[35:36], v[33:34], s[12:13], s[10:11]
	s_mov_b32 s13, 0x3c603228
	s_mov_b32 s10, 0xddd0e045
	;; [unrolled: 1-line block ×3, first 2 shown]
	v_add_f64 v[21:22], v[31:32], v[19:20]
	v_fma_f64 v[13:14], v[6:7], v[15:16], -v[13:14]
	v_add_f64 v[29:30], v[27:28], -v[21:22]
	v_add_f64 v[31:32], v[21:22], -v[31:32]
	v_add_f64 v[13:14], v[13:14], s[14:15]
	s_mov_b32 s14, 0xd3d694fe
	s_mov_b32 s15, 0xbf2533ca
	v_add_f64 v[27:28], v[27:28], -v[29:30]
	v_add_f64 v[19:20], v[31:32], -v[19:20]
	v_fma_f64 v[15:16], v[6:7], v[13:14], -v[15:16]
	v_add_f64 v[21:22], v[27:28], -v[21:22]
	v_fma_f64 v[27:28], v[33:34], v[35:36], s[12:13]
	s_mov_b32 s12, 0xd511afc5
	s_mov_b32 s13, 0x3ecd1c4e
	v_add_f64 v[15:16], v[15:16], s[12:13]
	s_mov_b32 s12, 0xb8debbcf
	s_mov_b32 s13, 0xbeebd5f9
	v_add_f64 v[19:20], v[19:20], v[21:22]
	v_add_f64 v[21:22], v[27:28], s[10:11]
	s_mov_b32 s10, 0xb84626ca
	s_mov_b32 s11, 0xbde3663b
	v_fma_f64 v[13:14], v[6:7], v[15:16], -v[13:14]
	v_add_f64 v[19:20], v[29:30], v[19:20]
	v_fma_f64 v[27:28], v[33:34], v[21:22], -v[35:36]
	v_add_f64 v[13:14], v[13:14], s[12:13]
	s_mov_b32 s12, 0x42c70d0b
	s_mov_b32 s13, 0x3f0911b5
	v_mul_f64 v[19:20], v[23:24], v[19:20]
	v_add_f64 v[23:24], v[27:28], s[10:11]
	s_mov_b32 s10, 0x145c31d0
	s_mov_b32 s11, 0xbe57c41d
	v_fma_f64 v[15:16], v[6:7], v[13:14], -v[15:16]
	v_add_f64 v[27:28], v[25:26], v[19:20]
	v_fma_f64 v[21:22], v[33:34], v[23:24], -v[21:22]
	v_add_f64 v[15:16], v[15:16], s[12:13]
	s_mov_b32 s12, 0xbf559e2b
	s_mov_b32 s13, 0x3fc3ab76
	v_mul_f64 v[29:30], v[27:28], v[27:28]
	v_add_f64 v[21:22], v[21:22], s[10:11]
	s_mov_b32 s10, 0x6b47b09a
	s_mov_b32 s11, 0x3fc38538
	v_add_f64 v[25:26], v[27:28], -v[25:26]
	v_fma_f64 v[13:14], v[6:7], v[15:16], -v[13:14]
	v_fma_f64 v[31:32], v[29:30], s[12:13], s[10:11]
	v_fma_f64 v[23:24], v[33:34], v[21:22], -v[23:24]
	s_mov_b32 s10, 0x2c832e3a
	s_mov_b32 s11, 0xbec469b3
	;; [unrolled: 1-line block ×4, first 2 shown]
	v_mul_f64 v[35:36], v[27:28], v[29:30]
	v_add_f64 v[19:20], v[19:20], -v[25:26]
	v_add_f64 v[13:14], v[13:14], s[14:15]
	s_mov_b32 s14, 0xb6c6df7d
	s_mov_b32 s15, 0x3f40c95d
	v_fma_f64 v[31:32], v[29:30], v[31:32], s[12:13]
	v_add_f64 v[23:24], v[23:24], s[10:11]
	s_mov_b32 s10, 0x16291751
	s_mov_b32 s11, 0x3fcc71c0
	s_mov_b32 s12, 0x9b27acf1
	s_mov_b32 s13, 0x3fd24924
	v_ldexp_f64 v[19:20], v[19:20], 1
	v_fma_f64 v[15:16], v[6:7], v[13:14], -v[15:16]
	v_fma_f64 v[31:32], v[29:30], v[31:32], s[10:11]
	v_fma_f64 v[21:22], v[33:34], v[23:24], -v[21:22]
	s_mov_b32 s10, 0xe5a3bd02
	s_mov_b32 s11, 0xbf26ade2
	v_add_f64 v[15:16], v[15:16], s[14:15]
	s_mov_b32 s14, 0xe7bb2349
	s_mov_b32 s15, 0x3f9951e3
	v_fma_f64 v[31:32], v[29:30], v[31:32], s[12:13]
	v_add_f64 v[21:22], v[21:22], s[10:11]
	s_mov_b32 s10, 0x998ef7b6
	s_mov_b32 s11, 0x3fd99999
	;; [unrolled: 1-line block ×4, first 2 shown]
	v_fma_f64 v[13:14], v[6:7], v[15:16], -v[13:14]
	v_fma_f64 v[31:32], v[29:30], v[31:32], s[10:11]
	v_fma_f64 v[23:24], v[33:34], v[21:22], -v[23:24]
	s_mov_b32 s10, 0x9d7d4192
	s_mov_b32 s11, 0xbf7c9293
	v_add_f64 v[13:14], v[13:14], s[12:13]
	s_mov_b32 s12, 0x49d3a1b4
	s_mov_b32 s13, 0x3f710653
	v_fma_f64 v[29:30], v[29:30], v[31:32], s[0:1]
	v_add_f64 v[23:24], v[23:24], s[10:11]
	v_ldexp_f64 v[31:32], v[27:28], 1
	s_mov_b32 s0, 0x43c1db74
	s_mov_b32 s1, 0xbfbf6372
	;; [unrolled: 1-line block ×4, first 2 shown]
	v_mul_f64 v[37:38], v[11:12], s[10:11]
	s_mov_b32 s10, 0x757b0dd4
	s_mov_b32 s11, 0xbfd69a1b
	v_fma_f64 v[15:16], v[6:7], v[13:14], -v[15:16]
	v_mul_f64 v[29:30], v[35:36], v[29:30]
	v_fma_f64 v[21:22], v[33:34], v[23:24], -v[21:22]
	v_cvt_f64_i32_e32 v[35:36], v4
	v_add_f64 v[15:16], v[15:16], s[12:13]
	s_mov_b32 s12, 0x7913a26a
	s_mov_b32 s13, 0xbf85a29f
	v_add_f64 v[27:28], v[31:32], v[29:30]
	v_add_f64 v[21:22], v[21:22], s[0:1]
	s_mov_b32 s1, 0x3fe62e42
	s_mov_b32 s0, 0xfefa39ef
	v_mul_f64 v[39:40], v[35:36], s[0:1]
	v_fma_f64 v[13:14], v[6:7], v[15:16], -v[13:14]
	v_add_f64 v[25:26], v[27:28], -v[31:32]
	v_fma_f64 v[23:24], v[33:34], v[21:22], -v[23:24]
	v_rndne_f64_e32 v[31:32], v[37:38]
	v_fma_f64 v[37:38], v[35:36], s[0:1], -v[39:40]
	s_mov_b32 s1, 0xbfe62e42
	v_add_f64 v[13:14], v[13:14], s[12:13]
	s_mov_b32 s12, 0x6a5dcb37
	s_mov_b32 s13, 0x3e5ade15
	v_add_f64 v[25:26], v[29:30], -v[25:26]
	v_add_f64 v[23:24], v[23:24], s[10:11]
	v_fma_f64 v[29:30], v[31:32], s[0:1], v[11:12]
	s_mov_b32 s1, 0x3c7abc9e
	s_mov_b32 s0, 0x3b39803f
	;; [unrolled: 1-line block ×3, first 2 shown]
	v_fma_f64 v[35:36], v[35:36], s[0:1], v[37:38]
	s_mov_b32 s1, 0xbc7abc9e
	s_mov_b32 s11, 0x3e928af3
	v_cvt_i32_f64_e32 v4, v[31:32]
	v_fma_f64 v[15:16], v[6:7], v[13:14], -v[15:16]
	v_add_f64 v[19:20], v[19:20], v[25:26]
	v_fma_f64 v[23:24], v[33:34], v[23:24], -v[21:22]
	v_fma_f64 v[25:26], v[31:32], s[0:1], v[29:30]
	s_mov_b32 s0, 0x361008ca
	s_mov_b32 s1, 0x3ff867a1
	v_add_f64 v[29:30], v[39:40], v[35:36]
	v_add_f64 v[15:16], v[15:16], s[14:15]
	;; [unrolled: 1-line block ×4, first 2 shown]
	v_fma_f64 v[37:38], v[25:26], s[12:13], s[10:11]
	s_mov_b32 s0, 0x623fde64
	s_mov_b32 s1, 0x3ec71dee
	;; [unrolled: 1-line block ×4, first 2 shown]
	v_add_f64 v[39:40], v[29:30], -v[39:40]
	v_fma_f64 v[13:14], v[6:7], v[15:16], -v[13:14]
	v_add_f64 v[41:42], v[29:30], v[33:34]
	v_add_f64 v[21:22], v[23:24], -v[21:22]
	v_fma_f64 v[37:38], v[25:26], v[37:38], s[0:1]
	s_mov_b32 s0, 0x7c89e6b0
	s_mov_b32 s1, 0x3efa0199
	v_add_f64 v[27:28], v[33:34], -v[27:28]
	v_add_f64 v[35:36], v[35:36], -v[39:40]
	v_add_f64 v[13:14], v[13:14], s[10:11]
	s_mov_b32 s10, 0xd536f53c
	s_mov_b32 s11, 0x3fba46da
	v_add_f64 v[23:24], v[41:42], -v[29:30]
	v_mul_f64 v[21:22], v[21:22], 0.5
	v_fma_f64 v[37:38], v[25:26], v[37:38], s[0:1]
	s_mov_b32 s0, 0x14761f6e
	s_mov_b32 s1, 0x3f2a01a0
	v_add_f64 v[19:20], v[19:20], -v[27:28]
	v_fma_f64 v[15:16], v[6:7], v[13:14], -v[15:16]
	v_add_f64 v[43:44], v[41:42], -v[23:24]
	v_div_scale_f64 v[45:46], null, v[11:12], v[11:12], v[21:22]
	v_fma_f64 v[37:38], v[25:26], v[37:38], s[0:1]
	s_mov_b32 s0, 0x1852b7b0
	s_mov_b32 s1, 0x3f56c16c
	v_add_f64 v[23:24], v[33:34], -v[23:24]
	v_add_f64 v[15:16], v[15:16], s[10:11]
	s_mov_b32 s10, 0x469192e
	s_mov_b32 s11, 0xbfc694d1
	v_add_f64 v[27:28], v[29:30], -v[43:44]
	v_rcp_f64_e32 v[33:34], v[45:46]
	v_fma_f64 v[29:30], v[25:26], v[37:38], s[0:1]
	s_mov_b32 s0, 0x11122322
	s_mov_b32 s1, 0x3f811111
	v_add_f64 v[37:38], v[35:36], v[19:20]
	v_fma_f64 v[13:14], v[6:7], v[15:16], -v[13:14]
	v_add_f64 v[23:24], v[23:24], v[27:28]
	v_fma_f64 v[27:28], v[25:26], v[29:30], s[0:1]
	v_fma_f64 v[29:30], -v[45:46], v[33:34], 1.0
	s_mov_b32 s0, 0x555502a1
	s_mov_b32 s1, 0x3fa55555
	v_add_f64 v[39:40], v[37:38], -v[35:36]
	v_add_f64 v[13:14], v[13:14], s[10:11]
	s_mov_b32 s10, 0x724a7ffa
	s_mov_b32 s11, 0x3fd02a63
	v_add_f64 v[23:24], v[37:38], v[23:24]
	v_fma_f64 v[27:28], v[25:26], v[27:28], s[0:1]
	v_fma_f64 v[29:30], v[33:34], v[29:30], v[33:34]
	s_mov_b32 s0, 0x55555511
	s_mov_b32 s1, 0x3fc55555
	v_add_f64 v[33:34], v[37:38], -v[39:40]
	v_add_f64 v[19:20], v[19:20], -v[39:40]
	v_div_scale_f64 v[39:40], vcc_lo, v[21:22], v[11:12], v[21:22]
	v_fma_f64 v[6:7], v[6:7], v[13:14], -v[15:16]
	v_add_f64 v[37:38], v[41:42], v[23:24]
	v_fma_f64 v[27:28], v[25:26], v[27:28], s[0:1]
	v_fma_f64 v[13:14], -v[45:46], v[29:30], 1.0
	s_mov_b32 s0, 11
	s_mov_b32 s1, 0x3fe00000
	v_add_f64 v[33:34], v[35:36], -v[33:34]
	v_add_f64 v[6:7], v[6:7], s[10:11]
	v_add_f64 v[35:36], v[37:38], -v[41:42]
	v_fma_f64 v[27:28], v[25:26], v[27:28], s[0:1]
	v_fma_f64 v[13:14], v[29:30], v[13:14], v[29:30]
	v_cmp_neq_f64_e64 s0, 0, v[17:18]
	v_add_f64 v[19:20], v[19:20], v[33:34]
	v_add_f64 v[6:7], v[6:7], -v[15:16]
	v_add_f64 v[23:24], v[23:24], -v[35:36]
	v_fma_f64 v[27:28], v[25:26], v[27:28], 1.0
	v_mul_f64 v[15:16], v[39:40], v[13:14]
	v_mul_f64 v[6:7], v[6:7], 0.5
	v_add_f64 v[19:20], v[19:20], v[23:24]
	v_fma_f64 v[23:24], v[25:26], v[27:28], 1.0
	v_fma_f64 v[25:26], -v[45:46], v[15:16], v[39:40]
	v_mul_f64 v[6:7], v[11:12], v[6:7]
	v_add_f64 v[19:20], v[37:38], v[19:20]
	v_ldexp_f64 v[23:24], v[23:24], v4
	v_div_fmas_f64 v[13:14], v[25:26], v[13:14], v[15:16]
	v_cmp_neq_f64_e32 vcc_lo, 0x7ff00000, v[17:18]
	v_mul_f64 v[6:7], v[23:24], v[6:7]
	v_div_fixup_f64 v[11:12], v[13:14], v[11:12], v[21:22]
	v_cndmask_b32_e32 v4, 0x7ff00000, v20, vcc_lo
	s_and_b32 vcc_lo, s0, vcc_lo
	v_cndmask_b32_e32 v13, 0, v19, vcc_lo
	v_cndmask_b32_e64 v14, 0xfff00000, v4, s0
	v_fma_f64 v[6:7], v[13:14], v[6:7], v[11:12]
                                        ; implicit-def: $vgpr11_vgpr12
.LBB7_84:
	s_andn2_saveexec_b32 s1, s8
	s_cbranch_execz .LBB7_86
; %bb.85:
	v_div_scale_f64 v[6:7], null, v[11:12], v[11:12], 0x40200000
	v_div_scale_f64 v[17:18], vcc_lo, 0x40200000, v[11:12], 0x40200000
	s_mov_b32 s8, 0x838f5ed3
	s_mov_b32 s9, 0x3c74af1a
	;; [unrolled: 1-line block ×4, first 2 shown]
	v_cmp_nlt_f64_e64 s0, 0x4090cc00, v[11:12]
	v_rcp_f64_e32 v[13:14], v[6:7]
	v_fma_f64 v[15:16], -v[6:7], v[13:14], 1.0
	v_fma_f64 v[13:14], v[13:14], v[15:16], v[13:14]
	v_fma_f64 v[15:16], -v[6:7], v[13:14], 1.0
	v_fma_f64 v[13:14], v[13:14], v[15:16], v[13:14]
	v_mul_f64 v[15:16], v[17:18], v[13:14]
	v_fma_f64 v[6:7], -v[6:7], v[15:16], v[17:18]
	v_div_fmas_f64 v[6:7], v[6:7], v[13:14], v[15:16]
	v_cmp_gt_f64_e32 vcc_lo, 0x10000000, v[11:12]
	v_div_fixup_f64 v[6:7], v[6:7], v[11:12], 0x40200000
	v_cndmask_b32_e64 v4, 0, 0x100, vcc_lo
	v_ldexp_f64 v[23:24], v[11:12], v4
	v_add_f64 v[6:7], v[6:7], -2.0
	v_rsq_f64_e32 v[25:26], v[23:24]
	v_fma_f64 v[13:14], v[6:7], s[10:11], s[8:9]
	s_mov_b32 s11, 0x3c5a8c5d
	s_mov_b32 s8, 0x17771d52
	;; [unrolled: 1-line block ×3, first 2 shown]
	v_mul_f64 v[27:28], v[23:24], v[25:26]
	v_mul_f64 v[25:26], v[25:26], 0.5
	v_fma_f64 v[15:16], v[6:7], v[13:14], s[10:11]
	s_mov_b32 s10, 0x6a5dcb37
	s_mov_b32 s11, 0x3e5ade15
	v_fma_f64 v[29:30], -v[25:26], v[27:28], 0.5
	v_add_f64 v[15:16], v[15:16], s[8:9]
	s_mov_b32 s8, 0x44ee2c0b
	s_mov_b32 s9, 0x3caa7d5e
	v_fma_f64 v[27:28], v[27:28], v[29:30], v[27:28]
	v_fma_f64 v[25:26], v[25:26], v[29:30], v[25:26]
	v_fma_f64 v[13:14], v[6:7], v[15:16], -v[13:14]
	v_fma_f64 v[29:30], -v[27:28], v[27:28], v[23:24]
	v_add_f64 v[13:14], v[13:14], s[8:9]
	s_mov_b32 s8, 0xd8758ef2
	s_mov_b32 s9, 0xbcc5d2a3
	v_fma_f64 v[15:16], v[6:7], v[13:14], -v[15:16]
	v_add_f64 v[15:16], v[15:16], s[8:9]
	s_mov_b32 s8, 0xefee81bd
	s_mov_b32 s9, 0x3ce25ced
	v_fma_f64 v[13:14], v[6:7], v[15:16], -v[13:14]
	;; [unrolled: 4-line block ×14, first 2 shown]
	v_add_f64 v[13:14], v[13:14], s[8:9]
	s_mov_b32 s8, 0x652b82fe
	s_mov_b32 s9, 0xbff71547
	v_mul_f64 v[17:18], v[11:12], s[8:9]
	s_mov_b32 s8, 0x8fada5c6
	s_mov_b32 s9, 0xbe978052
	v_fma_f64 v[15:16], v[6:7], v[13:14], -v[15:16]
	v_rndne_f64_e32 v[17:18], v[17:18]
	v_add_f64 v[15:16], v[15:16], s[8:9]
	s_mov_b32 s8, 0xfefa39ef
	s_mov_b32 s9, 0xbfe62e42
	v_fma_f64 v[19:20], v[17:18], s[8:9], -v[11:12]
	s_mov_b32 s8, 0x3b39803f
	s_mov_b32 s9, 0xbc7abc9e
	v_cvt_i32_f64_e32 v4, v[17:18]
	v_fma_f64 v[13:14], v[6:7], v[15:16], -v[13:14]
	v_fma_f64 v[19:20], v[17:18], s[8:9], v[19:20]
	s_mov_b32 s8, 0x1752d1b6
	s_mov_b32 s9, 0x3ec42fe3
	v_add_f64 v[13:14], v[13:14], s[8:9]
	s_mov_b32 s8, 0xfca7ab0c
	s_mov_b32 s9, 0x3e928af3
	v_fma_f64 v[21:22], v[19:20], s[10:11], s[8:9]
	s_mov_b32 s8, 0x623fde64
	s_mov_b32 s9, 0x3ec71dee
	v_fma_f64 v[15:16], v[6:7], v[13:14], -v[15:16]
	v_fma_f64 v[21:22], v[19:20], v[21:22], s[8:9]
	s_mov_b32 s8, 0x1dcdb2e5
	s_mov_b32 s9, 0xbef44d71
	v_add_f64 v[15:16], v[15:16], s[8:9]
	s_mov_b32 s8, 0x7c89e6b0
	s_mov_b32 s9, 0x3efa0199
	v_fma_f64 v[21:22], v[19:20], v[21:22], s[8:9]
	s_mov_b32 s8, 0x14761f6e
	s_mov_b32 s9, 0x3f2a01a0
	;; [unrolled: 10-line block ×5, first 2 shown]
	v_fma_f64 v[6:7], v[6:7], v[13:14], -v[15:16]
	v_fma_f64 v[13:14], v[29:30], v[25:26], v[27:28]
	v_fma_f64 v[21:22], v[19:20], v[21:22], 1.0
	v_add_f64 v[6:7], v[6:7], s[8:9]
	v_fma_f64 v[27:28], -v[13:14], v[13:14], v[23:24]
	v_fma_f64 v[17:18], v[19:20], v[21:22], 1.0
	v_add_f64 v[6:7], v[6:7], -v[15:16]
	v_fma_f64 v[13:14], v[27:28], v[25:26], v[13:14]
	v_ldexp_f64 v[15:16], v[17:18], v4
	v_cndmask_b32_e64 v4, 0, 0xffffff80, vcc_lo
	v_cmp_class_f64_e64 vcc_lo, v[23:24], 0x260
	v_mul_f64 v[6:7], v[6:7], 0.5
	v_ldexp_f64 v[11:12], v[13:14], v4
	v_cndmask_b32_e64 v14, 0, v16, s0
	v_cndmask_b32_e64 v13, 0, v15, s0
	v_mul_f64 v[6:7], v[13:14], v[6:7]
	v_cndmask_b32_e32 v12, v12, v24, vcc_lo
	v_cndmask_b32_e32 v11, v11, v23, vcc_lo
	v_div_scale_f64 v[13:14], null, v[11:12], v[11:12], v[6:7]
	v_rcp_f64_e32 v[15:16], v[13:14]
	v_fma_f64 v[17:18], -v[13:14], v[15:16], 1.0
	v_fma_f64 v[15:16], v[15:16], v[17:18], v[15:16]
	v_fma_f64 v[17:18], -v[13:14], v[15:16], 1.0
	v_fma_f64 v[15:16], v[15:16], v[17:18], v[15:16]
	v_div_scale_f64 v[17:18], vcc_lo, v[6:7], v[11:12], v[6:7]
	v_mul_f64 v[19:20], v[17:18], v[15:16]
	v_fma_f64 v[13:14], -v[13:14], v[19:20], v[17:18]
	v_div_fmas_f64 v[13:14], v[13:14], v[15:16], v[19:20]
	v_div_fixup_f64 v[6:7], v[13:14], v[11:12], v[6:7]
.LBB7_86:
	s_or_b32 exec_lo, exec_lo, s1
.LBB7_87:
	s_or_b32 exec_lo, exec_lo, s3
.LBB7_88:
	s_or_b32 exec_lo, exec_lo, s2
	global_load_dwordx2 v[14:15], v10, s[6:7]
	v_mov_b32_e32 v10, 0
	v_mov_b32_e32 v12, 0
	;; [unrolled: 1-line block ×4, first 2 shown]
	s_mov_b32 s2, exec_lo
	s_waitcnt vmcnt(0)
	v_cmpx_neq_f64_e32 0, v[14:15]
	s_cbranch_execz .LBB7_96
; %bb.89:
	v_mov_b32_e32 v12, 0
	v_mov_b32_e32 v13, 0x7ff80000
	s_mov_b32 s3, exec_lo
	v_cmpx_ngt_f64_e32 0, v[14:15]
	s_cbranch_execz .LBB7_95
; %bb.90:
                                        ; implicit-def: $vgpr12_vgpr13
	s_mov_b32 s0, exec_lo
	v_cmpx_ge_f64_e32 2.0, v[14:15]
	s_xor_b32 s8, exec_lo, s0
	s_cbranch_execz .LBB7_92
; %bb.91:
	v_fma_f64 v[12:13], v[14:15], 0.5, -2.0
	s_mov_b32 s0, 0xc38a0576
	s_mov_b32 s1, 0xbc7857d0
	;; [unrolled: 1-line block ×4, first 2 shown]
	v_mul_f64 v[20:21], v[14:15], 0.5
	v_fma_f64 v[36:37], v[14:15], v[14:15], -2.0
	s_mov_b32 s13, 0xbc603228
	s_mov_b32 s12, 0x3d3cda56
	;; [unrolled: 1-line block ×4, first 2 shown]
	v_fma_f64 v[16:17], v[12:13], s[10:11], s[0:1]
	s_mov_b32 s11, 0xbc499f2a
	s_mov_b32 s0, 0xe593bfac
	;; [unrolled: 1-line block ×3, first 2 shown]
	v_frexp_mant_f64_e32 v[22:23], v[20:21]
	v_fma_f64 v[18:19], v[12:13], v[16:17], s[10:11]
	s_mov_b32 s10, 0x97eb07de
	s_mov_b32 s11, 0xbdd25103
	v_add_f64 v[18:19], v[18:19], s[0:1]
	s_mov_b32 s0, 0x7e0d1573
	s_mov_b32 s1, 0xbcd3eaaa
	v_fma_f64 v[16:17], v[12:13], v[18:19], -v[16:17]
	v_add_f64 v[16:17], v[16:17], s[0:1]
	s_mov_b32 s0, 0x615290c
	s_mov_b32 s1, 0x3d011d7f
	v_fma_f64 v[18:19], v[12:13], v[16:17], -v[18:19]
	;; [unrolled: 4-line block ×6, first 2 shown]
	v_add_f64 v[18:19], v[18:19], s[0:1]
	s_mov_b32 s1, 0x3fe55555
	s_mov_b32 s0, 0x55555555
	v_cmp_gt_f64_e32 vcc_lo, s[0:1], v[22:23]
	s_mov_b32 s0, 0x55555780
	v_fma_f64 v[16:17], v[12:13], v[18:19], -v[16:17]
	v_cndmask_b32_e64 v4, 0, 1, vcc_lo
	v_ldexp_f64 v[22:23], v[22:23], v4
	v_frexp_exp_i32_f64_e32 v4, v[20:21]
	v_add_f64 v[16:17], v[16:17], s[10:11]
	s_mov_b32 s10, 0xb43fdf6c
	s_mov_b32 s11, 0x3df8ea34
	v_add_f64 v[24:25], v[22:23], 1.0
	v_add_f64 v[30:31], v[22:23], -1.0
	v_subrev_co_ci_u32_e64 v4, null, 0, v4, vcc_lo
	v_fma_f64 v[18:19], v[12:13], v[16:17], -v[18:19]
	v_rcp_f64_e32 v[26:27], v[24:25]
	v_add_f64 v[32:33], v[24:25], -1.0
	v_add_f64 v[18:19], v[18:19], s[10:11]
	s_mov_b32 s10, 0x28ea67e6
	s_mov_b32 s11, 0xbe20361b
	v_add_f64 v[22:23], v[22:23], -v[32:33]
	v_fma_f64 v[28:29], -v[24:25], v[26:27], 1.0
	v_fma_f64 v[16:17], v[12:13], v[18:19], -v[16:17]
	v_fma_f64 v[26:27], v[28:29], v[26:27], v[26:27]
	v_add_f64 v[16:17], v[16:17], s[10:11]
	s_mov_b32 s10, 0x2395010
	s_mov_b32 s11, 0x3e44258e
	v_fma_f64 v[28:29], -v[24:25], v[26:27], 1.0
	v_fma_f64 v[18:19], v[12:13], v[16:17], -v[18:19]
	v_fma_f64 v[26:27], v[28:29], v[26:27], v[26:27]
	v_add_f64 v[18:19], v[18:19], s[10:11]
	s_mov_b32 s10, 0x24b8c3e8
	s_mov_b32 s11, 0xbe67dd3e
	v_mul_f64 v[28:29], v[30:31], v[26:27]
	v_fma_f64 v[16:17], v[12:13], v[18:19], -v[16:17]
	v_mul_f64 v[34:35], v[24:25], v[28:29]
	v_add_f64 v[16:17], v[16:17], s[10:11]
	s_mov_b32 s10, 0xb347d108
	s_mov_b32 s11, 0x3e8ae344
	v_fma_f64 v[24:25], v[28:29], v[24:25], -v[34:35]
	v_fma_f64 v[18:19], v[12:13], v[16:17], -v[18:19]
	v_fma_f64 v[22:23], v[28:29], v[22:23], v[24:25]
	v_add_f64 v[18:19], v[18:19], s[10:11]
	s_mov_b32 s10, 0x7a0399e0
	s_mov_b32 s11, 0xbce5dd51
	v_fma_f64 v[38:39], v[36:37], s[12:13], s[10:11]
	s_mov_b32 s13, 0x3c603228
	s_mov_b32 s10, 0xddd0e045
	;; [unrolled: 1-line block ×3, first 2 shown]
	v_add_f64 v[24:25], v[34:35], v[22:23]
	v_fma_f64 v[16:17], v[12:13], v[18:19], -v[16:17]
	v_add_f64 v[32:33], v[30:31], -v[24:25]
	v_add_f64 v[34:35], v[24:25], -v[34:35]
	v_add_f64 v[16:17], v[16:17], s[14:15]
	s_mov_b32 s14, 0xd3d694fe
	s_mov_b32 s15, 0xbf2533ca
	v_add_f64 v[30:31], v[30:31], -v[32:33]
	v_add_f64 v[22:23], v[34:35], -v[22:23]
	v_fma_f64 v[18:19], v[12:13], v[16:17], -v[18:19]
	v_add_f64 v[24:25], v[30:31], -v[24:25]
	v_fma_f64 v[30:31], v[36:37], v[38:39], s[12:13]
	s_mov_b32 s12, 0xd511afc5
	s_mov_b32 s13, 0x3ecd1c4e
	v_add_f64 v[18:19], v[18:19], s[12:13]
	s_mov_b32 s12, 0xb8debbcf
	s_mov_b32 s13, 0xbeebd5f9
	v_add_f64 v[22:23], v[22:23], v[24:25]
	v_add_f64 v[24:25], v[30:31], s[10:11]
	s_mov_b32 s10, 0xb84626ca
	s_mov_b32 s11, 0xbde3663b
	v_fma_f64 v[16:17], v[12:13], v[18:19], -v[16:17]
	v_add_f64 v[22:23], v[32:33], v[22:23]
	v_fma_f64 v[30:31], v[36:37], v[24:25], -v[38:39]
	v_add_f64 v[16:17], v[16:17], s[12:13]
	s_mov_b32 s12, 0x42c70d0b
	s_mov_b32 s13, 0x3f0911b5
	v_mul_f64 v[22:23], v[26:27], v[22:23]
	v_add_f64 v[26:27], v[30:31], s[10:11]
	s_mov_b32 s10, 0x145c31d0
	s_mov_b32 s11, 0xbe57c41d
	v_fma_f64 v[18:19], v[12:13], v[16:17], -v[18:19]
	v_add_f64 v[30:31], v[28:29], v[22:23]
	v_fma_f64 v[24:25], v[36:37], v[26:27], -v[24:25]
	v_add_f64 v[18:19], v[18:19], s[12:13]
	s_mov_b32 s12, 0xbf559e2b
	s_mov_b32 s13, 0x3fc3ab76
	v_mul_f64 v[32:33], v[30:31], v[30:31]
	v_add_f64 v[24:25], v[24:25], s[10:11]
	s_mov_b32 s10, 0x6b47b09a
	s_mov_b32 s11, 0x3fc38538
	v_add_f64 v[28:29], v[30:31], -v[28:29]
	v_fma_f64 v[16:17], v[12:13], v[18:19], -v[16:17]
	v_fma_f64 v[34:35], v[32:33], s[12:13], s[10:11]
	v_fma_f64 v[26:27], v[36:37], v[24:25], -v[26:27]
	s_mov_b32 s10, 0x2c832e3a
	s_mov_b32 s11, 0xbec469b3
	;; [unrolled: 1-line block ×4, first 2 shown]
	v_mul_f64 v[38:39], v[30:31], v[32:33]
	v_add_f64 v[22:23], v[22:23], -v[28:29]
	v_add_f64 v[16:17], v[16:17], s[14:15]
	s_mov_b32 s14, 0xb6c6df7d
	s_mov_b32 s15, 0x3f40c95d
	v_fma_f64 v[34:35], v[32:33], v[34:35], s[12:13]
	v_add_f64 v[26:27], v[26:27], s[10:11]
	s_mov_b32 s10, 0x16291751
	s_mov_b32 s11, 0x3fcc71c0
	;; [unrolled: 1-line block ×4, first 2 shown]
	v_ldexp_f64 v[22:23], v[22:23], 1
	v_fma_f64 v[18:19], v[12:13], v[16:17], -v[18:19]
	v_fma_f64 v[34:35], v[32:33], v[34:35], s[10:11]
	v_fma_f64 v[24:25], v[36:37], v[26:27], -v[24:25]
	s_mov_b32 s10, 0xe5a3bd02
	s_mov_b32 s11, 0xbf26ade2
	v_add_f64 v[18:19], v[18:19], s[14:15]
	s_mov_b32 s14, 0xe7bb2349
	s_mov_b32 s15, 0x3f9951e3
	v_fma_f64 v[34:35], v[32:33], v[34:35], s[12:13]
	v_add_f64 v[24:25], v[24:25], s[10:11]
	s_mov_b32 s10, 0x998ef7b6
	s_mov_b32 s11, 0x3fd99999
	s_mov_b32 s12, 0xb3cd4a4
	s_mov_b32 s13, 0xbf58cc62
	v_fma_f64 v[16:17], v[12:13], v[18:19], -v[16:17]
	v_fma_f64 v[34:35], v[32:33], v[34:35], s[10:11]
	v_fma_f64 v[26:27], v[36:37], v[24:25], -v[26:27]
	s_mov_b32 s10, 0x9d7d4192
	s_mov_b32 s11, 0xbf7c9293
	v_add_f64 v[16:17], v[16:17], s[12:13]
	s_mov_b32 s12, 0x49d3a1b4
	s_mov_b32 s13, 0x3f710653
	v_fma_f64 v[32:33], v[32:33], v[34:35], s[0:1]
	v_add_f64 v[26:27], v[26:27], s[10:11]
	v_ldexp_f64 v[34:35], v[30:31], 1
	s_mov_b32 s0, 0x43c1db74
	s_mov_b32 s1, 0xbfbf6372
	;; [unrolled: 1-line block ×4, first 2 shown]
	v_mul_f64 v[40:41], v[14:15], s[10:11]
	s_mov_b32 s10, 0x757b0dd4
	s_mov_b32 s11, 0xbfd69a1b
	v_fma_f64 v[18:19], v[12:13], v[16:17], -v[18:19]
	v_mul_f64 v[32:33], v[38:39], v[32:33]
	v_fma_f64 v[24:25], v[36:37], v[26:27], -v[24:25]
	v_cvt_f64_i32_e32 v[38:39], v4
	v_add_f64 v[18:19], v[18:19], s[12:13]
	s_mov_b32 s12, 0x7913a26a
	s_mov_b32 s13, 0xbf85a29f
	v_add_f64 v[30:31], v[34:35], v[32:33]
	v_add_f64 v[24:25], v[24:25], s[0:1]
	s_mov_b32 s1, 0x3fe62e42
	s_mov_b32 s0, 0xfefa39ef
	v_mul_f64 v[42:43], v[38:39], s[0:1]
	v_fma_f64 v[16:17], v[12:13], v[18:19], -v[16:17]
	v_add_f64 v[28:29], v[30:31], -v[34:35]
	v_fma_f64 v[26:27], v[36:37], v[24:25], -v[26:27]
	v_rndne_f64_e32 v[34:35], v[40:41]
	v_fma_f64 v[40:41], v[38:39], s[0:1], -v[42:43]
	s_mov_b32 s1, 0xbfe62e42
	v_add_f64 v[16:17], v[16:17], s[12:13]
	s_mov_b32 s12, 0x6a5dcb37
	s_mov_b32 s13, 0x3e5ade15
	v_add_f64 v[28:29], v[32:33], -v[28:29]
	v_add_f64 v[26:27], v[26:27], s[10:11]
	v_fma_f64 v[32:33], v[34:35], s[0:1], v[14:15]
	s_mov_b32 s1, 0x3c7abc9e
	s_mov_b32 s0, 0x3b39803f
	;; [unrolled: 1-line block ×3, first 2 shown]
	v_fma_f64 v[38:39], v[38:39], s[0:1], v[40:41]
	s_mov_b32 s1, 0xbc7abc9e
	s_mov_b32 s11, 0x3e928af3
	v_cvt_i32_f64_e32 v4, v[34:35]
	v_fma_f64 v[18:19], v[12:13], v[16:17], -v[18:19]
	v_add_f64 v[22:23], v[22:23], v[28:29]
	v_fma_f64 v[26:27], v[36:37], v[26:27], -v[24:25]
	v_fma_f64 v[28:29], v[34:35], s[0:1], v[32:33]
	s_mov_b32 s0, 0x361008ca
	s_mov_b32 s1, 0x3ff867a1
	v_add_f64 v[32:33], v[42:43], v[38:39]
	v_add_f64 v[18:19], v[18:19], s[14:15]
	;; [unrolled: 1-line block ×4, first 2 shown]
	v_fma_f64 v[40:41], v[28:29], s[12:13], s[10:11]
	s_mov_b32 s0, 0x623fde64
	s_mov_b32 s1, 0x3ec71dee
	;; [unrolled: 1-line block ×4, first 2 shown]
	v_add_f64 v[42:43], v[32:33], -v[42:43]
	v_fma_f64 v[16:17], v[12:13], v[18:19], -v[16:17]
	v_add_f64 v[44:45], v[32:33], v[36:37]
	v_add_f64 v[24:25], v[26:27], -v[24:25]
	v_fma_f64 v[40:41], v[28:29], v[40:41], s[0:1]
	s_mov_b32 s0, 0x7c89e6b0
	s_mov_b32 s1, 0x3efa0199
	v_add_f64 v[30:31], v[36:37], -v[30:31]
	v_add_f64 v[38:39], v[38:39], -v[42:43]
	v_add_f64 v[16:17], v[16:17], s[10:11]
	s_mov_b32 s10, 0xd536f53c
	s_mov_b32 s11, 0x3fba46da
	v_add_f64 v[26:27], v[44:45], -v[32:33]
	v_mul_f64 v[24:25], v[24:25], 0.5
	v_fma_f64 v[40:41], v[28:29], v[40:41], s[0:1]
	s_mov_b32 s0, 0x14761f6e
	s_mov_b32 s1, 0x3f2a01a0
	v_add_f64 v[22:23], v[22:23], -v[30:31]
	v_fma_f64 v[18:19], v[12:13], v[16:17], -v[18:19]
	v_add_f64 v[46:47], v[44:45], -v[26:27]
	v_div_scale_f64 v[48:49], null, v[14:15], v[14:15], v[24:25]
	v_fma_f64 v[40:41], v[28:29], v[40:41], s[0:1]
	s_mov_b32 s0, 0x1852b7b0
	s_mov_b32 s1, 0x3f56c16c
	v_add_f64 v[26:27], v[36:37], -v[26:27]
	v_add_f64 v[18:19], v[18:19], s[10:11]
	s_mov_b32 s10, 0x469192e
	s_mov_b32 s11, 0xbfc694d1
	v_add_f64 v[30:31], v[32:33], -v[46:47]
	v_rcp_f64_e32 v[36:37], v[48:49]
	v_fma_f64 v[32:33], v[28:29], v[40:41], s[0:1]
	s_mov_b32 s0, 0x11122322
	s_mov_b32 s1, 0x3f811111
	v_add_f64 v[40:41], v[38:39], v[22:23]
	v_fma_f64 v[16:17], v[12:13], v[18:19], -v[16:17]
	v_add_f64 v[26:27], v[26:27], v[30:31]
	v_fma_f64 v[30:31], v[28:29], v[32:33], s[0:1]
	v_fma_f64 v[32:33], -v[48:49], v[36:37], 1.0
	s_mov_b32 s0, 0x555502a1
	s_mov_b32 s1, 0x3fa55555
	v_add_f64 v[42:43], v[40:41], -v[38:39]
	v_add_f64 v[16:17], v[16:17], s[10:11]
	s_mov_b32 s10, 0x724a7ffa
	s_mov_b32 s11, 0x3fd02a63
	v_add_f64 v[26:27], v[40:41], v[26:27]
	v_fma_f64 v[30:31], v[28:29], v[30:31], s[0:1]
	v_fma_f64 v[32:33], v[36:37], v[32:33], v[36:37]
	s_mov_b32 s0, 0x55555511
	s_mov_b32 s1, 0x3fc55555
	v_add_f64 v[36:37], v[40:41], -v[42:43]
	v_add_f64 v[22:23], v[22:23], -v[42:43]
	v_div_scale_f64 v[42:43], vcc_lo, v[24:25], v[14:15], v[24:25]
	v_fma_f64 v[12:13], v[12:13], v[16:17], -v[18:19]
	v_add_f64 v[40:41], v[44:45], v[26:27]
	v_fma_f64 v[30:31], v[28:29], v[30:31], s[0:1]
	v_fma_f64 v[16:17], -v[48:49], v[32:33], 1.0
	s_mov_b32 s0, 11
	s_mov_b32 s1, 0x3fe00000
	v_add_f64 v[36:37], v[38:39], -v[36:37]
	v_add_f64 v[12:13], v[12:13], s[10:11]
	v_add_f64 v[38:39], v[40:41], -v[44:45]
	v_fma_f64 v[30:31], v[28:29], v[30:31], s[0:1]
	v_fma_f64 v[16:17], v[32:33], v[16:17], v[32:33]
	v_cmp_neq_f64_e64 s0, 0, v[20:21]
	v_add_f64 v[22:23], v[22:23], v[36:37]
	v_add_f64 v[12:13], v[12:13], -v[18:19]
	v_add_f64 v[26:27], v[26:27], -v[38:39]
	v_fma_f64 v[30:31], v[28:29], v[30:31], 1.0
	v_mul_f64 v[18:19], v[42:43], v[16:17]
	v_mul_f64 v[12:13], v[12:13], 0.5
	v_add_f64 v[22:23], v[22:23], v[26:27]
	v_fma_f64 v[26:27], v[28:29], v[30:31], 1.0
	v_fma_f64 v[28:29], -v[48:49], v[18:19], v[42:43]
	v_mul_f64 v[12:13], v[14:15], v[12:13]
	v_add_f64 v[22:23], v[40:41], v[22:23]
	v_ldexp_f64 v[26:27], v[26:27], v4
	v_div_fmas_f64 v[16:17], v[28:29], v[16:17], v[18:19]
	v_cmp_neq_f64_e32 vcc_lo, 0x7ff00000, v[20:21]
	v_mul_f64 v[12:13], v[26:27], v[12:13]
	v_div_fixup_f64 v[14:15], v[16:17], v[14:15], v[24:25]
	v_cndmask_b32_e32 v4, 0x7ff00000, v23, vcc_lo
	s_and_b32 vcc_lo, s0, vcc_lo
	v_cndmask_b32_e32 v16, 0, v22, vcc_lo
	v_cndmask_b32_e64 v17, 0xfff00000, v4, s0
	v_fma_f64 v[12:13], v[16:17], v[12:13], v[14:15]
                                        ; implicit-def: $vgpr14_vgpr15
.LBB7_92:
	s_andn2_saveexec_b32 s1, s8
	s_cbranch_execz .LBB7_94
; %bb.93:
	v_div_scale_f64 v[12:13], null, v[14:15], v[14:15], 0x40200000
	v_div_scale_f64 v[20:21], vcc_lo, 0x40200000, v[14:15], 0x40200000
	s_mov_b32 s8, 0x838f5ed3
	s_mov_b32 s9, 0x3c74af1a
	;; [unrolled: 1-line block ×4, first 2 shown]
	v_cmp_nlt_f64_e64 s0, 0x4090cc00, v[14:15]
	v_rcp_f64_e32 v[16:17], v[12:13]
	v_fma_f64 v[18:19], -v[12:13], v[16:17], 1.0
	v_fma_f64 v[16:17], v[16:17], v[18:19], v[16:17]
	v_fma_f64 v[18:19], -v[12:13], v[16:17], 1.0
	v_fma_f64 v[16:17], v[16:17], v[18:19], v[16:17]
	v_mul_f64 v[18:19], v[20:21], v[16:17]
	v_fma_f64 v[12:13], -v[12:13], v[18:19], v[20:21]
	v_div_fmas_f64 v[12:13], v[12:13], v[16:17], v[18:19]
	v_cmp_gt_f64_e32 vcc_lo, 0x10000000, v[14:15]
	v_div_fixup_f64 v[12:13], v[12:13], v[14:15], 0x40200000
	v_cndmask_b32_e64 v4, 0, 0x100, vcc_lo
	v_ldexp_f64 v[26:27], v[14:15], v4
	v_add_f64 v[12:13], v[12:13], -2.0
	v_rsq_f64_e32 v[28:29], v[26:27]
	v_fma_f64 v[16:17], v[12:13], s[10:11], s[8:9]
	s_mov_b32 s11, 0x3c5a8c5d
	s_mov_b32 s8, 0x17771d52
	;; [unrolled: 1-line block ×3, first 2 shown]
	v_mul_f64 v[30:31], v[26:27], v[28:29]
	v_mul_f64 v[28:29], v[28:29], 0.5
	v_fma_f64 v[18:19], v[12:13], v[16:17], s[10:11]
	s_mov_b32 s10, 0x6a5dcb37
	s_mov_b32 s11, 0x3e5ade15
	v_fma_f64 v[32:33], -v[28:29], v[30:31], 0.5
	v_add_f64 v[18:19], v[18:19], s[8:9]
	s_mov_b32 s8, 0x44ee2c0b
	s_mov_b32 s9, 0x3caa7d5e
	v_fma_f64 v[30:31], v[30:31], v[32:33], v[30:31]
	v_fma_f64 v[28:29], v[28:29], v[32:33], v[28:29]
	v_fma_f64 v[16:17], v[12:13], v[18:19], -v[16:17]
	v_fma_f64 v[32:33], -v[30:31], v[30:31], v[26:27]
	v_add_f64 v[16:17], v[16:17], s[8:9]
	s_mov_b32 s8, 0xd8758ef2
	s_mov_b32 s9, 0xbcc5d2a3
	v_fma_f64 v[18:19], v[12:13], v[16:17], -v[18:19]
	v_add_f64 v[18:19], v[18:19], s[8:9]
	s_mov_b32 s8, 0xefee81bd
	s_mov_b32 s9, 0x3ce25ced
	v_fma_f64 v[16:17], v[12:13], v[18:19], -v[16:17]
	;; [unrolled: 4-line block ×14, first 2 shown]
	v_add_f64 v[16:17], v[16:17], s[8:9]
	s_mov_b32 s8, 0x652b82fe
	s_mov_b32 s9, 0xbff71547
	v_mul_f64 v[20:21], v[14:15], s[8:9]
	s_mov_b32 s8, 0x8fada5c6
	s_mov_b32 s9, 0xbe978052
	v_fma_f64 v[18:19], v[12:13], v[16:17], -v[18:19]
	v_rndne_f64_e32 v[20:21], v[20:21]
	v_add_f64 v[18:19], v[18:19], s[8:9]
	s_mov_b32 s8, 0xfefa39ef
	s_mov_b32 s9, 0xbfe62e42
	v_fma_f64 v[22:23], v[20:21], s[8:9], -v[14:15]
	s_mov_b32 s8, 0x3b39803f
	s_mov_b32 s9, 0xbc7abc9e
	v_cvt_i32_f64_e32 v4, v[20:21]
	v_fma_f64 v[16:17], v[12:13], v[18:19], -v[16:17]
	v_fma_f64 v[22:23], v[20:21], s[8:9], v[22:23]
	s_mov_b32 s8, 0x1752d1b6
	s_mov_b32 s9, 0x3ec42fe3
	v_add_f64 v[16:17], v[16:17], s[8:9]
	s_mov_b32 s8, 0xfca7ab0c
	s_mov_b32 s9, 0x3e928af3
	v_fma_f64 v[24:25], v[22:23], s[10:11], s[8:9]
	s_mov_b32 s8, 0x623fde64
	s_mov_b32 s9, 0x3ec71dee
	v_fma_f64 v[18:19], v[12:13], v[16:17], -v[18:19]
	v_fma_f64 v[24:25], v[22:23], v[24:25], s[8:9]
	s_mov_b32 s8, 0x1dcdb2e5
	s_mov_b32 s9, 0xbef44d71
	v_add_f64 v[18:19], v[18:19], s[8:9]
	s_mov_b32 s8, 0x7c89e6b0
	s_mov_b32 s9, 0x3efa0199
	v_fma_f64 v[24:25], v[22:23], v[24:25], s[8:9]
	s_mov_b32 s8, 0x14761f6e
	s_mov_b32 s9, 0x3f2a01a0
	;; [unrolled: 10-line block ×5, first 2 shown]
	v_fma_f64 v[12:13], v[12:13], v[16:17], -v[18:19]
	v_fma_f64 v[16:17], v[32:33], v[28:29], v[30:31]
	v_fma_f64 v[24:25], v[22:23], v[24:25], 1.0
	v_add_f64 v[12:13], v[12:13], s[8:9]
	v_fma_f64 v[30:31], -v[16:17], v[16:17], v[26:27]
	v_fma_f64 v[20:21], v[22:23], v[24:25], 1.0
	v_add_f64 v[12:13], v[12:13], -v[18:19]
	v_fma_f64 v[16:17], v[30:31], v[28:29], v[16:17]
	v_ldexp_f64 v[18:19], v[20:21], v4
	v_cndmask_b32_e64 v4, 0, 0xffffff80, vcc_lo
	v_cmp_class_f64_e64 vcc_lo, v[26:27], 0x260
	v_mul_f64 v[12:13], v[12:13], 0.5
	v_ldexp_f64 v[14:15], v[16:17], v4
	v_cndmask_b32_e64 v17, 0, v19, s0
	v_cndmask_b32_e64 v16, 0, v18, s0
	v_mul_f64 v[12:13], v[16:17], v[12:13]
	v_cndmask_b32_e32 v15, v15, v27, vcc_lo
	v_cndmask_b32_e32 v14, v14, v26, vcc_lo
	v_div_scale_f64 v[16:17], null, v[14:15], v[14:15], v[12:13]
	v_rcp_f64_e32 v[18:19], v[16:17]
	v_fma_f64 v[20:21], -v[16:17], v[18:19], 1.0
	v_fma_f64 v[18:19], v[18:19], v[20:21], v[18:19]
	v_fma_f64 v[20:21], -v[16:17], v[18:19], 1.0
	v_fma_f64 v[18:19], v[18:19], v[20:21], v[18:19]
	v_div_scale_f64 v[20:21], vcc_lo, v[12:13], v[14:15], v[12:13]
	v_mul_f64 v[22:23], v[20:21], v[18:19]
	v_fma_f64 v[16:17], -v[16:17], v[22:23], v[20:21]
	v_div_fmas_f64 v[16:17], v[16:17], v[18:19], v[22:23]
	v_div_fixup_f64 v[12:13], v[16:17], v[14:15], v[12:13]
.LBB7_94:
	s_or_b32 exec_lo, exec_lo, s1
.LBB7_95:
	s_or_b32 exec_lo, exec_lo, s3
.LBB7_96:
	s_or_b32 exec_lo, exec_lo, s2
	global_load_dwordx2 v[4:5], v5, s[6:7]
	s_mov_b32 s2, exec_lo
	s_waitcnt vmcnt(0)
	v_cmpx_neq_f64_e32 0, v[4:5]
	s_cbranch_execz .LBB7_104
; %bb.97:
	v_mov_b32_e32 v10, 0
	v_mov_b32_e32 v11, 0x7ff80000
	s_mov_b32 s3, exec_lo
	v_cmpx_ngt_f64_e32 0, v[4:5]
	s_cbranch_execz .LBB7_103
; %bb.98:
                                        ; implicit-def: $vgpr10_vgpr11
	s_mov_b32 s0, exec_lo
	v_cmpx_ge_f64_e32 2.0, v[4:5]
	s_xor_b32 s6, exec_lo, s0
	s_cbranch_execz .LBB7_100
; %bb.99:
	v_fma_f64 v[10:11], v[4:5], 0.5, -2.0
	s_mov_b32 s0, 0xc38a0576
	s_mov_b32 s1, 0xbc7857d0
	;; [unrolled: 1-line block ×4, first 2 shown]
	v_mul_f64 v[18:19], v[4:5], 0.5
	v_fma_f64 v[34:35], v[4:5], v[4:5], -2.0
	s_mov_b32 s11, 0xbc603228
	s_mov_b32 s10, 0x3d3cda56
	;; [unrolled: 1-line block ×4, first 2 shown]
	v_fma_f64 v[14:15], v[10:11], s[8:9], s[0:1]
	s_mov_b32 s9, 0xbc499f2a
	s_mov_b32 s0, 0xe593bfac
	;; [unrolled: 1-line block ×3, first 2 shown]
	v_frexp_mant_f64_e32 v[20:21], v[18:19]
	v_frexp_exp_i32_f64_e32 v38, v[18:19]
	v_fma_f64 v[16:17], v[10:11], v[14:15], s[8:9]
	s_mov_b32 s8, 0x97eb07de
	s_mov_b32 s9, 0xbdd25103
	v_add_f64 v[16:17], v[16:17], s[0:1]
	s_mov_b32 s0, 0x7e0d1573
	s_mov_b32 s1, 0xbcd3eaaa
	v_fma_f64 v[14:15], v[10:11], v[16:17], -v[14:15]
	v_add_f64 v[14:15], v[14:15], s[0:1]
	s_mov_b32 s0, 0x615290c
	s_mov_b32 s1, 0x3d011d7f
	v_fma_f64 v[16:17], v[10:11], v[14:15], -v[16:17]
	;; [unrolled: 4-line block ×6, first 2 shown]
	v_add_f64 v[16:17], v[16:17], s[0:1]
	s_mov_b32 s1, 0x3fe55555
	s_mov_b32 s0, 0x55555555
	v_cmp_gt_f64_e32 vcc_lo, s[0:1], v[20:21]
	s_mov_b32 s0, 0x55555780
	v_fma_f64 v[14:15], v[10:11], v[16:17], -v[14:15]
	v_cndmask_b32_e64 v22, 0, 1, vcc_lo
	v_ldexp_f64 v[20:21], v[20:21], v22
	v_add_f64 v[14:15], v[14:15], s[8:9]
	s_mov_b32 s8, 0xb43fdf6c
	s_mov_b32 s9, 0x3df8ea34
	v_add_f64 v[22:23], v[20:21], 1.0
	v_add_f64 v[28:29], v[20:21], -1.0
	v_fma_f64 v[16:17], v[10:11], v[14:15], -v[16:17]
	v_rcp_f64_e32 v[24:25], v[22:23]
	v_add_f64 v[30:31], v[22:23], -1.0
	v_add_f64 v[16:17], v[16:17], s[8:9]
	s_mov_b32 s8, 0x28ea67e6
	s_mov_b32 s9, 0xbe20361b
	v_add_f64 v[20:21], v[20:21], -v[30:31]
	v_fma_f64 v[26:27], -v[22:23], v[24:25], 1.0
	v_fma_f64 v[14:15], v[10:11], v[16:17], -v[14:15]
	v_fma_f64 v[24:25], v[26:27], v[24:25], v[24:25]
	v_add_f64 v[14:15], v[14:15], s[8:9]
	s_mov_b32 s8, 0x2395010
	s_mov_b32 s9, 0x3e44258e
	v_fma_f64 v[26:27], -v[22:23], v[24:25], 1.0
	v_fma_f64 v[16:17], v[10:11], v[14:15], -v[16:17]
	v_fma_f64 v[24:25], v[26:27], v[24:25], v[24:25]
	v_add_f64 v[16:17], v[16:17], s[8:9]
	s_mov_b32 s8, 0x24b8c3e8
	s_mov_b32 s9, 0xbe67dd3e
	v_mul_f64 v[26:27], v[28:29], v[24:25]
	v_fma_f64 v[14:15], v[10:11], v[16:17], -v[14:15]
	v_mul_f64 v[32:33], v[22:23], v[26:27]
	v_add_f64 v[14:15], v[14:15], s[8:9]
	s_mov_b32 s8, 0xb347d108
	s_mov_b32 s9, 0x3e8ae344
	v_fma_f64 v[22:23], v[26:27], v[22:23], -v[32:33]
	v_fma_f64 v[16:17], v[10:11], v[14:15], -v[16:17]
	v_fma_f64 v[20:21], v[26:27], v[20:21], v[22:23]
	v_add_f64 v[16:17], v[16:17], s[8:9]
	s_mov_b32 s8, 0x7a0399e0
	s_mov_b32 s9, 0xbce5dd51
	v_fma_f64 v[36:37], v[34:35], s[10:11], s[8:9]
	s_mov_b32 s11, 0x3c603228
	s_mov_b32 s8, 0xddd0e045
	;; [unrolled: 1-line block ×3, first 2 shown]
	v_add_f64 v[22:23], v[32:33], v[20:21]
	v_fma_f64 v[14:15], v[10:11], v[16:17], -v[14:15]
	v_add_f64 v[30:31], v[28:29], -v[22:23]
	v_add_f64 v[32:33], v[22:23], -v[32:33]
	v_add_f64 v[14:15], v[14:15], s[12:13]
	s_mov_b32 s12, 0xd3d694fe
	s_mov_b32 s13, 0xbf2533ca
	v_add_f64 v[28:29], v[28:29], -v[30:31]
	v_add_f64 v[20:21], v[32:33], -v[20:21]
	v_fma_f64 v[16:17], v[10:11], v[14:15], -v[16:17]
	v_add_f64 v[22:23], v[28:29], -v[22:23]
	v_fma_f64 v[28:29], v[34:35], v[36:37], s[10:11]
	s_mov_b32 s10, 0xd511afc5
	s_mov_b32 s11, 0x3ecd1c4e
	v_add_f64 v[16:17], v[16:17], s[10:11]
	s_mov_b32 s10, 0xb8debbcf
	s_mov_b32 s11, 0xbeebd5f9
	v_add_f64 v[20:21], v[20:21], v[22:23]
	v_add_f64 v[22:23], v[28:29], s[8:9]
	s_mov_b32 s8, 0xb84626ca
	s_mov_b32 s9, 0xbde3663b
	v_fma_f64 v[14:15], v[10:11], v[16:17], -v[14:15]
	v_add_f64 v[20:21], v[30:31], v[20:21]
	v_fma_f64 v[28:29], v[34:35], v[22:23], -v[36:37]
	v_add_f64 v[14:15], v[14:15], s[10:11]
	s_mov_b32 s10, 0x42c70d0b
	s_mov_b32 s11, 0x3f0911b5
	v_mul_f64 v[20:21], v[24:25], v[20:21]
	v_add_f64 v[24:25], v[28:29], s[8:9]
	s_mov_b32 s8, 0x145c31d0
	s_mov_b32 s9, 0xbe57c41d
	v_fma_f64 v[16:17], v[10:11], v[14:15], -v[16:17]
	v_add_f64 v[28:29], v[26:27], v[20:21]
	v_fma_f64 v[22:23], v[34:35], v[24:25], -v[22:23]
	v_add_f64 v[16:17], v[16:17], s[10:11]
	s_mov_b32 s10, 0xbf559e2b
	s_mov_b32 s11, 0x3fc3ab76
	v_mul_f64 v[30:31], v[28:29], v[28:29]
	v_add_f64 v[22:23], v[22:23], s[8:9]
	s_mov_b32 s8, 0x6b47b09a
	s_mov_b32 s9, 0x3fc38538
	v_add_f64 v[26:27], v[28:29], -v[26:27]
	v_fma_f64 v[14:15], v[10:11], v[16:17], -v[14:15]
	v_fma_f64 v[32:33], v[30:31], s[10:11], s[8:9]
	v_fma_f64 v[24:25], v[34:35], v[22:23], -v[24:25]
	s_mov_b32 s8, 0x2c832e3a
	s_mov_b32 s9, 0xbec469b3
	;; [unrolled: 1-line block ×4, first 2 shown]
	v_mul_f64 v[36:37], v[28:29], v[30:31]
	v_add_f64 v[20:21], v[20:21], -v[26:27]
	v_add_f64 v[14:15], v[14:15], s[12:13]
	s_mov_b32 s12, 0xb6c6df7d
	s_mov_b32 s13, 0x3f40c95d
	v_fma_f64 v[32:33], v[30:31], v[32:33], s[10:11]
	v_add_f64 v[24:25], v[24:25], s[8:9]
	s_mov_b32 s8, 0x16291751
	s_mov_b32 s9, 0x3fcc71c0
	;; [unrolled: 1-line block ×4, first 2 shown]
	v_ldexp_f64 v[20:21], v[20:21], 1
	v_fma_f64 v[16:17], v[10:11], v[14:15], -v[16:17]
	v_fma_f64 v[32:33], v[30:31], v[32:33], s[8:9]
	v_fma_f64 v[22:23], v[34:35], v[24:25], -v[22:23]
	s_mov_b32 s8, 0xe5a3bd02
	s_mov_b32 s9, 0xbf26ade2
	v_add_f64 v[16:17], v[16:17], s[12:13]
	s_mov_b32 s12, 0xe7bb2349
	s_mov_b32 s13, 0x3f9951e3
	v_fma_f64 v[32:33], v[30:31], v[32:33], s[10:11]
	v_add_f64 v[22:23], v[22:23], s[8:9]
	s_mov_b32 s8, 0x998ef7b6
	s_mov_b32 s9, 0x3fd99999
	;; [unrolled: 1-line block ×4, first 2 shown]
	v_fma_f64 v[14:15], v[10:11], v[16:17], -v[14:15]
	v_fma_f64 v[32:33], v[30:31], v[32:33], s[8:9]
	v_fma_f64 v[24:25], v[34:35], v[22:23], -v[24:25]
	s_mov_b32 s8, 0x9d7d4192
	s_mov_b32 s9, 0xbf7c9293
	v_add_f64 v[14:15], v[14:15], s[10:11]
	s_mov_b32 s10, 0x49d3a1b4
	s_mov_b32 s11, 0x3f710653
	v_fma_f64 v[30:31], v[30:31], v[32:33], s[0:1]
	v_add_f64 v[24:25], v[24:25], s[8:9]
	v_ldexp_f64 v[32:33], v[28:29], 1
	s_mov_b32 s0, 0x43c1db74
	s_mov_b32 s1, 0xbfbf6372
	;; [unrolled: 1-line block ×4, first 2 shown]
	v_fma_f64 v[16:17], v[10:11], v[14:15], -v[16:17]
	v_mul_f64 v[30:31], v[36:37], v[30:31]
	v_fma_f64 v[22:23], v[34:35], v[24:25], -v[22:23]
	v_subrev_co_ci_u32_e64 v36, null, 0, v38, vcc_lo
	v_mul_f64 v[38:39], v[4:5], s[8:9]
	s_mov_b32 s8, 0x757b0dd4
	s_mov_b32 s9, 0xbfd69a1b
	v_cvt_f64_i32_e32 v[36:37], v36
	v_add_f64 v[16:17], v[16:17], s[10:11]
	s_mov_b32 s10, 0x7913a26a
	s_mov_b32 s11, 0xbf85a29f
	v_add_f64 v[28:29], v[32:33], v[30:31]
	v_add_f64 v[22:23], v[22:23], s[0:1]
	s_mov_b32 s1, 0x3fe62e42
	s_mov_b32 s0, 0xfefa39ef
	v_mul_f64 v[40:41], v[36:37], s[0:1]
	v_fma_f64 v[14:15], v[10:11], v[16:17], -v[14:15]
	v_add_f64 v[26:27], v[28:29], -v[32:33]
	v_fma_f64 v[24:25], v[34:35], v[22:23], -v[24:25]
	v_rndne_f64_e32 v[32:33], v[38:39]
	v_fma_f64 v[38:39], v[36:37], s[0:1], -v[40:41]
	s_mov_b32 s1, 0xbfe62e42
	v_add_f64 v[14:15], v[14:15], s[10:11]
	s_mov_b32 s10, 0x6a5dcb37
	s_mov_b32 s11, 0x3e5ade15
	v_add_f64 v[26:27], v[30:31], -v[26:27]
	v_add_f64 v[24:25], v[24:25], s[8:9]
	v_fma_f64 v[30:31], v[32:33], s[0:1], v[4:5]
	s_mov_b32 s1, 0x3c7abc9e
	s_mov_b32 s0, 0x3b39803f
	s_mov_b32 s8, 0xfca7ab0c
	s_mov_b32 s9, 0x3e928af3
	v_fma_f64 v[36:37], v[36:37], s[0:1], v[38:39]
	s_mov_b32 s1, 0xbc7abc9e
	v_fma_f64 v[16:17], v[10:11], v[14:15], -v[16:17]
	v_add_f64 v[20:21], v[20:21], v[26:27]
	v_fma_f64 v[24:25], v[34:35], v[24:25], -v[22:23]
	v_fma_f64 v[26:27], v[32:33], s[0:1], v[30:31]
	s_mov_b32 s0, 0x361008ca
	s_mov_b32 s1, 0x3ff867a1
	v_add_f64 v[30:31], v[40:41], v[36:37]
	v_add_f64 v[16:17], v[16:17], s[12:13]
	;; [unrolled: 1-line block ×4, first 2 shown]
	v_fma_f64 v[38:39], v[26:27], s[10:11], s[8:9]
	s_mov_b32 s0, 0x623fde64
	s_mov_b32 s1, 0x3ec71dee
	;; [unrolled: 1-line block ×4, first 2 shown]
	v_add_f64 v[40:41], v[30:31], -v[40:41]
	v_fma_f64 v[14:15], v[10:11], v[16:17], -v[14:15]
	v_add_f64 v[42:43], v[30:31], v[34:35]
	v_add_f64 v[22:23], v[24:25], -v[22:23]
	v_fma_f64 v[38:39], v[26:27], v[38:39], s[0:1]
	s_mov_b32 s0, 0x7c89e6b0
	s_mov_b32 s1, 0x3efa0199
	v_add_f64 v[28:29], v[34:35], -v[28:29]
	v_add_f64 v[36:37], v[36:37], -v[40:41]
	v_add_f64 v[14:15], v[14:15], s[8:9]
	s_mov_b32 s8, 0xd536f53c
	s_mov_b32 s9, 0x3fba46da
	v_add_f64 v[24:25], v[42:43], -v[30:31]
	v_mul_f64 v[22:23], v[22:23], 0.5
	v_fma_f64 v[38:39], v[26:27], v[38:39], s[0:1]
	s_mov_b32 s0, 0x14761f6e
	s_mov_b32 s1, 0x3f2a01a0
	v_add_f64 v[20:21], v[20:21], -v[28:29]
	v_fma_f64 v[16:17], v[10:11], v[14:15], -v[16:17]
	v_add_f64 v[44:45], v[42:43], -v[24:25]
	v_div_scale_f64 v[46:47], null, v[4:5], v[4:5], v[22:23]
	v_fma_f64 v[38:39], v[26:27], v[38:39], s[0:1]
	s_mov_b32 s0, 0x1852b7b0
	s_mov_b32 s1, 0x3f56c16c
	v_add_f64 v[24:25], v[34:35], -v[24:25]
	v_add_f64 v[16:17], v[16:17], s[8:9]
	s_mov_b32 s8, 0x469192e
	s_mov_b32 s9, 0xbfc694d1
	v_add_f64 v[28:29], v[30:31], -v[44:45]
	v_rcp_f64_e32 v[34:35], v[46:47]
	v_fma_f64 v[30:31], v[26:27], v[38:39], s[0:1]
	s_mov_b32 s0, 0x11122322
	s_mov_b32 s1, 0x3f811111
	v_add_f64 v[38:39], v[36:37], v[20:21]
	v_fma_f64 v[14:15], v[10:11], v[16:17], -v[14:15]
	v_add_f64 v[24:25], v[24:25], v[28:29]
	v_fma_f64 v[28:29], v[26:27], v[30:31], s[0:1]
	v_fma_f64 v[30:31], -v[46:47], v[34:35], 1.0
	s_mov_b32 s0, 0x555502a1
	s_mov_b32 s1, 0x3fa55555
	v_add_f64 v[40:41], v[38:39], -v[36:37]
	v_add_f64 v[14:15], v[14:15], s[8:9]
	s_mov_b32 s8, 0x724a7ffa
	s_mov_b32 s9, 0x3fd02a63
	v_add_f64 v[24:25], v[38:39], v[24:25]
	v_fma_f64 v[28:29], v[26:27], v[28:29], s[0:1]
	v_fma_f64 v[30:31], v[34:35], v[30:31], v[34:35]
	s_mov_b32 s0, 0x55555511
	s_mov_b32 s1, 0x3fc55555
	v_add_f64 v[34:35], v[38:39], -v[40:41]
	v_add_f64 v[20:21], v[20:21], -v[40:41]
	v_div_scale_f64 v[40:41], vcc_lo, v[22:23], v[4:5], v[22:23]
	v_fma_f64 v[10:11], v[10:11], v[14:15], -v[16:17]
	v_add_f64 v[38:39], v[42:43], v[24:25]
	v_fma_f64 v[28:29], v[26:27], v[28:29], s[0:1]
	v_fma_f64 v[14:15], -v[46:47], v[30:31], 1.0
	s_mov_b32 s0, 11
	s_mov_b32 s1, 0x3fe00000
	v_add_f64 v[34:35], v[36:37], -v[34:35]
	v_add_f64 v[10:11], v[10:11], s[8:9]
	v_add_f64 v[36:37], v[38:39], -v[42:43]
	v_fma_f64 v[28:29], v[26:27], v[28:29], s[0:1]
	v_fma_f64 v[14:15], v[30:31], v[14:15], v[30:31]
	v_cvt_i32_f64_e32 v30, v[32:33]
	v_cmp_neq_f64_e64 s0, 0, v[18:19]
	v_add_f64 v[20:21], v[20:21], v[34:35]
	v_add_f64 v[10:11], v[10:11], -v[16:17]
	v_add_f64 v[24:25], v[24:25], -v[36:37]
	v_fma_f64 v[28:29], v[26:27], v[28:29], 1.0
	v_mul_f64 v[16:17], v[40:41], v[14:15]
	v_mul_f64 v[10:11], v[10:11], 0.5
	v_add_f64 v[20:21], v[20:21], v[24:25]
	v_fma_f64 v[24:25], v[26:27], v[28:29], 1.0
	v_fma_f64 v[26:27], -v[46:47], v[16:17], v[40:41]
	v_mul_f64 v[10:11], v[4:5], v[10:11]
	v_add_f64 v[20:21], v[38:39], v[20:21]
	v_ldexp_f64 v[24:25], v[24:25], v30
	v_div_fmas_f64 v[14:15], v[26:27], v[14:15], v[16:17]
	v_cmp_neq_f64_e32 vcc_lo, 0x7ff00000, v[18:19]
	v_mul_f64 v[10:11], v[24:25], v[10:11]
	v_div_fixup_f64 v[4:5], v[14:15], v[4:5], v[22:23]
	v_cndmask_b32_e32 v16, 0x7ff00000, v21, vcc_lo
	s_and_b32 vcc_lo, s0, vcc_lo
	v_cndmask_b32_e32 v14, 0, v20, vcc_lo
	v_cndmask_b32_e64 v15, 0xfff00000, v16, s0
	v_fma_f64 v[10:11], v[14:15], v[10:11], v[4:5]
                                        ; implicit-def: $vgpr4_vgpr5
.LBB7_100:
	s_andn2_saveexec_b32 s1, s6
	s_cbranch_execz .LBB7_102
; %bb.101:
	v_div_scale_f64 v[10:11], null, v[4:5], v[4:5], 0x40200000
	v_div_scale_f64 v[18:19], vcc_lo, 0x40200000, v[4:5], 0x40200000
	s_mov_b32 s6, 0x838f5ed3
	s_mov_b32 s7, 0x3c74af1a
	s_mov_b32 s9, 0xbc5a8c5d
	s_mov_b32 s8, 0x42c43a08
	v_cmp_nlt_f64_e64 s0, 0x4090cc00, v[4:5]
	v_rcp_f64_e32 v[14:15], v[10:11]
	v_fma_f64 v[16:17], -v[10:11], v[14:15], 1.0
	v_fma_f64 v[14:15], v[14:15], v[16:17], v[14:15]
	v_fma_f64 v[16:17], -v[10:11], v[14:15], 1.0
	v_fma_f64 v[14:15], v[14:15], v[16:17], v[14:15]
	v_mul_f64 v[16:17], v[18:19], v[14:15]
	v_fma_f64 v[10:11], -v[10:11], v[16:17], v[18:19]
	v_div_fmas_f64 v[10:11], v[10:11], v[14:15], v[16:17]
	v_cmp_gt_f64_e32 vcc_lo, 0x10000000, v[4:5]
	v_div_fixup_f64 v[10:11], v[10:11], v[4:5], 0x40200000
	v_cndmask_b32_e64 v24, 0, 0x100, vcc_lo
	v_ldexp_f64 v[24:25], v[4:5], v24
	v_add_f64 v[10:11], v[10:11], -2.0
	v_rsq_f64_e32 v[26:27], v[24:25]
	v_fma_f64 v[14:15], v[10:11], s[8:9], s[6:7]
	s_mov_b32 s9, 0x3c5a8c5d
	s_mov_b32 s6, 0x17771d52
	;; [unrolled: 1-line block ×3, first 2 shown]
	v_mul_f64 v[28:29], v[24:25], v[26:27]
	v_mul_f64 v[26:27], v[26:27], 0.5
	v_fma_f64 v[16:17], v[10:11], v[14:15], s[8:9]
	s_mov_b32 s8, 0x6a5dcb37
	s_mov_b32 s9, 0x3e5ade15
	v_fma_f64 v[30:31], -v[26:27], v[28:29], 0.5
	v_add_f64 v[16:17], v[16:17], s[6:7]
	s_mov_b32 s6, 0x44ee2c0b
	s_mov_b32 s7, 0x3caa7d5e
	v_fma_f64 v[28:29], v[28:29], v[30:31], v[28:29]
	v_fma_f64 v[26:27], v[26:27], v[30:31], v[26:27]
	v_fma_f64 v[14:15], v[10:11], v[16:17], -v[14:15]
	v_fma_f64 v[30:31], -v[28:29], v[28:29], v[24:25]
	v_add_f64 v[14:15], v[14:15], s[6:7]
	s_mov_b32 s6, 0xd8758ef2
	s_mov_b32 s7, 0xbcc5d2a3
	v_fma_f64 v[16:17], v[10:11], v[14:15], -v[16:17]
	v_add_f64 v[16:17], v[16:17], s[6:7]
	s_mov_b32 s6, 0xefee81bd
	s_mov_b32 s7, 0x3ce25ced
	v_fma_f64 v[14:15], v[10:11], v[16:17], -v[14:15]
	;; [unrolled: 4-line block ×14, first 2 shown]
	v_add_f64 v[14:15], v[14:15], s[6:7]
	s_mov_b32 s6, 0x652b82fe
	s_mov_b32 s7, 0xbff71547
	v_mul_f64 v[18:19], v[4:5], s[6:7]
	s_mov_b32 s6, 0x8fada5c6
	s_mov_b32 s7, 0xbe978052
	v_fma_f64 v[16:17], v[10:11], v[14:15], -v[16:17]
	v_rndne_f64_e32 v[18:19], v[18:19]
	v_add_f64 v[16:17], v[16:17], s[6:7]
	s_mov_b32 s6, 0xfefa39ef
	s_mov_b32 s7, 0xbfe62e42
	v_fma_f64 v[20:21], v[18:19], s[6:7], -v[4:5]
	s_mov_b32 s6, 0x3b39803f
	s_mov_b32 s7, 0xbc7abc9e
	v_fma_f64 v[14:15], v[10:11], v[16:17], -v[14:15]
	v_fma_f64 v[20:21], v[18:19], s[6:7], v[20:21]
	s_mov_b32 s6, 0x1752d1b6
	s_mov_b32 s7, 0x3ec42fe3
	v_add_f64 v[14:15], v[14:15], s[6:7]
	s_mov_b32 s6, 0xfca7ab0c
	s_mov_b32 s7, 0x3e928af3
	v_fma_f64 v[22:23], v[20:21], s[8:9], s[6:7]
	s_mov_b32 s6, 0x623fde64
	s_mov_b32 s7, 0x3ec71dee
	v_fma_f64 v[16:17], v[10:11], v[14:15], -v[16:17]
	v_fma_f64 v[22:23], v[20:21], v[22:23], s[6:7]
	s_mov_b32 s6, 0x1dcdb2e5
	s_mov_b32 s7, 0xbef44d71
	v_add_f64 v[16:17], v[16:17], s[6:7]
	s_mov_b32 s6, 0x7c89e6b0
	s_mov_b32 s7, 0x3efa0199
	v_fma_f64 v[22:23], v[20:21], v[22:23], s[6:7]
	;; [unrolled: 10-line block ×5, first 2 shown]
	s_mov_b32 s6, 0xaa062c8a
	s_mov_b32 s7, 0x4005c3d7
	v_fma_f64 v[10:11], v[10:11], v[14:15], -v[16:17]
	v_fma_f64 v[14:15], v[30:31], v[26:27], v[28:29]
	v_cvt_i32_f64_e32 v30, v[18:19]
	v_fma_f64 v[22:23], v[20:21], v[22:23], 1.0
	v_add_f64 v[10:11], v[10:11], s[6:7]
	v_fma_f64 v[28:29], -v[14:15], v[14:15], v[24:25]
	v_fma_f64 v[18:19], v[20:21], v[22:23], 1.0
	v_add_f64 v[10:11], v[10:11], -v[16:17]
	v_fma_f64 v[14:15], v[28:29], v[26:27], v[14:15]
	v_ldexp_f64 v[16:17], v[18:19], v30
	v_mul_f64 v[4:5], v[10:11], 0.5
	v_cndmask_b32_e64 v10, 0, 0xffffff80, vcc_lo
	v_cmp_class_f64_e64 vcc_lo, v[24:25], 0x260
	v_ldexp_f64 v[10:11], v[14:15], v10
	v_cndmask_b32_e64 v15, 0, v17, s0
	v_cndmask_b32_e64 v14, 0, v16, s0
	v_mul_f64 v[4:5], v[14:15], v[4:5]
	v_cndmask_b32_e32 v11, v11, v25, vcc_lo
	v_cndmask_b32_e32 v10, v10, v24, vcc_lo
	v_div_scale_f64 v[14:15], null, v[10:11], v[10:11], v[4:5]
	v_rcp_f64_e32 v[16:17], v[14:15]
	v_fma_f64 v[18:19], -v[14:15], v[16:17], 1.0
	v_fma_f64 v[16:17], v[16:17], v[18:19], v[16:17]
	v_fma_f64 v[18:19], -v[14:15], v[16:17], 1.0
	v_fma_f64 v[16:17], v[16:17], v[18:19], v[16:17]
	v_div_scale_f64 v[18:19], vcc_lo, v[4:5], v[10:11], v[4:5]
	v_mul_f64 v[20:21], v[18:19], v[16:17]
	v_fma_f64 v[14:15], -v[14:15], v[20:21], v[18:19]
	v_div_fmas_f64 v[14:15], v[14:15], v[16:17], v[20:21]
	v_div_fixup_f64 v[10:11], v[14:15], v[10:11], v[4:5]
.LBB7_102:
	s_or_b32 exec_lo, exec_lo, s1
.LBB7_103:
	s_or_b32 exec_lo, exec_lo, s3
.LBB7_104:
	s_or_b32 exec_lo, exec_lo, s2
	global_store_dwordx2 v0, v[8:9], s[4:5]
	global_store_dwordx2 v1, v[6:7], s[4:5]
	;; [unrolled: 1-line block ×4, first 2 shown]
	s_endpgm
.LBB7_105:
	v_mov_b32_e32 v0, 0
	v_mov_b32_e32 v2, 0
	s_branch .LBB7_111
.LBB7_106:
	v_mov_b32_e32 v0, 0
	v_mov_b32_e32 v2, 0
	s_branch .LBB7_135
.LBB7_107:
	v_mov_b32_e32 v0, 0
	v_mov_b32_e32 v2, 0
	;; [unrolled: 1-line block ×3, first 2 shown]
	s_mov_b32 s31, 0
.LBB7_108:
	s_and_b32 s33, s33, 3
	s_cmp_eq_u32 s33, 0
	s_cbranch_scc1 .LBB7_111
; %bb.109:
	s_lshl_b32 s0, s31, 3
	s_mul_i32 s20, s31, 12
	s_add_u32 s0, s2, s0
	s_addc_u32 s1, s3, 0
	s_add_u32 s0, s0, 0xc4
	s_addc_u32 s1, s1, 0
	;; [unrolled: 2-line block ×3, first 2 shown]
	.p2align	6
.LBB7_110:                              ; =>This Inner Loop Header: Depth=1
	s_clause 0x1
	s_load_dwordx2 s[34:35], s[20:21], 0x4
	s_load_dword s31, s[20:21], 0xc
	s_load_dwordx2 s[36:37], s[0:1], 0x0
	s_add_u32 s20, s20, 12
	s_addc_u32 s21, s21, 0
	s_add_u32 s0, s0, 8
	s_addc_u32 s1, s1, 0
	s_add_i32 s33, s33, -1
	s_cmp_lg_u32 s33, 0
	s_waitcnt lgkmcnt(0)
	v_mul_hi_u32 v3, s35, v1
	v_add_nc_u32_e32 v3, v1, v3
	v_lshrrev_b32_e32 v4, s31, v3
	v_mul_lo_u32 v3, v4, s34
	v_sub_nc_u32_e32 v3, v1, v3
	v_mad_u64_u32 v[0:1], null, v3, s36, v[0:1]
	v_mad_u64_u32 v[2:3], null, v3, s37, v[2:3]
	v_mov_b32_e32 v1, v4
	s_cbranch_scc1 .LBB7_110
.LBB7_111:
	s_cbranch_execnz .LBB7_114
.LBB7_112:
	s_waitcnt lgkmcnt(0)
	v_mul_hi_u32 v0, s13, v5
	s_andn2_b32 vcc_lo, exec_lo, s26
	v_add_nc_u32_e32 v0, v5, v0
	v_lshrrev_b32_e32 v1, s14, v0
	v_mul_lo_u32 v0, v1, s12
	v_sub_nc_u32_e32 v2, v5, v0
	v_mul_lo_u32 v0, v2, s8
	v_mul_lo_u32 v2, v2, s9
	s_cbranch_vccnz .LBB7_114
; %bb.113:
	v_mul_hi_u32 v3, s16, v1
	v_add_nc_u32_e32 v3, v1, v3
	v_lshrrev_b32_e32 v3, s17, v3
	v_mul_lo_u32 v3, v3, s15
	v_sub_nc_u32_e32 v3, v1, v3
	v_mad_u64_u32 v[0:1], null, v3, s10, v[0:1]
	v_mad_u64_u32 v[2:3], null, v3, s11, v[2:3]
.LBB7_114:
	s_waitcnt lgkmcnt(0)
	global_load_dwordx2 v[1:2], v2, s[6:7]
	v_mov_b32_e32 v3, 0
	v_mov_b32_e32 v4, 0x7ff00000
	s_mov_b32 s20, exec_lo
	s_waitcnt vmcnt(0)
	v_cmpx_neq_f64_e32 0, v[1:2]
	s_cbranch_execz .LBB7_122
; %bb.115:
	v_mov_b32_e32 v3, 0
	v_mov_b32_e32 v4, 0x7ff80000
	s_mov_b32 s21, exec_lo
	v_cmpx_ngt_f64_e32 0, v[1:2]
	s_cbranch_execz .LBB7_121
; %bb.116:
                                        ; implicit-def: $vgpr3_vgpr4
	s_mov_b32 s0, exec_lo
	v_cmpx_ge_f64_e32 2.0, v[1:2]
	s_xor_b32 s31, exec_lo, s0
	s_cbranch_execz .LBB7_118
; %bb.117:
	v_fma_f64 v[3:4], v[1:2], 0.5, -2.0
	s_mov_b32 s0, 0xc38a0576
	s_mov_b32 s1, 0xbc7857d0
	s_mov_b32 s35, 0x3c499f2a
	s_mov_b32 s34, 0xc3c4014
	v_mul_f64 v[10:11], v[1:2], 0.5
	v_fma_f64 v[26:27], v[1:2], v[1:2], -2.0
	s_mov_b32 s37, 0xbc603228
	s_mov_b32 s36, 0x3d3cda56
	;; [unrolled: 1-line block ×4, first 2 shown]
	v_fma_f64 v[6:7], v[3:4], s[34:35], s[0:1]
	s_mov_b32 s35, 0xbc499f2a
	s_mov_b32 s0, 0xe593bfac
	;; [unrolled: 1-line block ×3, first 2 shown]
	v_frexp_mant_f64_e32 v[12:13], v[10:11]
	v_frexp_exp_i32_f64_e32 v30, v[10:11]
	v_fma_f64 v[8:9], v[3:4], v[6:7], s[34:35]
	s_mov_b32 s34, 0x97eb07de
	s_mov_b32 s35, 0xbdd25103
	v_add_f64 v[8:9], v[8:9], s[0:1]
	s_mov_b32 s0, 0x7e0d1573
	s_mov_b32 s1, 0xbcd3eaaa
	v_fma_f64 v[6:7], v[3:4], v[8:9], -v[6:7]
	v_add_f64 v[6:7], v[6:7], s[0:1]
	s_mov_b32 s0, 0x615290c
	s_mov_b32 s1, 0x3d011d7f
	v_fma_f64 v[8:9], v[3:4], v[6:7], -v[8:9]
	;; [unrolled: 4-line block ×6, first 2 shown]
	v_add_f64 v[8:9], v[8:9], s[0:1]
	s_mov_b32 s1, 0x3fe55555
	s_mov_b32 s0, 0x55555555
	v_cmp_gt_f64_e32 vcc_lo, s[0:1], v[12:13]
	s_mov_b32 s0, 0x55555780
	v_fma_f64 v[6:7], v[3:4], v[8:9], -v[6:7]
	v_cndmask_b32_e64 v14, 0, 1, vcc_lo
	v_ldexp_f64 v[12:13], v[12:13], v14
	v_add_f64 v[6:7], v[6:7], s[34:35]
	s_mov_b32 s34, 0xb43fdf6c
	s_mov_b32 s35, 0x3df8ea34
	v_add_f64 v[14:15], v[12:13], 1.0
	v_add_f64 v[20:21], v[12:13], -1.0
	v_fma_f64 v[8:9], v[3:4], v[6:7], -v[8:9]
	v_rcp_f64_e32 v[16:17], v[14:15]
	v_add_f64 v[22:23], v[14:15], -1.0
	v_add_f64 v[8:9], v[8:9], s[34:35]
	s_mov_b32 s34, 0x28ea67e6
	s_mov_b32 s35, 0xbe20361b
	v_add_f64 v[12:13], v[12:13], -v[22:23]
	v_fma_f64 v[18:19], -v[14:15], v[16:17], 1.0
	v_fma_f64 v[6:7], v[3:4], v[8:9], -v[6:7]
	v_fma_f64 v[16:17], v[18:19], v[16:17], v[16:17]
	v_add_f64 v[6:7], v[6:7], s[34:35]
	s_mov_b32 s34, 0x2395010
	s_mov_b32 s35, 0x3e44258e
	v_fma_f64 v[18:19], -v[14:15], v[16:17], 1.0
	v_fma_f64 v[8:9], v[3:4], v[6:7], -v[8:9]
	v_fma_f64 v[16:17], v[18:19], v[16:17], v[16:17]
	v_add_f64 v[8:9], v[8:9], s[34:35]
	s_mov_b32 s34, 0x24b8c3e8
	s_mov_b32 s35, 0xbe67dd3e
	v_mul_f64 v[18:19], v[20:21], v[16:17]
	v_fma_f64 v[6:7], v[3:4], v[8:9], -v[6:7]
	v_mul_f64 v[24:25], v[14:15], v[18:19]
	v_add_f64 v[6:7], v[6:7], s[34:35]
	s_mov_b32 s34, 0xb347d108
	s_mov_b32 s35, 0x3e8ae344
	v_fma_f64 v[14:15], v[18:19], v[14:15], -v[24:25]
	v_fma_f64 v[8:9], v[3:4], v[6:7], -v[8:9]
	v_fma_f64 v[12:13], v[18:19], v[12:13], v[14:15]
	v_add_f64 v[8:9], v[8:9], s[34:35]
	s_mov_b32 s34, 0x7a0399e0
	s_mov_b32 s35, 0xbce5dd51
	v_fma_f64 v[28:29], v[26:27], s[36:37], s[34:35]
	s_mov_b32 s37, 0x3c603228
	s_mov_b32 s34, 0xddd0e045
	;; [unrolled: 1-line block ×3, first 2 shown]
	v_add_f64 v[14:15], v[24:25], v[12:13]
	v_fma_f64 v[6:7], v[3:4], v[8:9], -v[6:7]
	v_add_f64 v[22:23], v[20:21], -v[14:15]
	v_add_f64 v[24:25], v[14:15], -v[24:25]
	v_add_f64 v[6:7], v[6:7], s[38:39]
	s_mov_b32 s38, 0xd3d694fe
	s_mov_b32 s39, 0xbf2533ca
	v_add_f64 v[20:21], v[20:21], -v[22:23]
	v_add_f64 v[12:13], v[24:25], -v[12:13]
	v_fma_f64 v[8:9], v[3:4], v[6:7], -v[8:9]
	v_add_f64 v[14:15], v[20:21], -v[14:15]
	v_fma_f64 v[20:21], v[26:27], v[28:29], s[36:37]
	s_mov_b32 s36, 0xd511afc5
	s_mov_b32 s37, 0x3ecd1c4e
	v_add_f64 v[8:9], v[8:9], s[36:37]
	s_mov_b32 s36, 0xb8debbcf
	s_mov_b32 s37, 0xbeebd5f9
	v_add_f64 v[12:13], v[12:13], v[14:15]
	v_add_f64 v[14:15], v[20:21], s[34:35]
	s_mov_b32 s34, 0xb84626ca
	s_mov_b32 s35, 0xbde3663b
	v_fma_f64 v[6:7], v[3:4], v[8:9], -v[6:7]
	v_add_f64 v[12:13], v[22:23], v[12:13]
	v_fma_f64 v[20:21], v[26:27], v[14:15], -v[28:29]
	v_add_f64 v[6:7], v[6:7], s[36:37]
	s_mov_b32 s36, 0x42c70d0b
	s_mov_b32 s37, 0x3f0911b5
	v_mul_f64 v[12:13], v[16:17], v[12:13]
	v_add_f64 v[16:17], v[20:21], s[34:35]
	s_mov_b32 s34, 0x145c31d0
	s_mov_b32 s35, 0xbe57c41d
	v_fma_f64 v[8:9], v[3:4], v[6:7], -v[8:9]
	v_add_f64 v[20:21], v[18:19], v[12:13]
	v_fma_f64 v[14:15], v[26:27], v[16:17], -v[14:15]
	v_add_f64 v[8:9], v[8:9], s[36:37]
	s_mov_b32 s36, 0xbf559e2b
	s_mov_b32 s37, 0x3fc3ab76
	v_mul_f64 v[22:23], v[20:21], v[20:21]
	v_add_f64 v[14:15], v[14:15], s[34:35]
	s_mov_b32 s34, 0x6b47b09a
	s_mov_b32 s35, 0x3fc38538
	v_add_f64 v[18:19], v[20:21], -v[18:19]
	v_fma_f64 v[6:7], v[3:4], v[8:9], -v[6:7]
	v_fma_f64 v[24:25], v[22:23], s[36:37], s[34:35]
	v_fma_f64 v[16:17], v[26:27], v[14:15], -v[16:17]
	s_mov_b32 s34, 0x2c832e3a
	s_mov_b32 s35, 0xbec469b3
	s_mov_b32 s36, 0xd7f4df2e
	s_mov_b32 s37, 0x3fc7474d
	v_mul_f64 v[28:29], v[20:21], v[22:23]
	v_add_f64 v[12:13], v[12:13], -v[18:19]
	v_add_f64 v[6:7], v[6:7], s[38:39]
	s_mov_b32 s38, 0xb6c6df7d
	s_mov_b32 s39, 0x3f40c95d
	v_fma_f64 v[24:25], v[22:23], v[24:25], s[36:37]
	v_add_f64 v[16:17], v[16:17], s[34:35]
	s_mov_b32 s34, 0x16291751
	s_mov_b32 s35, 0x3fcc71c0
	;; [unrolled: 1-line block ×4, first 2 shown]
	v_ldexp_f64 v[12:13], v[12:13], 1
	v_fma_f64 v[8:9], v[3:4], v[6:7], -v[8:9]
	v_fma_f64 v[24:25], v[22:23], v[24:25], s[34:35]
	v_fma_f64 v[14:15], v[26:27], v[16:17], -v[14:15]
	s_mov_b32 s34, 0xe5a3bd02
	s_mov_b32 s35, 0xbf26ade2
	v_add_f64 v[8:9], v[8:9], s[38:39]
	s_mov_b32 s38, 0xe7bb2349
	s_mov_b32 s39, 0x3f9951e3
	v_fma_f64 v[24:25], v[22:23], v[24:25], s[36:37]
	v_add_f64 v[14:15], v[14:15], s[34:35]
	s_mov_b32 s34, 0x998ef7b6
	s_mov_b32 s35, 0x3fd99999
	;; [unrolled: 1-line block ×4, first 2 shown]
	v_fma_f64 v[6:7], v[3:4], v[8:9], -v[6:7]
	v_fma_f64 v[24:25], v[22:23], v[24:25], s[34:35]
	v_fma_f64 v[16:17], v[26:27], v[14:15], -v[16:17]
	s_mov_b32 s34, 0x9d7d4192
	s_mov_b32 s35, 0xbf7c9293
	v_add_f64 v[6:7], v[6:7], s[36:37]
	s_mov_b32 s36, 0x49d3a1b4
	s_mov_b32 s37, 0x3f710653
	v_fma_f64 v[22:23], v[22:23], v[24:25], s[0:1]
	v_add_f64 v[16:17], v[16:17], s[34:35]
	v_ldexp_f64 v[24:25], v[20:21], 1
	s_mov_b32 s0, 0x43c1db74
	s_mov_b32 s1, 0xbfbf6372
	;; [unrolled: 1-line block ×4, first 2 shown]
	v_fma_f64 v[8:9], v[3:4], v[6:7], -v[8:9]
	v_mul_f64 v[22:23], v[28:29], v[22:23]
	v_fma_f64 v[14:15], v[26:27], v[16:17], -v[14:15]
	v_subrev_co_ci_u32_e64 v28, null, 0, v30, vcc_lo
	v_mul_f64 v[30:31], v[1:2], s[34:35]
	s_mov_b32 s34, 0x757b0dd4
	s_mov_b32 s35, 0xbfd69a1b
	v_cvt_f64_i32_e32 v[28:29], v28
	v_add_f64 v[8:9], v[8:9], s[36:37]
	s_mov_b32 s36, 0x7913a26a
	s_mov_b32 s37, 0xbf85a29f
	v_add_f64 v[20:21], v[24:25], v[22:23]
	v_add_f64 v[14:15], v[14:15], s[0:1]
	s_mov_b32 s1, 0x3fe62e42
	s_mov_b32 s0, 0xfefa39ef
	v_mul_f64 v[32:33], v[28:29], s[0:1]
	v_fma_f64 v[6:7], v[3:4], v[8:9], -v[6:7]
	v_add_f64 v[18:19], v[20:21], -v[24:25]
	v_fma_f64 v[16:17], v[26:27], v[14:15], -v[16:17]
	v_rndne_f64_e32 v[24:25], v[30:31]
	v_fma_f64 v[30:31], v[28:29], s[0:1], -v[32:33]
	s_mov_b32 s1, 0xbfe62e42
	v_add_f64 v[6:7], v[6:7], s[36:37]
	s_mov_b32 s36, 0x6a5dcb37
	s_mov_b32 s37, 0x3e5ade15
	v_add_f64 v[18:19], v[22:23], -v[18:19]
	v_add_f64 v[16:17], v[16:17], s[34:35]
	v_fma_f64 v[22:23], v[24:25], s[0:1], v[1:2]
	s_mov_b32 s1, 0x3c7abc9e
	s_mov_b32 s0, 0x3b39803f
	s_mov_b32 s34, 0xfca7ab0c
	s_mov_b32 s35, 0x3e928af3
	v_fma_f64 v[28:29], v[28:29], s[0:1], v[30:31]
	s_mov_b32 s1, 0xbc7abc9e
	v_fma_f64 v[8:9], v[3:4], v[6:7], -v[8:9]
	v_add_f64 v[12:13], v[12:13], v[18:19]
	v_fma_f64 v[16:17], v[26:27], v[16:17], -v[14:15]
	v_fma_f64 v[18:19], v[24:25], s[0:1], v[22:23]
	s_mov_b32 s0, 0x361008ca
	s_mov_b32 s1, 0x3ff867a1
	v_add_f64 v[22:23], v[32:33], v[28:29]
	v_add_f64 v[8:9], v[8:9], s[38:39]
	;; [unrolled: 1-line block ×4, first 2 shown]
	v_fma_f64 v[30:31], v[18:19], s[36:37], s[34:35]
	s_mov_b32 s0, 0x623fde64
	s_mov_b32 s1, 0x3ec71dee
	;; [unrolled: 1-line block ×4, first 2 shown]
	v_add_f64 v[32:33], v[22:23], -v[32:33]
	v_fma_f64 v[6:7], v[3:4], v[8:9], -v[6:7]
	v_add_f64 v[34:35], v[22:23], v[26:27]
	v_add_f64 v[14:15], v[16:17], -v[14:15]
	v_fma_f64 v[30:31], v[18:19], v[30:31], s[0:1]
	s_mov_b32 s0, 0x7c89e6b0
	s_mov_b32 s1, 0x3efa0199
	v_add_f64 v[20:21], v[26:27], -v[20:21]
	v_add_f64 v[28:29], v[28:29], -v[32:33]
	v_add_f64 v[6:7], v[6:7], s[34:35]
	s_mov_b32 s34, 0xd536f53c
	s_mov_b32 s35, 0x3fba46da
	v_add_f64 v[16:17], v[34:35], -v[22:23]
	v_mul_f64 v[14:15], v[14:15], 0.5
	v_fma_f64 v[30:31], v[18:19], v[30:31], s[0:1]
	s_mov_b32 s0, 0x14761f6e
	s_mov_b32 s1, 0x3f2a01a0
	v_add_f64 v[12:13], v[12:13], -v[20:21]
	v_fma_f64 v[8:9], v[3:4], v[6:7], -v[8:9]
	v_add_f64 v[36:37], v[34:35], -v[16:17]
	v_div_scale_f64 v[38:39], null, v[1:2], v[1:2], v[14:15]
	v_fma_f64 v[30:31], v[18:19], v[30:31], s[0:1]
	s_mov_b32 s0, 0x1852b7b0
	s_mov_b32 s1, 0x3f56c16c
	v_add_f64 v[16:17], v[26:27], -v[16:17]
	v_add_f64 v[8:9], v[8:9], s[34:35]
	s_mov_b32 s34, 0x469192e
	s_mov_b32 s35, 0xbfc694d1
	v_add_f64 v[20:21], v[22:23], -v[36:37]
	v_rcp_f64_e32 v[26:27], v[38:39]
	v_fma_f64 v[22:23], v[18:19], v[30:31], s[0:1]
	s_mov_b32 s0, 0x11122322
	s_mov_b32 s1, 0x3f811111
	v_add_f64 v[30:31], v[28:29], v[12:13]
	v_fma_f64 v[6:7], v[3:4], v[8:9], -v[6:7]
	v_add_f64 v[16:17], v[16:17], v[20:21]
	v_fma_f64 v[20:21], v[18:19], v[22:23], s[0:1]
	v_fma_f64 v[22:23], -v[38:39], v[26:27], 1.0
	s_mov_b32 s0, 0x555502a1
	s_mov_b32 s1, 0x3fa55555
	v_add_f64 v[32:33], v[30:31], -v[28:29]
	v_add_f64 v[6:7], v[6:7], s[34:35]
	s_mov_b32 s34, 0x724a7ffa
	s_mov_b32 s35, 0x3fd02a63
	v_add_f64 v[16:17], v[30:31], v[16:17]
	v_fma_f64 v[20:21], v[18:19], v[20:21], s[0:1]
	v_fma_f64 v[22:23], v[26:27], v[22:23], v[26:27]
	s_mov_b32 s0, 0x55555511
	s_mov_b32 s1, 0x3fc55555
	v_add_f64 v[26:27], v[30:31], -v[32:33]
	v_add_f64 v[12:13], v[12:13], -v[32:33]
	v_div_scale_f64 v[32:33], vcc_lo, v[14:15], v[1:2], v[14:15]
	v_fma_f64 v[3:4], v[3:4], v[6:7], -v[8:9]
	v_add_f64 v[30:31], v[34:35], v[16:17]
	v_fma_f64 v[20:21], v[18:19], v[20:21], s[0:1]
	v_fma_f64 v[6:7], -v[38:39], v[22:23], 1.0
	s_mov_b32 s0, 11
	s_mov_b32 s1, 0x3fe00000
	v_add_f64 v[26:27], v[28:29], -v[26:27]
	v_add_f64 v[3:4], v[3:4], s[34:35]
	v_add_f64 v[28:29], v[30:31], -v[34:35]
	v_fma_f64 v[20:21], v[18:19], v[20:21], s[0:1]
	v_fma_f64 v[6:7], v[22:23], v[6:7], v[22:23]
	v_cvt_i32_f64_e32 v22, v[24:25]
	v_cmp_neq_f64_e64 s0, 0, v[10:11]
	v_add_f64 v[12:13], v[12:13], v[26:27]
	v_add_f64 v[3:4], v[3:4], -v[8:9]
	v_add_f64 v[16:17], v[16:17], -v[28:29]
	v_fma_f64 v[20:21], v[18:19], v[20:21], 1.0
	v_mul_f64 v[8:9], v[32:33], v[6:7]
	v_mul_f64 v[3:4], v[3:4], 0.5
	v_add_f64 v[12:13], v[12:13], v[16:17]
	v_fma_f64 v[16:17], v[18:19], v[20:21], 1.0
	v_fma_f64 v[18:19], -v[38:39], v[8:9], v[32:33]
	v_mul_f64 v[3:4], v[1:2], v[3:4]
	v_add_f64 v[12:13], v[30:31], v[12:13]
	v_ldexp_f64 v[16:17], v[16:17], v22
	v_div_fmas_f64 v[6:7], v[18:19], v[6:7], v[8:9]
	v_cmp_neq_f64_e32 vcc_lo, 0x7ff00000, v[10:11]
	v_mul_f64 v[3:4], v[16:17], v[3:4]
	v_div_fixup_f64 v[1:2], v[6:7], v[1:2], v[14:15]
	v_cndmask_b32_e32 v8, 0x7ff00000, v13, vcc_lo
	s_and_b32 vcc_lo, s0, vcc_lo
	v_cndmask_b32_e32 v6, 0, v12, vcc_lo
	v_cndmask_b32_e64 v7, 0xfff00000, v8, s0
	v_fma_f64 v[3:4], v[6:7], v[3:4], v[1:2]
                                        ; implicit-def: $vgpr1_vgpr2
.LBB7_118:
	s_andn2_saveexec_b32 s1, s31
	s_cbranch_execz .LBB7_120
; %bb.119:
	v_div_scale_f64 v[3:4], null, v[1:2], v[1:2], 0x40200000
	v_div_scale_f64 v[10:11], vcc_lo, 0x40200000, v[1:2], 0x40200000
	s_mov_b32 s34, 0x838f5ed3
	s_mov_b32 s35, 0x3c74af1a
	;; [unrolled: 1-line block ×4, first 2 shown]
	v_cmp_nlt_f64_e64 s0, 0x4090cc00, v[1:2]
	v_rcp_f64_e32 v[6:7], v[3:4]
	v_fma_f64 v[8:9], -v[3:4], v[6:7], 1.0
	v_fma_f64 v[6:7], v[6:7], v[8:9], v[6:7]
	v_fma_f64 v[8:9], -v[3:4], v[6:7], 1.0
	v_fma_f64 v[6:7], v[6:7], v[8:9], v[6:7]
	v_mul_f64 v[8:9], v[10:11], v[6:7]
	v_fma_f64 v[3:4], -v[3:4], v[8:9], v[10:11]
	v_div_fmas_f64 v[3:4], v[3:4], v[6:7], v[8:9]
	v_cmp_gt_f64_e32 vcc_lo, 0x10000000, v[1:2]
	v_div_fixup_f64 v[3:4], v[3:4], v[1:2], 0x40200000
	v_cndmask_b32_e64 v16, 0, 0x100, vcc_lo
	v_ldexp_f64 v[16:17], v[1:2], v16
	v_add_f64 v[3:4], v[3:4], -2.0
	v_rsq_f64_e32 v[18:19], v[16:17]
	v_fma_f64 v[6:7], v[3:4], s[36:37], s[34:35]
	s_mov_b32 s37, 0x3c5a8c5d
	s_mov_b32 s34, 0x17771d52
	;; [unrolled: 1-line block ×3, first 2 shown]
	v_mul_f64 v[20:21], v[16:17], v[18:19]
	v_mul_f64 v[18:19], v[18:19], 0.5
	v_fma_f64 v[8:9], v[3:4], v[6:7], s[36:37]
	s_mov_b32 s36, 0x6a5dcb37
	s_mov_b32 s37, 0x3e5ade15
	v_fma_f64 v[22:23], -v[18:19], v[20:21], 0.5
	v_add_f64 v[8:9], v[8:9], s[34:35]
	s_mov_b32 s34, 0x44ee2c0b
	s_mov_b32 s35, 0x3caa7d5e
	v_fma_f64 v[20:21], v[20:21], v[22:23], v[20:21]
	v_fma_f64 v[18:19], v[18:19], v[22:23], v[18:19]
	v_fma_f64 v[6:7], v[3:4], v[8:9], -v[6:7]
	v_fma_f64 v[22:23], -v[20:21], v[20:21], v[16:17]
	v_add_f64 v[6:7], v[6:7], s[34:35]
	s_mov_b32 s34, 0xd8758ef2
	s_mov_b32 s35, 0xbcc5d2a3
	v_fma_f64 v[8:9], v[3:4], v[6:7], -v[8:9]
	v_add_f64 v[8:9], v[8:9], s[34:35]
	s_mov_b32 s34, 0xefee81bd
	s_mov_b32 s35, 0x3ce25ced
	v_fma_f64 v[6:7], v[3:4], v[8:9], -v[6:7]
	;; [unrolled: 4-line block ×14, first 2 shown]
	v_add_f64 v[6:7], v[6:7], s[34:35]
	s_mov_b32 s34, 0x652b82fe
	s_mov_b32 s35, 0xbff71547
	v_mul_f64 v[10:11], v[1:2], s[34:35]
	s_mov_b32 s34, 0x8fada5c6
	s_mov_b32 s35, 0xbe978052
	v_fma_f64 v[8:9], v[3:4], v[6:7], -v[8:9]
	v_rndne_f64_e32 v[10:11], v[10:11]
	v_add_f64 v[8:9], v[8:9], s[34:35]
	s_mov_b32 s34, 0xfefa39ef
	s_mov_b32 s35, 0xbfe62e42
	v_fma_f64 v[12:13], v[10:11], s[34:35], -v[1:2]
	s_mov_b32 s34, 0x3b39803f
	s_mov_b32 s35, 0xbc7abc9e
	v_fma_f64 v[6:7], v[3:4], v[8:9], -v[6:7]
	v_fma_f64 v[12:13], v[10:11], s[34:35], v[12:13]
	s_mov_b32 s34, 0x1752d1b6
	s_mov_b32 s35, 0x3ec42fe3
	v_add_f64 v[6:7], v[6:7], s[34:35]
	s_mov_b32 s34, 0xfca7ab0c
	s_mov_b32 s35, 0x3e928af3
	v_fma_f64 v[14:15], v[12:13], s[36:37], s[34:35]
	s_mov_b32 s34, 0x623fde64
	s_mov_b32 s35, 0x3ec71dee
	v_fma_f64 v[8:9], v[3:4], v[6:7], -v[8:9]
	v_fma_f64 v[14:15], v[12:13], v[14:15], s[34:35]
	s_mov_b32 s34, 0x1dcdb2e5
	s_mov_b32 s35, 0xbef44d71
	v_add_f64 v[8:9], v[8:9], s[34:35]
	s_mov_b32 s34, 0x7c89e6b0
	s_mov_b32 s35, 0x3efa0199
	v_fma_f64 v[14:15], v[12:13], v[14:15], s[34:35]
	;; [unrolled: 10-line block ×5, first 2 shown]
	s_mov_b32 s34, 0xaa062c8a
	s_mov_b32 s35, 0x4005c3d7
	v_fma_f64 v[3:4], v[3:4], v[6:7], -v[8:9]
	v_fma_f64 v[6:7], v[22:23], v[18:19], v[20:21]
	v_cvt_i32_f64_e32 v22, v[10:11]
	v_fma_f64 v[14:15], v[12:13], v[14:15], 1.0
	v_add_f64 v[3:4], v[3:4], s[34:35]
	v_fma_f64 v[20:21], -v[6:7], v[6:7], v[16:17]
	v_fma_f64 v[10:11], v[12:13], v[14:15], 1.0
	v_add_f64 v[3:4], v[3:4], -v[8:9]
	v_fma_f64 v[6:7], v[20:21], v[18:19], v[6:7]
	v_ldexp_f64 v[8:9], v[10:11], v22
	v_mul_f64 v[1:2], v[3:4], 0.5
	v_cndmask_b32_e64 v3, 0, 0xffffff80, vcc_lo
	v_cmp_class_f64_e64 vcc_lo, v[16:17], 0x260
	v_ldexp_f64 v[3:4], v[6:7], v3
	v_cndmask_b32_e64 v7, 0, v9, s0
	v_cndmask_b32_e64 v6, 0, v8, s0
	v_mul_f64 v[1:2], v[6:7], v[1:2]
	v_cndmask_b32_e32 v4, v4, v17, vcc_lo
	v_cndmask_b32_e32 v3, v3, v16, vcc_lo
	v_div_scale_f64 v[6:7], null, v[3:4], v[3:4], v[1:2]
	v_rcp_f64_e32 v[8:9], v[6:7]
	v_fma_f64 v[10:11], -v[6:7], v[8:9], 1.0
	v_fma_f64 v[8:9], v[8:9], v[10:11], v[8:9]
	v_fma_f64 v[10:11], -v[6:7], v[8:9], 1.0
	v_fma_f64 v[8:9], v[8:9], v[10:11], v[8:9]
	v_div_scale_f64 v[10:11], vcc_lo, v[1:2], v[3:4], v[1:2]
	v_mul_f64 v[12:13], v[10:11], v[8:9]
	v_fma_f64 v[6:7], -v[6:7], v[12:13], v[10:11]
	v_div_fmas_f64 v[6:7], v[6:7], v[8:9], v[12:13]
	v_div_fixup_f64 v[3:4], v[6:7], v[3:4], v[1:2]
.LBB7_120:
	s_or_b32 exec_lo, exec_lo, s1
.LBB7_121:
	s_or_b32 exec_lo, exec_lo, s21
.LBB7_122:
	s_or_b32 exec_lo, exec_lo, s20
	v_add_nc_u32_e32 v5, 0x80, v5
	global_store_dwordx2 v0, v[3:4], s[4:5]
	s_or_b32 exec_lo, exec_lo, s30
	s_mov_b32 s30, exec_lo
	v_cmpx_gt_i32_e64 s27, v5
	s_cbranch_execnz .LBB7_15
.LBB7_123:
	s_or_b32 exec_lo, exec_lo, s30
	s_mov_b32 s30, exec_lo
	v_cmpx_gt_i32_e64 s27, v5
	s_cbranch_execz .LBB7_147
.LBB7_124:
	s_andn2_b32 vcc_lo, exec_lo, s24
	s_cbranch_vccnz .LBB7_129
; %bb.125:
	s_andn2_b32 vcc_lo, exec_lo, s29
	s_cbranch_vccnz .LBB7_130
; %bb.126:
	s_add_i32 s33, s28, 1
	s_cmp_eq_u32 s23, 2
	s_cbranch_scc1 .LBB7_150
; %bb.127:
	v_mov_b32_e32 v2, 0
	v_mov_b32_e32 v0, 0
	;; [unrolled: 1-line block ×3, first 2 shown]
	s_and_b32 s31, s33, 28
	s_mov_b32 s34, 0
	s_mov_b64 s[0:1], s[2:3]
	s_mov_b64 s[20:21], s[18:19]
.LBB7_128:                              ; =>This Inner Loop Header: Depth=1
	s_clause 0x1
	s_load_dwordx8 s[36:43], s[0:1], 0x4
	s_load_dwordx4 s[52:55], s[0:1], 0x24
	s_load_dwordx8 s[44:51], s[20:21], 0x0
	s_add_u32 s0, s0, 48
	s_addc_u32 s1, s1, 0
	s_add_i32 s34, s34, 4
	s_add_u32 s20, s20, 32
	s_addc_u32 s21, s21, 0
	s_cmp_eq_u32 s31, s34
	s_waitcnt lgkmcnt(0)
	v_mul_hi_u32 v3, s37, v1
	v_add_nc_u32_e32 v3, v1, v3
	v_lshrrev_b32_e32 v3, s38, v3
	v_mul_hi_u32 v4, s40, v3
	v_mul_lo_u32 v7, v3, s36
	v_add_nc_u32_e32 v4, v3, v4
	v_sub_nc_u32_e32 v1, v1, v7
	v_lshrrev_b32_e32 v4, s41, v4
	v_mul_lo_u32 v7, v1, s44
	v_mul_lo_u32 v9, v1, s45
	v_mul_hi_u32 v6, s43, v4
	v_add_nc_u32_e32 v6, v4, v6
	v_lshrrev_b32_e32 v6, s52, v6
	v_mul_hi_u32 v8, s54, v6
	v_mul_lo_u32 v10, v6, s42
	v_add_nc_u32_e32 v1, v6, v8
	v_mul_lo_u32 v8, v4, s39
	v_sub_nc_u32_e32 v4, v4, v10
	v_lshrrev_b32_e32 v1, s55, v1
	v_mul_lo_u32 v10, v4, s48
	v_mul_lo_u32 v4, v4, s49
	v_sub_nc_u32_e32 v3, v3, v8
	v_mul_lo_u32 v11, v1, s53
	v_mul_lo_u32 v8, v3, s46
	;; [unrolled: 1-line block ×3, first 2 shown]
	v_sub_nc_u32_e32 v6, v6, v11
	v_add3_u32 v0, v7, v0, v8
	v_mul_lo_u32 v11, v6, s50
	v_mul_lo_u32 v6, v6, s51
	v_add3_u32 v2, v9, v2, v3
	v_add3_u32 v0, v10, v0, v11
	;; [unrolled: 1-line block ×3, first 2 shown]
	s_cbranch_scc0 .LBB7_128
	s_branch .LBB7_151
.LBB7_129:
                                        ; implicit-def: $vgpr0
                                        ; implicit-def: $vgpr2
	s_branch .LBB7_155
.LBB7_130:
	v_mov_b32_e32 v0, 0
	v_mov_b32_e32 v2, 0
	s_branch .LBB7_154
.LBB7_131:
	v_mov_b32_e32 v0, 0
	v_mov_b32_e32 v2, 0
	;; [unrolled: 1-line block ×3, first 2 shown]
	s_mov_b32 s31, 0
.LBB7_132:
	s_and_b32 s33, s33, 3
	s_cmp_eq_u32 s33, 0
	s_cbranch_scc1 .LBB7_135
; %bb.133:
	s_lshl_b32 s0, s31, 3
	s_mul_i32 s20, s31, 12
	s_add_u32 s0, s2, s0
	s_addc_u32 s1, s3, 0
	s_add_u32 s0, s0, 0xc4
	s_addc_u32 s1, s1, 0
	;; [unrolled: 2-line block ×3, first 2 shown]
	.p2align	6
.LBB7_134:                              ; =>This Inner Loop Header: Depth=1
	s_clause 0x1
	s_load_dwordx2 s[34:35], s[20:21], 0x4
	s_load_dword s31, s[20:21], 0xc
	s_load_dwordx2 s[36:37], s[0:1], 0x0
	s_add_u32 s20, s20, 12
	s_addc_u32 s21, s21, 0
	s_add_u32 s0, s0, 8
	s_addc_u32 s1, s1, 0
	s_add_i32 s33, s33, -1
	s_cmp_lg_u32 s33, 0
	s_waitcnt lgkmcnt(0)
	v_mul_hi_u32 v3, s35, v1
	v_add_nc_u32_e32 v3, v1, v3
	v_lshrrev_b32_e32 v4, s31, v3
	v_mul_lo_u32 v3, v4, s34
	v_sub_nc_u32_e32 v3, v1, v3
	v_mad_u64_u32 v[0:1], null, v3, s36, v[0:1]
	v_mad_u64_u32 v[2:3], null, v3, s37, v[2:3]
	v_mov_b32_e32 v1, v4
	s_cbranch_scc1 .LBB7_134
.LBB7_135:
	s_cbranch_execnz .LBB7_138
.LBB7_136:
	s_waitcnt lgkmcnt(0)
	v_mul_hi_u32 v0, s13, v5
	s_andn2_b32 vcc_lo, exec_lo, s26
	v_add_nc_u32_e32 v0, v5, v0
	v_lshrrev_b32_e32 v1, s14, v0
	v_mul_lo_u32 v0, v1, s12
	v_sub_nc_u32_e32 v2, v5, v0
	v_mul_lo_u32 v0, v2, s8
	v_mul_lo_u32 v2, v2, s9
	s_cbranch_vccnz .LBB7_138
; %bb.137:
	v_mul_hi_u32 v3, s16, v1
	v_add_nc_u32_e32 v3, v1, v3
	v_lshrrev_b32_e32 v3, s17, v3
	v_mul_lo_u32 v3, v3, s15
	v_sub_nc_u32_e32 v3, v1, v3
	v_mad_u64_u32 v[0:1], null, v3, s10, v[0:1]
	v_mad_u64_u32 v[2:3], null, v3, s11, v[2:3]
.LBB7_138:
	s_waitcnt lgkmcnt(0)
	global_load_dwordx2 v[1:2], v2, s[6:7]
	v_mov_b32_e32 v3, 0
	v_mov_b32_e32 v4, 0x7ff00000
	s_mov_b32 s20, exec_lo
	s_waitcnt vmcnt(0)
	v_cmpx_neq_f64_e32 0, v[1:2]
	s_cbranch_execz .LBB7_146
; %bb.139:
	v_mov_b32_e32 v3, 0
	v_mov_b32_e32 v4, 0x7ff80000
	s_mov_b32 s21, exec_lo
	v_cmpx_ngt_f64_e32 0, v[1:2]
	s_cbranch_execz .LBB7_145
; %bb.140:
                                        ; implicit-def: $vgpr3_vgpr4
	s_mov_b32 s0, exec_lo
	v_cmpx_ge_f64_e32 2.0, v[1:2]
	s_xor_b32 s31, exec_lo, s0
	s_cbranch_execz .LBB7_142
; %bb.141:
	v_fma_f64 v[3:4], v[1:2], 0.5, -2.0
	s_mov_b32 s0, 0xc38a0576
	s_mov_b32 s1, 0xbc7857d0
	;; [unrolled: 1-line block ×4, first 2 shown]
	v_mul_f64 v[10:11], v[1:2], 0.5
	v_fma_f64 v[26:27], v[1:2], v[1:2], -2.0
	s_mov_b32 s37, 0xbc603228
	s_mov_b32 s36, 0x3d3cda56
	;; [unrolled: 1-line block ×4, first 2 shown]
	v_fma_f64 v[6:7], v[3:4], s[34:35], s[0:1]
	s_mov_b32 s35, 0xbc499f2a
	s_mov_b32 s0, 0xe593bfac
	s_mov_b32 s1, 0x3ca663e3
	v_frexp_mant_f64_e32 v[12:13], v[10:11]
	v_frexp_exp_i32_f64_e32 v30, v[10:11]
	v_fma_f64 v[8:9], v[3:4], v[6:7], s[34:35]
	s_mov_b32 s34, 0x97eb07de
	s_mov_b32 s35, 0xbdd25103
	v_add_f64 v[8:9], v[8:9], s[0:1]
	s_mov_b32 s0, 0x7e0d1573
	s_mov_b32 s1, 0xbcd3eaaa
	v_fma_f64 v[6:7], v[3:4], v[8:9], -v[6:7]
	v_add_f64 v[6:7], v[6:7], s[0:1]
	s_mov_b32 s0, 0x615290c
	s_mov_b32 s1, 0x3d011d7f
	v_fma_f64 v[8:9], v[3:4], v[6:7], -v[8:9]
	;; [unrolled: 4-line block ×6, first 2 shown]
	v_add_f64 v[8:9], v[8:9], s[0:1]
	s_mov_b32 s1, 0x3fe55555
	s_mov_b32 s0, 0x55555555
	v_cmp_gt_f64_e32 vcc_lo, s[0:1], v[12:13]
	s_mov_b32 s0, 0x55555780
	v_fma_f64 v[6:7], v[3:4], v[8:9], -v[6:7]
	v_cndmask_b32_e64 v14, 0, 1, vcc_lo
	v_ldexp_f64 v[12:13], v[12:13], v14
	v_add_f64 v[6:7], v[6:7], s[34:35]
	s_mov_b32 s34, 0xb43fdf6c
	s_mov_b32 s35, 0x3df8ea34
	v_add_f64 v[14:15], v[12:13], 1.0
	v_add_f64 v[20:21], v[12:13], -1.0
	v_fma_f64 v[8:9], v[3:4], v[6:7], -v[8:9]
	v_rcp_f64_e32 v[16:17], v[14:15]
	v_add_f64 v[22:23], v[14:15], -1.0
	v_add_f64 v[8:9], v[8:9], s[34:35]
	s_mov_b32 s34, 0x28ea67e6
	s_mov_b32 s35, 0xbe20361b
	v_add_f64 v[12:13], v[12:13], -v[22:23]
	v_fma_f64 v[18:19], -v[14:15], v[16:17], 1.0
	v_fma_f64 v[6:7], v[3:4], v[8:9], -v[6:7]
	v_fma_f64 v[16:17], v[18:19], v[16:17], v[16:17]
	v_add_f64 v[6:7], v[6:7], s[34:35]
	s_mov_b32 s34, 0x2395010
	s_mov_b32 s35, 0x3e44258e
	v_fma_f64 v[18:19], -v[14:15], v[16:17], 1.0
	v_fma_f64 v[8:9], v[3:4], v[6:7], -v[8:9]
	v_fma_f64 v[16:17], v[18:19], v[16:17], v[16:17]
	v_add_f64 v[8:9], v[8:9], s[34:35]
	s_mov_b32 s34, 0x24b8c3e8
	s_mov_b32 s35, 0xbe67dd3e
	v_mul_f64 v[18:19], v[20:21], v[16:17]
	v_fma_f64 v[6:7], v[3:4], v[8:9], -v[6:7]
	v_mul_f64 v[24:25], v[14:15], v[18:19]
	v_add_f64 v[6:7], v[6:7], s[34:35]
	s_mov_b32 s34, 0xb347d108
	s_mov_b32 s35, 0x3e8ae344
	v_fma_f64 v[14:15], v[18:19], v[14:15], -v[24:25]
	v_fma_f64 v[8:9], v[3:4], v[6:7], -v[8:9]
	v_fma_f64 v[12:13], v[18:19], v[12:13], v[14:15]
	v_add_f64 v[8:9], v[8:9], s[34:35]
	s_mov_b32 s34, 0x7a0399e0
	s_mov_b32 s35, 0xbce5dd51
	v_fma_f64 v[28:29], v[26:27], s[36:37], s[34:35]
	s_mov_b32 s37, 0x3c603228
	s_mov_b32 s34, 0xddd0e045
	;; [unrolled: 1-line block ×3, first 2 shown]
	v_add_f64 v[14:15], v[24:25], v[12:13]
	v_fma_f64 v[6:7], v[3:4], v[8:9], -v[6:7]
	v_add_f64 v[22:23], v[20:21], -v[14:15]
	v_add_f64 v[24:25], v[14:15], -v[24:25]
	v_add_f64 v[6:7], v[6:7], s[38:39]
	s_mov_b32 s38, 0xd3d694fe
	s_mov_b32 s39, 0xbf2533ca
	v_add_f64 v[20:21], v[20:21], -v[22:23]
	v_add_f64 v[12:13], v[24:25], -v[12:13]
	v_fma_f64 v[8:9], v[3:4], v[6:7], -v[8:9]
	v_add_f64 v[14:15], v[20:21], -v[14:15]
	v_fma_f64 v[20:21], v[26:27], v[28:29], s[36:37]
	s_mov_b32 s36, 0xd511afc5
	s_mov_b32 s37, 0x3ecd1c4e
	v_add_f64 v[8:9], v[8:9], s[36:37]
	s_mov_b32 s36, 0xb8debbcf
	s_mov_b32 s37, 0xbeebd5f9
	v_add_f64 v[12:13], v[12:13], v[14:15]
	v_add_f64 v[14:15], v[20:21], s[34:35]
	s_mov_b32 s34, 0xb84626ca
	s_mov_b32 s35, 0xbde3663b
	v_fma_f64 v[6:7], v[3:4], v[8:9], -v[6:7]
	v_add_f64 v[12:13], v[22:23], v[12:13]
	v_fma_f64 v[20:21], v[26:27], v[14:15], -v[28:29]
	v_add_f64 v[6:7], v[6:7], s[36:37]
	s_mov_b32 s36, 0x42c70d0b
	s_mov_b32 s37, 0x3f0911b5
	v_mul_f64 v[12:13], v[16:17], v[12:13]
	v_add_f64 v[16:17], v[20:21], s[34:35]
	s_mov_b32 s34, 0x145c31d0
	s_mov_b32 s35, 0xbe57c41d
	v_fma_f64 v[8:9], v[3:4], v[6:7], -v[8:9]
	v_add_f64 v[20:21], v[18:19], v[12:13]
	v_fma_f64 v[14:15], v[26:27], v[16:17], -v[14:15]
	v_add_f64 v[8:9], v[8:9], s[36:37]
	s_mov_b32 s36, 0xbf559e2b
	s_mov_b32 s37, 0x3fc3ab76
	v_mul_f64 v[22:23], v[20:21], v[20:21]
	v_add_f64 v[14:15], v[14:15], s[34:35]
	s_mov_b32 s34, 0x6b47b09a
	s_mov_b32 s35, 0x3fc38538
	v_add_f64 v[18:19], v[20:21], -v[18:19]
	v_fma_f64 v[6:7], v[3:4], v[8:9], -v[6:7]
	v_fma_f64 v[24:25], v[22:23], s[36:37], s[34:35]
	v_fma_f64 v[16:17], v[26:27], v[14:15], -v[16:17]
	s_mov_b32 s34, 0x2c832e3a
	s_mov_b32 s35, 0xbec469b3
	;; [unrolled: 1-line block ×4, first 2 shown]
	v_mul_f64 v[28:29], v[20:21], v[22:23]
	v_add_f64 v[12:13], v[12:13], -v[18:19]
	v_add_f64 v[6:7], v[6:7], s[38:39]
	s_mov_b32 s38, 0xb6c6df7d
	s_mov_b32 s39, 0x3f40c95d
	v_fma_f64 v[24:25], v[22:23], v[24:25], s[36:37]
	v_add_f64 v[16:17], v[16:17], s[34:35]
	s_mov_b32 s34, 0x16291751
	s_mov_b32 s35, 0x3fcc71c0
	;; [unrolled: 1-line block ×4, first 2 shown]
	v_ldexp_f64 v[12:13], v[12:13], 1
	v_fma_f64 v[8:9], v[3:4], v[6:7], -v[8:9]
	v_fma_f64 v[24:25], v[22:23], v[24:25], s[34:35]
	v_fma_f64 v[14:15], v[26:27], v[16:17], -v[14:15]
	s_mov_b32 s34, 0xe5a3bd02
	s_mov_b32 s35, 0xbf26ade2
	v_add_f64 v[8:9], v[8:9], s[38:39]
	s_mov_b32 s38, 0xe7bb2349
	s_mov_b32 s39, 0x3f9951e3
	v_fma_f64 v[24:25], v[22:23], v[24:25], s[36:37]
	v_add_f64 v[14:15], v[14:15], s[34:35]
	s_mov_b32 s34, 0x998ef7b6
	s_mov_b32 s35, 0x3fd99999
	;; [unrolled: 1-line block ×4, first 2 shown]
	v_fma_f64 v[6:7], v[3:4], v[8:9], -v[6:7]
	v_fma_f64 v[24:25], v[22:23], v[24:25], s[34:35]
	v_fma_f64 v[16:17], v[26:27], v[14:15], -v[16:17]
	s_mov_b32 s34, 0x9d7d4192
	s_mov_b32 s35, 0xbf7c9293
	v_add_f64 v[6:7], v[6:7], s[36:37]
	s_mov_b32 s36, 0x49d3a1b4
	s_mov_b32 s37, 0x3f710653
	v_fma_f64 v[22:23], v[22:23], v[24:25], s[0:1]
	v_add_f64 v[16:17], v[16:17], s[34:35]
	v_ldexp_f64 v[24:25], v[20:21], 1
	s_mov_b32 s0, 0x43c1db74
	s_mov_b32 s1, 0xbfbf6372
	s_mov_b32 s34, 0x652b82fe
	s_mov_b32 s35, 0x3ff71547
	v_fma_f64 v[8:9], v[3:4], v[6:7], -v[8:9]
	v_mul_f64 v[22:23], v[28:29], v[22:23]
	v_fma_f64 v[14:15], v[26:27], v[16:17], -v[14:15]
	v_subrev_co_ci_u32_e64 v28, null, 0, v30, vcc_lo
	v_mul_f64 v[30:31], v[1:2], s[34:35]
	s_mov_b32 s34, 0x757b0dd4
	s_mov_b32 s35, 0xbfd69a1b
	v_cvt_f64_i32_e32 v[28:29], v28
	v_add_f64 v[8:9], v[8:9], s[36:37]
	s_mov_b32 s36, 0x7913a26a
	s_mov_b32 s37, 0xbf85a29f
	v_add_f64 v[20:21], v[24:25], v[22:23]
	v_add_f64 v[14:15], v[14:15], s[0:1]
	s_mov_b32 s1, 0x3fe62e42
	s_mov_b32 s0, 0xfefa39ef
	v_mul_f64 v[32:33], v[28:29], s[0:1]
	v_fma_f64 v[6:7], v[3:4], v[8:9], -v[6:7]
	v_add_f64 v[18:19], v[20:21], -v[24:25]
	v_fma_f64 v[16:17], v[26:27], v[14:15], -v[16:17]
	v_rndne_f64_e32 v[24:25], v[30:31]
	v_fma_f64 v[30:31], v[28:29], s[0:1], -v[32:33]
	s_mov_b32 s1, 0xbfe62e42
	v_add_f64 v[6:7], v[6:7], s[36:37]
	s_mov_b32 s36, 0x6a5dcb37
	s_mov_b32 s37, 0x3e5ade15
	v_add_f64 v[18:19], v[22:23], -v[18:19]
	v_add_f64 v[16:17], v[16:17], s[34:35]
	v_fma_f64 v[22:23], v[24:25], s[0:1], v[1:2]
	s_mov_b32 s1, 0x3c7abc9e
	s_mov_b32 s0, 0x3b39803f
	;; [unrolled: 1-line block ×4, first 2 shown]
	v_fma_f64 v[28:29], v[28:29], s[0:1], v[30:31]
	s_mov_b32 s1, 0xbc7abc9e
	v_fma_f64 v[8:9], v[3:4], v[6:7], -v[8:9]
	v_add_f64 v[12:13], v[12:13], v[18:19]
	v_fma_f64 v[16:17], v[26:27], v[16:17], -v[14:15]
	v_fma_f64 v[18:19], v[24:25], s[0:1], v[22:23]
	s_mov_b32 s0, 0x361008ca
	s_mov_b32 s1, 0x3ff867a1
	v_add_f64 v[22:23], v[32:33], v[28:29]
	v_add_f64 v[8:9], v[8:9], s[38:39]
	;; [unrolled: 1-line block ×4, first 2 shown]
	v_fma_f64 v[30:31], v[18:19], s[36:37], s[34:35]
	s_mov_b32 s0, 0x623fde64
	s_mov_b32 s1, 0x3ec71dee
	;; [unrolled: 1-line block ×4, first 2 shown]
	v_add_f64 v[32:33], v[22:23], -v[32:33]
	v_fma_f64 v[6:7], v[3:4], v[8:9], -v[6:7]
	v_add_f64 v[34:35], v[22:23], v[26:27]
	v_add_f64 v[14:15], v[16:17], -v[14:15]
	v_fma_f64 v[30:31], v[18:19], v[30:31], s[0:1]
	s_mov_b32 s0, 0x7c89e6b0
	s_mov_b32 s1, 0x3efa0199
	v_add_f64 v[20:21], v[26:27], -v[20:21]
	v_add_f64 v[28:29], v[28:29], -v[32:33]
	v_add_f64 v[6:7], v[6:7], s[34:35]
	s_mov_b32 s34, 0xd536f53c
	s_mov_b32 s35, 0x3fba46da
	v_add_f64 v[16:17], v[34:35], -v[22:23]
	v_mul_f64 v[14:15], v[14:15], 0.5
	v_fma_f64 v[30:31], v[18:19], v[30:31], s[0:1]
	s_mov_b32 s0, 0x14761f6e
	s_mov_b32 s1, 0x3f2a01a0
	v_add_f64 v[12:13], v[12:13], -v[20:21]
	v_fma_f64 v[8:9], v[3:4], v[6:7], -v[8:9]
	v_add_f64 v[36:37], v[34:35], -v[16:17]
	v_div_scale_f64 v[38:39], null, v[1:2], v[1:2], v[14:15]
	v_fma_f64 v[30:31], v[18:19], v[30:31], s[0:1]
	s_mov_b32 s0, 0x1852b7b0
	s_mov_b32 s1, 0x3f56c16c
	v_add_f64 v[16:17], v[26:27], -v[16:17]
	v_add_f64 v[8:9], v[8:9], s[34:35]
	s_mov_b32 s34, 0x469192e
	s_mov_b32 s35, 0xbfc694d1
	v_add_f64 v[20:21], v[22:23], -v[36:37]
	v_rcp_f64_e32 v[26:27], v[38:39]
	v_fma_f64 v[22:23], v[18:19], v[30:31], s[0:1]
	s_mov_b32 s0, 0x11122322
	s_mov_b32 s1, 0x3f811111
	v_add_f64 v[30:31], v[28:29], v[12:13]
	v_fma_f64 v[6:7], v[3:4], v[8:9], -v[6:7]
	v_add_f64 v[16:17], v[16:17], v[20:21]
	v_fma_f64 v[20:21], v[18:19], v[22:23], s[0:1]
	v_fma_f64 v[22:23], -v[38:39], v[26:27], 1.0
	s_mov_b32 s0, 0x555502a1
	s_mov_b32 s1, 0x3fa55555
	v_add_f64 v[32:33], v[30:31], -v[28:29]
	v_add_f64 v[6:7], v[6:7], s[34:35]
	s_mov_b32 s34, 0x724a7ffa
	s_mov_b32 s35, 0x3fd02a63
	v_add_f64 v[16:17], v[30:31], v[16:17]
	v_fma_f64 v[20:21], v[18:19], v[20:21], s[0:1]
	v_fma_f64 v[22:23], v[26:27], v[22:23], v[26:27]
	s_mov_b32 s0, 0x55555511
	s_mov_b32 s1, 0x3fc55555
	v_add_f64 v[26:27], v[30:31], -v[32:33]
	v_add_f64 v[12:13], v[12:13], -v[32:33]
	v_div_scale_f64 v[32:33], vcc_lo, v[14:15], v[1:2], v[14:15]
	v_fma_f64 v[3:4], v[3:4], v[6:7], -v[8:9]
	v_add_f64 v[30:31], v[34:35], v[16:17]
	v_fma_f64 v[20:21], v[18:19], v[20:21], s[0:1]
	v_fma_f64 v[6:7], -v[38:39], v[22:23], 1.0
	s_mov_b32 s0, 11
	s_mov_b32 s1, 0x3fe00000
	v_add_f64 v[26:27], v[28:29], -v[26:27]
	v_add_f64 v[3:4], v[3:4], s[34:35]
	v_add_f64 v[28:29], v[30:31], -v[34:35]
	v_fma_f64 v[20:21], v[18:19], v[20:21], s[0:1]
	v_fma_f64 v[6:7], v[22:23], v[6:7], v[22:23]
	v_cvt_i32_f64_e32 v22, v[24:25]
	v_cmp_neq_f64_e64 s0, 0, v[10:11]
	v_add_f64 v[12:13], v[12:13], v[26:27]
	v_add_f64 v[3:4], v[3:4], -v[8:9]
	v_add_f64 v[16:17], v[16:17], -v[28:29]
	v_fma_f64 v[20:21], v[18:19], v[20:21], 1.0
	v_mul_f64 v[8:9], v[32:33], v[6:7]
	v_mul_f64 v[3:4], v[3:4], 0.5
	v_add_f64 v[12:13], v[12:13], v[16:17]
	v_fma_f64 v[16:17], v[18:19], v[20:21], 1.0
	v_fma_f64 v[18:19], -v[38:39], v[8:9], v[32:33]
	v_mul_f64 v[3:4], v[1:2], v[3:4]
	v_add_f64 v[12:13], v[30:31], v[12:13]
	v_ldexp_f64 v[16:17], v[16:17], v22
	v_div_fmas_f64 v[6:7], v[18:19], v[6:7], v[8:9]
	v_cmp_neq_f64_e32 vcc_lo, 0x7ff00000, v[10:11]
	v_mul_f64 v[3:4], v[16:17], v[3:4]
	v_div_fixup_f64 v[1:2], v[6:7], v[1:2], v[14:15]
	v_cndmask_b32_e32 v8, 0x7ff00000, v13, vcc_lo
	s_and_b32 vcc_lo, s0, vcc_lo
	v_cndmask_b32_e32 v6, 0, v12, vcc_lo
	v_cndmask_b32_e64 v7, 0xfff00000, v8, s0
	v_fma_f64 v[3:4], v[6:7], v[3:4], v[1:2]
                                        ; implicit-def: $vgpr1_vgpr2
.LBB7_142:
	s_andn2_saveexec_b32 s1, s31
	s_cbranch_execz .LBB7_144
; %bb.143:
	v_div_scale_f64 v[3:4], null, v[1:2], v[1:2], 0x40200000
	v_div_scale_f64 v[10:11], vcc_lo, 0x40200000, v[1:2], 0x40200000
	s_mov_b32 s34, 0x838f5ed3
	s_mov_b32 s35, 0x3c74af1a
	;; [unrolled: 1-line block ×4, first 2 shown]
	v_cmp_nlt_f64_e64 s0, 0x4090cc00, v[1:2]
	v_rcp_f64_e32 v[6:7], v[3:4]
	v_fma_f64 v[8:9], -v[3:4], v[6:7], 1.0
	v_fma_f64 v[6:7], v[6:7], v[8:9], v[6:7]
	v_fma_f64 v[8:9], -v[3:4], v[6:7], 1.0
	v_fma_f64 v[6:7], v[6:7], v[8:9], v[6:7]
	v_mul_f64 v[8:9], v[10:11], v[6:7]
	v_fma_f64 v[3:4], -v[3:4], v[8:9], v[10:11]
	v_div_fmas_f64 v[3:4], v[3:4], v[6:7], v[8:9]
	v_cmp_gt_f64_e32 vcc_lo, 0x10000000, v[1:2]
	v_div_fixup_f64 v[3:4], v[3:4], v[1:2], 0x40200000
	v_cndmask_b32_e64 v16, 0, 0x100, vcc_lo
	v_ldexp_f64 v[16:17], v[1:2], v16
	v_add_f64 v[3:4], v[3:4], -2.0
	v_rsq_f64_e32 v[18:19], v[16:17]
	v_fma_f64 v[6:7], v[3:4], s[36:37], s[34:35]
	s_mov_b32 s37, 0x3c5a8c5d
	s_mov_b32 s34, 0x17771d52
	;; [unrolled: 1-line block ×3, first 2 shown]
	v_mul_f64 v[20:21], v[16:17], v[18:19]
	v_mul_f64 v[18:19], v[18:19], 0.5
	v_fma_f64 v[8:9], v[3:4], v[6:7], s[36:37]
	s_mov_b32 s36, 0x6a5dcb37
	s_mov_b32 s37, 0x3e5ade15
	v_fma_f64 v[22:23], -v[18:19], v[20:21], 0.5
	v_add_f64 v[8:9], v[8:9], s[34:35]
	s_mov_b32 s34, 0x44ee2c0b
	s_mov_b32 s35, 0x3caa7d5e
	v_fma_f64 v[20:21], v[20:21], v[22:23], v[20:21]
	v_fma_f64 v[18:19], v[18:19], v[22:23], v[18:19]
	v_fma_f64 v[6:7], v[3:4], v[8:9], -v[6:7]
	v_fma_f64 v[22:23], -v[20:21], v[20:21], v[16:17]
	v_add_f64 v[6:7], v[6:7], s[34:35]
	s_mov_b32 s34, 0xd8758ef2
	s_mov_b32 s35, 0xbcc5d2a3
	v_fma_f64 v[8:9], v[3:4], v[6:7], -v[8:9]
	v_add_f64 v[8:9], v[8:9], s[34:35]
	s_mov_b32 s34, 0xefee81bd
	s_mov_b32 s35, 0x3ce25ced
	v_fma_f64 v[6:7], v[3:4], v[8:9], -v[6:7]
	;; [unrolled: 4-line block ×14, first 2 shown]
	v_add_f64 v[6:7], v[6:7], s[34:35]
	s_mov_b32 s34, 0x652b82fe
	s_mov_b32 s35, 0xbff71547
	v_mul_f64 v[10:11], v[1:2], s[34:35]
	s_mov_b32 s34, 0x8fada5c6
	s_mov_b32 s35, 0xbe978052
	v_fma_f64 v[8:9], v[3:4], v[6:7], -v[8:9]
	v_rndne_f64_e32 v[10:11], v[10:11]
	v_add_f64 v[8:9], v[8:9], s[34:35]
	s_mov_b32 s34, 0xfefa39ef
	s_mov_b32 s35, 0xbfe62e42
	v_fma_f64 v[12:13], v[10:11], s[34:35], -v[1:2]
	s_mov_b32 s34, 0x3b39803f
	s_mov_b32 s35, 0xbc7abc9e
	v_fma_f64 v[6:7], v[3:4], v[8:9], -v[6:7]
	v_fma_f64 v[12:13], v[10:11], s[34:35], v[12:13]
	s_mov_b32 s34, 0x1752d1b6
	s_mov_b32 s35, 0x3ec42fe3
	v_add_f64 v[6:7], v[6:7], s[34:35]
	s_mov_b32 s34, 0xfca7ab0c
	s_mov_b32 s35, 0x3e928af3
	v_fma_f64 v[14:15], v[12:13], s[36:37], s[34:35]
	s_mov_b32 s34, 0x623fde64
	s_mov_b32 s35, 0x3ec71dee
	v_fma_f64 v[8:9], v[3:4], v[6:7], -v[8:9]
	v_fma_f64 v[14:15], v[12:13], v[14:15], s[34:35]
	s_mov_b32 s34, 0x1dcdb2e5
	s_mov_b32 s35, 0xbef44d71
	v_add_f64 v[8:9], v[8:9], s[34:35]
	s_mov_b32 s34, 0x7c89e6b0
	s_mov_b32 s35, 0x3efa0199
	v_fma_f64 v[14:15], v[12:13], v[14:15], s[34:35]
	;; [unrolled: 10-line block ×5, first 2 shown]
	s_mov_b32 s34, 0xaa062c8a
	s_mov_b32 s35, 0x4005c3d7
	v_fma_f64 v[3:4], v[3:4], v[6:7], -v[8:9]
	v_fma_f64 v[6:7], v[22:23], v[18:19], v[20:21]
	v_cvt_i32_f64_e32 v22, v[10:11]
	v_fma_f64 v[14:15], v[12:13], v[14:15], 1.0
	v_add_f64 v[3:4], v[3:4], s[34:35]
	v_fma_f64 v[20:21], -v[6:7], v[6:7], v[16:17]
	v_fma_f64 v[10:11], v[12:13], v[14:15], 1.0
	v_add_f64 v[3:4], v[3:4], -v[8:9]
	v_fma_f64 v[6:7], v[20:21], v[18:19], v[6:7]
	v_ldexp_f64 v[8:9], v[10:11], v22
	v_mul_f64 v[1:2], v[3:4], 0.5
	v_cndmask_b32_e64 v3, 0, 0xffffff80, vcc_lo
	v_cmp_class_f64_e64 vcc_lo, v[16:17], 0x260
	v_ldexp_f64 v[3:4], v[6:7], v3
	v_cndmask_b32_e64 v7, 0, v9, s0
	v_cndmask_b32_e64 v6, 0, v8, s0
	v_mul_f64 v[1:2], v[6:7], v[1:2]
	v_cndmask_b32_e32 v4, v4, v17, vcc_lo
	v_cndmask_b32_e32 v3, v3, v16, vcc_lo
	v_div_scale_f64 v[6:7], null, v[3:4], v[3:4], v[1:2]
	v_rcp_f64_e32 v[8:9], v[6:7]
	v_fma_f64 v[10:11], -v[6:7], v[8:9], 1.0
	v_fma_f64 v[8:9], v[8:9], v[10:11], v[8:9]
	v_fma_f64 v[10:11], -v[6:7], v[8:9], 1.0
	v_fma_f64 v[8:9], v[8:9], v[10:11], v[8:9]
	v_div_scale_f64 v[10:11], vcc_lo, v[1:2], v[3:4], v[1:2]
	v_mul_f64 v[12:13], v[10:11], v[8:9]
	v_fma_f64 v[6:7], -v[6:7], v[12:13], v[10:11]
	v_div_fmas_f64 v[6:7], v[6:7], v[8:9], v[12:13]
	v_div_fixup_f64 v[3:4], v[6:7], v[3:4], v[1:2]
.LBB7_144:
	s_or_b32 exec_lo, exec_lo, s1
.LBB7_145:
	s_or_b32 exec_lo, exec_lo, s21
.LBB7_146:
	s_or_b32 exec_lo, exec_lo, s20
	v_add_nc_u32_e32 v5, 0x80, v5
	global_store_dwordx2 v0, v[3:4], s[4:5]
	s_or_b32 exec_lo, exec_lo, s30
	s_mov_b32 s30, exec_lo
	v_cmpx_gt_i32_e64 s27, v5
	s_cbranch_execnz .LBB7_124
.LBB7_147:
	s_or_b32 exec_lo, exec_lo, s30
	s_mov_b32 s20, exec_lo
	v_cmpx_gt_i32_e64 s27, v5
	s_cbranch_execnz .LBB7_166
.LBB7_148:
	s_or_b32 exec_lo, exec_lo, s20
                                        ; implicit-def: $vgpr9
                                        ; implicit-def: $vgpr5
	s_andn2_saveexec_b32 s0, s25
	s_cbranch_execnz .LBB7_8
.LBB7_149:
	s_endpgm
.LBB7_150:
	v_mov_b32_e32 v0, 0
	v_mov_b32_e32 v2, 0
	;; [unrolled: 1-line block ×3, first 2 shown]
	s_mov_b32 s31, 0
.LBB7_151:
	s_and_b32 s33, s33, 3
	s_cmp_eq_u32 s33, 0
	s_cbranch_scc1 .LBB7_154
; %bb.152:
	s_lshl_b32 s0, s31, 3
	s_mul_i32 s20, s31, 12
	s_add_u32 s0, s2, s0
	s_addc_u32 s1, s3, 0
	s_add_u32 s0, s0, 0xc4
	s_addc_u32 s1, s1, 0
	;; [unrolled: 2-line block ×3, first 2 shown]
	.p2align	6
.LBB7_153:                              ; =>This Inner Loop Header: Depth=1
	s_clause 0x1
	s_load_dwordx2 s[34:35], s[20:21], 0x4
	s_load_dword s31, s[20:21], 0xc
	s_load_dwordx2 s[36:37], s[0:1], 0x0
	s_add_u32 s20, s20, 12
	s_addc_u32 s21, s21, 0
	s_add_u32 s0, s0, 8
	s_addc_u32 s1, s1, 0
	s_add_i32 s33, s33, -1
	s_cmp_lg_u32 s33, 0
	s_waitcnt lgkmcnt(0)
	v_mul_hi_u32 v3, s35, v1
	v_add_nc_u32_e32 v3, v1, v3
	v_lshrrev_b32_e32 v4, s31, v3
	v_mul_lo_u32 v3, v4, s34
	v_sub_nc_u32_e32 v3, v1, v3
	v_mad_u64_u32 v[0:1], null, v3, s36, v[0:1]
	v_mad_u64_u32 v[2:3], null, v3, s37, v[2:3]
	v_mov_b32_e32 v1, v4
	s_cbranch_scc1 .LBB7_153
.LBB7_154:
	s_cbranch_execnz .LBB7_157
.LBB7_155:
	s_waitcnt lgkmcnt(0)
	v_mul_hi_u32 v0, s13, v5
	s_andn2_b32 vcc_lo, exec_lo, s26
	v_add_nc_u32_e32 v0, v5, v0
	v_lshrrev_b32_e32 v1, s14, v0
	v_mul_lo_u32 v0, v1, s12
	v_sub_nc_u32_e32 v2, v5, v0
	v_mul_lo_u32 v0, v2, s8
	v_mul_lo_u32 v2, v2, s9
	s_cbranch_vccnz .LBB7_157
; %bb.156:
	v_mul_hi_u32 v3, s16, v1
	v_add_nc_u32_e32 v3, v1, v3
	v_lshrrev_b32_e32 v3, s17, v3
	v_mul_lo_u32 v3, v3, s15
	v_sub_nc_u32_e32 v3, v1, v3
	v_mad_u64_u32 v[0:1], null, v3, s10, v[0:1]
	v_mad_u64_u32 v[2:3], null, v3, s11, v[2:3]
.LBB7_157:
	s_waitcnt lgkmcnt(0)
	global_load_dwordx2 v[1:2], v2, s[6:7]
	v_mov_b32_e32 v3, 0
	v_mov_b32_e32 v4, 0x7ff00000
	s_mov_b32 s20, exec_lo
	s_waitcnt vmcnt(0)
	v_cmpx_neq_f64_e32 0, v[1:2]
	s_cbranch_execz .LBB7_165
; %bb.158:
	v_mov_b32_e32 v3, 0
	v_mov_b32_e32 v4, 0x7ff80000
	s_mov_b32 s21, exec_lo
	v_cmpx_ngt_f64_e32 0, v[1:2]
	s_cbranch_execz .LBB7_164
; %bb.159:
                                        ; implicit-def: $vgpr3_vgpr4
	s_mov_b32 s0, exec_lo
	v_cmpx_ge_f64_e32 2.0, v[1:2]
	s_xor_b32 s31, exec_lo, s0
	s_cbranch_execz .LBB7_161
; %bb.160:
	v_fma_f64 v[3:4], v[1:2], 0.5, -2.0
	s_mov_b32 s0, 0xc38a0576
	s_mov_b32 s1, 0xbc7857d0
	;; [unrolled: 1-line block ×4, first 2 shown]
	v_mul_f64 v[10:11], v[1:2], 0.5
	v_fma_f64 v[26:27], v[1:2], v[1:2], -2.0
	s_mov_b32 s37, 0xbc603228
	s_mov_b32 s36, 0x3d3cda56
	;; [unrolled: 1-line block ×4, first 2 shown]
	v_fma_f64 v[6:7], v[3:4], s[34:35], s[0:1]
	s_mov_b32 s35, 0xbc499f2a
	s_mov_b32 s0, 0xe593bfac
	;; [unrolled: 1-line block ×3, first 2 shown]
	v_frexp_mant_f64_e32 v[12:13], v[10:11]
	v_frexp_exp_i32_f64_e32 v30, v[10:11]
	v_fma_f64 v[8:9], v[3:4], v[6:7], s[34:35]
	s_mov_b32 s34, 0x97eb07de
	s_mov_b32 s35, 0xbdd25103
	v_add_f64 v[8:9], v[8:9], s[0:1]
	s_mov_b32 s0, 0x7e0d1573
	s_mov_b32 s1, 0xbcd3eaaa
	v_fma_f64 v[6:7], v[3:4], v[8:9], -v[6:7]
	v_add_f64 v[6:7], v[6:7], s[0:1]
	s_mov_b32 s0, 0x615290c
	s_mov_b32 s1, 0x3d011d7f
	v_fma_f64 v[8:9], v[3:4], v[6:7], -v[8:9]
	;; [unrolled: 4-line block ×6, first 2 shown]
	v_add_f64 v[8:9], v[8:9], s[0:1]
	s_mov_b32 s1, 0x3fe55555
	s_mov_b32 s0, 0x55555555
	v_cmp_gt_f64_e32 vcc_lo, s[0:1], v[12:13]
	s_mov_b32 s0, 0x55555780
	v_fma_f64 v[6:7], v[3:4], v[8:9], -v[6:7]
	v_cndmask_b32_e64 v14, 0, 1, vcc_lo
	v_ldexp_f64 v[12:13], v[12:13], v14
	v_add_f64 v[6:7], v[6:7], s[34:35]
	s_mov_b32 s34, 0xb43fdf6c
	s_mov_b32 s35, 0x3df8ea34
	v_add_f64 v[14:15], v[12:13], 1.0
	v_add_f64 v[20:21], v[12:13], -1.0
	v_fma_f64 v[8:9], v[3:4], v[6:7], -v[8:9]
	v_rcp_f64_e32 v[16:17], v[14:15]
	v_add_f64 v[22:23], v[14:15], -1.0
	v_add_f64 v[8:9], v[8:9], s[34:35]
	s_mov_b32 s34, 0x28ea67e6
	s_mov_b32 s35, 0xbe20361b
	v_add_f64 v[12:13], v[12:13], -v[22:23]
	v_fma_f64 v[18:19], -v[14:15], v[16:17], 1.0
	v_fma_f64 v[6:7], v[3:4], v[8:9], -v[6:7]
	v_fma_f64 v[16:17], v[18:19], v[16:17], v[16:17]
	v_add_f64 v[6:7], v[6:7], s[34:35]
	s_mov_b32 s34, 0x2395010
	s_mov_b32 s35, 0x3e44258e
	v_fma_f64 v[18:19], -v[14:15], v[16:17], 1.0
	v_fma_f64 v[8:9], v[3:4], v[6:7], -v[8:9]
	v_fma_f64 v[16:17], v[18:19], v[16:17], v[16:17]
	v_add_f64 v[8:9], v[8:9], s[34:35]
	s_mov_b32 s34, 0x24b8c3e8
	s_mov_b32 s35, 0xbe67dd3e
	v_mul_f64 v[18:19], v[20:21], v[16:17]
	v_fma_f64 v[6:7], v[3:4], v[8:9], -v[6:7]
	v_mul_f64 v[24:25], v[14:15], v[18:19]
	v_add_f64 v[6:7], v[6:7], s[34:35]
	s_mov_b32 s34, 0xb347d108
	s_mov_b32 s35, 0x3e8ae344
	v_fma_f64 v[14:15], v[18:19], v[14:15], -v[24:25]
	v_fma_f64 v[8:9], v[3:4], v[6:7], -v[8:9]
	v_fma_f64 v[12:13], v[18:19], v[12:13], v[14:15]
	v_add_f64 v[8:9], v[8:9], s[34:35]
	s_mov_b32 s34, 0x7a0399e0
	s_mov_b32 s35, 0xbce5dd51
	v_fma_f64 v[28:29], v[26:27], s[36:37], s[34:35]
	s_mov_b32 s37, 0x3c603228
	s_mov_b32 s34, 0xddd0e045
	;; [unrolled: 1-line block ×3, first 2 shown]
	v_add_f64 v[14:15], v[24:25], v[12:13]
	v_fma_f64 v[6:7], v[3:4], v[8:9], -v[6:7]
	v_add_f64 v[22:23], v[20:21], -v[14:15]
	v_add_f64 v[24:25], v[14:15], -v[24:25]
	v_add_f64 v[6:7], v[6:7], s[38:39]
	s_mov_b32 s38, 0xd3d694fe
	s_mov_b32 s39, 0xbf2533ca
	v_add_f64 v[20:21], v[20:21], -v[22:23]
	v_add_f64 v[12:13], v[24:25], -v[12:13]
	v_fma_f64 v[8:9], v[3:4], v[6:7], -v[8:9]
	v_add_f64 v[14:15], v[20:21], -v[14:15]
	v_fma_f64 v[20:21], v[26:27], v[28:29], s[36:37]
	s_mov_b32 s36, 0xd511afc5
	s_mov_b32 s37, 0x3ecd1c4e
	v_add_f64 v[8:9], v[8:9], s[36:37]
	s_mov_b32 s36, 0xb8debbcf
	s_mov_b32 s37, 0xbeebd5f9
	v_add_f64 v[12:13], v[12:13], v[14:15]
	v_add_f64 v[14:15], v[20:21], s[34:35]
	s_mov_b32 s34, 0xb84626ca
	s_mov_b32 s35, 0xbde3663b
	v_fma_f64 v[6:7], v[3:4], v[8:9], -v[6:7]
	v_add_f64 v[12:13], v[22:23], v[12:13]
	v_fma_f64 v[20:21], v[26:27], v[14:15], -v[28:29]
	v_add_f64 v[6:7], v[6:7], s[36:37]
	s_mov_b32 s36, 0x42c70d0b
	s_mov_b32 s37, 0x3f0911b5
	v_mul_f64 v[12:13], v[16:17], v[12:13]
	v_add_f64 v[16:17], v[20:21], s[34:35]
	s_mov_b32 s34, 0x145c31d0
	s_mov_b32 s35, 0xbe57c41d
	v_fma_f64 v[8:9], v[3:4], v[6:7], -v[8:9]
	v_add_f64 v[20:21], v[18:19], v[12:13]
	v_fma_f64 v[14:15], v[26:27], v[16:17], -v[14:15]
	v_add_f64 v[8:9], v[8:9], s[36:37]
	s_mov_b32 s36, 0xbf559e2b
	s_mov_b32 s37, 0x3fc3ab76
	v_mul_f64 v[22:23], v[20:21], v[20:21]
	v_add_f64 v[14:15], v[14:15], s[34:35]
	s_mov_b32 s34, 0x6b47b09a
	s_mov_b32 s35, 0x3fc38538
	v_add_f64 v[18:19], v[20:21], -v[18:19]
	v_fma_f64 v[6:7], v[3:4], v[8:9], -v[6:7]
	v_fma_f64 v[24:25], v[22:23], s[36:37], s[34:35]
	v_fma_f64 v[16:17], v[26:27], v[14:15], -v[16:17]
	s_mov_b32 s34, 0x2c832e3a
	s_mov_b32 s35, 0xbec469b3
	;; [unrolled: 1-line block ×4, first 2 shown]
	v_mul_f64 v[28:29], v[20:21], v[22:23]
	v_add_f64 v[12:13], v[12:13], -v[18:19]
	v_add_f64 v[6:7], v[6:7], s[38:39]
	s_mov_b32 s38, 0xb6c6df7d
	s_mov_b32 s39, 0x3f40c95d
	v_fma_f64 v[24:25], v[22:23], v[24:25], s[36:37]
	v_add_f64 v[16:17], v[16:17], s[34:35]
	s_mov_b32 s34, 0x16291751
	s_mov_b32 s35, 0x3fcc71c0
	;; [unrolled: 1-line block ×4, first 2 shown]
	v_ldexp_f64 v[12:13], v[12:13], 1
	v_fma_f64 v[8:9], v[3:4], v[6:7], -v[8:9]
	v_fma_f64 v[24:25], v[22:23], v[24:25], s[34:35]
	v_fma_f64 v[14:15], v[26:27], v[16:17], -v[14:15]
	s_mov_b32 s34, 0xe5a3bd02
	s_mov_b32 s35, 0xbf26ade2
	v_add_f64 v[8:9], v[8:9], s[38:39]
	s_mov_b32 s38, 0xe7bb2349
	s_mov_b32 s39, 0x3f9951e3
	v_fma_f64 v[24:25], v[22:23], v[24:25], s[36:37]
	v_add_f64 v[14:15], v[14:15], s[34:35]
	s_mov_b32 s34, 0x998ef7b6
	s_mov_b32 s35, 0x3fd99999
	;; [unrolled: 1-line block ×4, first 2 shown]
	v_fma_f64 v[6:7], v[3:4], v[8:9], -v[6:7]
	v_fma_f64 v[24:25], v[22:23], v[24:25], s[34:35]
	v_fma_f64 v[16:17], v[26:27], v[14:15], -v[16:17]
	s_mov_b32 s34, 0x9d7d4192
	s_mov_b32 s35, 0xbf7c9293
	v_add_f64 v[6:7], v[6:7], s[36:37]
	s_mov_b32 s36, 0x49d3a1b4
	s_mov_b32 s37, 0x3f710653
	v_fma_f64 v[22:23], v[22:23], v[24:25], s[0:1]
	v_add_f64 v[16:17], v[16:17], s[34:35]
	v_ldexp_f64 v[24:25], v[20:21], 1
	s_mov_b32 s0, 0x43c1db74
	s_mov_b32 s1, 0xbfbf6372
	;; [unrolled: 1-line block ×4, first 2 shown]
	v_fma_f64 v[8:9], v[3:4], v[6:7], -v[8:9]
	v_mul_f64 v[22:23], v[28:29], v[22:23]
	v_fma_f64 v[14:15], v[26:27], v[16:17], -v[14:15]
	v_subrev_co_ci_u32_e64 v28, null, 0, v30, vcc_lo
	v_mul_f64 v[30:31], v[1:2], s[34:35]
	s_mov_b32 s34, 0x757b0dd4
	s_mov_b32 s35, 0xbfd69a1b
	v_cvt_f64_i32_e32 v[28:29], v28
	v_add_f64 v[8:9], v[8:9], s[36:37]
	s_mov_b32 s36, 0x7913a26a
	s_mov_b32 s37, 0xbf85a29f
	v_add_f64 v[20:21], v[24:25], v[22:23]
	v_add_f64 v[14:15], v[14:15], s[0:1]
	s_mov_b32 s1, 0x3fe62e42
	s_mov_b32 s0, 0xfefa39ef
	v_mul_f64 v[32:33], v[28:29], s[0:1]
	v_fma_f64 v[6:7], v[3:4], v[8:9], -v[6:7]
	v_add_f64 v[18:19], v[20:21], -v[24:25]
	v_fma_f64 v[16:17], v[26:27], v[14:15], -v[16:17]
	v_rndne_f64_e32 v[24:25], v[30:31]
	v_fma_f64 v[30:31], v[28:29], s[0:1], -v[32:33]
	s_mov_b32 s1, 0xbfe62e42
	v_add_f64 v[6:7], v[6:7], s[36:37]
	s_mov_b32 s36, 0x6a5dcb37
	s_mov_b32 s37, 0x3e5ade15
	v_add_f64 v[18:19], v[22:23], -v[18:19]
	v_add_f64 v[16:17], v[16:17], s[34:35]
	v_fma_f64 v[22:23], v[24:25], s[0:1], v[1:2]
	s_mov_b32 s1, 0x3c7abc9e
	s_mov_b32 s0, 0x3b39803f
	;; [unrolled: 1-line block ×4, first 2 shown]
	v_fma_f64 v[28:29], v[28:29], s[0:1], v[30:31]
	s_mov_b32 s1, 0xbc7abc9e
	v_fma_f64 v[8:9], v[3:4], v[6:7], -v[8:9]
	v_add_f64 v[12:13], v[12:13], v[18:19]
	v_fma_f64 v[16:17], v[26:27], v[16:17], -v[14:15]
	v_fma_f64 v[18:19], v[24:25], s[0:1], v[22:23]
	s_mov_b32 s0, 0x361008ca
	s_mov_b32 s1, 0x3ff867a1
	v_add_f64 v[22:23], v[32:33], v[28:29]
	v_add_f64 v[8:9], v[8:9], s[38:39]
	;; [unrolled: 1-line block ×4, first 2 shown]
	v_fma_f64 v[30:31], v[18:19], s[36:37], s[34:35]
	s_mov_b32 s0, 0x623fde64
	s_mov_b32 s1, 0x3ec71dee
	;; [unrolled: 1-line block ×4, first 2 shown]
	v_add_f64 v[32:33], v[22:23], -v[32:33]
	v_fma_f64 v[6:7], v[3:4], v[8:9], -v[6:7]
	v_add_f64 v[34:35], v[22:23], v[26:27]
	v_add_f64 v[14:15], v[16:17], -v[14:15]
	v_fma_f64 v[30:31], v[18:19], v[30:31], s[0:1]
	s_mov_b32 s0, 0x7c89e6b0
	s_mov_b32 s1, 0x3efa0199
	v_add_f64 v[20:21], v[26:27], -v[20:21]
	v_add_f64 v[28:29], v[28:29], -v[32:33]
	v_add_f64 v[6:7], v[6:7], s[34:35]
	s_mov_b32 s34, 0xd536f53c
	s_mov_b32 s35, 0x3fba46da
	v_add_f64 v[16:17], v[34:35], -v[22:23]
	v_mul_f64 v[14:15], v[14:15], 0.5
	v_fma_f64 v[30:31], v[18:19], v[30:31], s[0:1]
	s_mov_b32 s0, 0x14761f6e
	s_mov_b32 s1, 0x3f2a01a0
	v_add_f64 v[12:13], v[12:13], -v[20:21]
	v_fma_f64 v[8:9], v[3:4], v[6:7], -v[8:9]
	v_add_f64 v[36:37], v[34:35], -v[16:17]
	v_div_scale_f64 v[38:39], null, v[1:2], v[1:2], v[14:15]
	v_fma_f64 v[30:31], v[18:19], v[30:31], s[0:1]
	s_mov_b32 s0, 0x1852b7b0
	s_mov_b32 s1, 0x3f56c16c
	v_add_f64 v[16:17], v[26:27], -v[16:17]
	v_add_f64 v[8:9], v[8:9], s[34:35]
	s_mov_b32 s34, 0x469192e
	s_mov_b32 s35, 0xbfc694d1
	v_add_f64 v[20:21], v[22:23], -v[36:37]
	v_rcp_f64_e32 v[26:27], v[38:39]
	v_fma_f64 v[22:23], v[18:19], v[30:31], s[0:1]
	s_mov_b32 s0, 0x11122322
	s_mov_b32 s1, 0x3f811111
	v_add_f64 v[30:31], v[28:29], v[12:13]
	v_fma_f64 v[6:7], v[3:4], v[8:9], -v[6:7]
	v_add_f64 v[16:17], v[16:17], v[20:21]
	v_fma_f64 v[20:21], v[18:19], v[22:23], s[0:1]
	v_fma_f64 v[22:23], -v[38:39], v[26:27], 1.0
	s_mov_b32 s0, 0x555502a1
	s_mov_b32 s1, 0x3fa55555
	v_add_f64 v[32:33], v[30:31], -v[28:29]
	v_add_f64 v[6:7], v[6:7], s[34:35]
	s_mov_b32 s34, 0x724a7ffa
	s_mov_b32 s35, 0x3fd02a63
	v_add_f64 v[16:17], v[30:31], v[16:17]
	v_fma_f64 v[20:21], v[18:19], v[20:21], s[0:1]
	v_fma_f64 v[22:23], v[26:27], v[22:23], v[26:27]
	s_mov_b32 s0, 0x55555511
	s_mov_b32 s1, 0x3fc55555
	v_add_f64 v[26:27], v[30:31], -v[32:33]
	v_add_f64 v[12:13], v[12:13], -v[32:33]
	v_div_scale_f64 v[32:33], vcc_lo, v[14:15], v[1:2], v[14:15]
	v_fma_f64 v[3:4], v[3:4], v[6:7], -v[8:9]
	v_add_f64 v[30:31], v[34:35], v[16:17]
	v_fma_f64 v[20:21], v[18:19], v[20:21], s[0:1]
	v_fma_f64 v[6:7], -v[38:39], v[22:23], 1.0
	s_mov_b32 s0, 11
	s_mov_b32 s1, 0x3fe00000
	v_add_f64 v[26:27], v[28:29], -v[26:27]
	v_add_f64 v[3:4], v[3:4], s[34:35]
	v_add_f64 v[28:29], v[30:31], -v[34:35]
	v_fma_f64 v[20:21], v[18:19], v[20:21], s[0:1]
	v_fma_f64 v[6:7], v[22:23], v[6:7], v[22:23]
	v_cvt_i32_f64_e32 v22, v[24:25]
	v_cmp_neq_f64_e64 s0, 0, v[10:11]
	v_add_f64 v[12:13], v[12:13], v[26:27]
	v_add_f64 v[3:4], v[3:4], -v[8:9]
	v_add_f64 v[16:17], v[16:17], -v[28:29]
	v_fma_f64 v[20:21], v[18:19], v[20:21], 1.0
	v_mul_f64 v[8:9], v[32:33], v[6:7]
	v_mul_f64 v[3:4], v[3:4], 0.5
	v_add_f64 v[12:13], v[12:13], v[16:17]
	v_fma_f64 v[16:17], v[18:19], v[20:21], 1.0
	v_fma_f64 v[18:19], -v[38:39], v[8:9], v[32:33]
	v_mul_f64 v[3:4], v[1:2], v[3:4]
	v_add_f64 v[12:13], v[30:31], v[12:13]
	v_ldexp_f64 v[16:17], v[16:17], v22
	v_div_fmas_f64 v[6:7], v[18:19], v[6:7], v[8:9]
	v_cmp_neq_f64_e32 vcc_lo, 0x7ff00000, v[10:11]
	v_mul_f64 v[3:4], v[16:17], v[3:4]
	v_div_fixup_f64 v[1:2], v[6:7], v[1:2], v[14:15]
	v_cndmask_b32_e32 v8, 0x7ff00000, v13, vcc_lo
	s_and_b32 vcc_lo, s0, vcc_lo
	v_cndmask_b32_e32 v6, 0, v12, vcc_lo
	v_cndmask_b32_e64 v7, 0xfff00000, v8, s0
	v_fma_f64 v[3:4], v[6:7], v[3:4], v[1:2]
                                        ; implicit-def: $vgpr1_vgpr2
.LBB7_161:
	s_andn2_saveexec_b32 s1, s31
	s_cbranch_execz .LBB7_163
; %bb.162:
	v_div_scale_f64 v[3:4], null, v[1:2], v[1:2], 0x40200000
	v_div_scale_f64 v[10:11], vcc_lo, 0x40200000, v[1:2], 0x40200000
	s_mov_b32 s34, 0x838f5ed3
	s_mov_b32 s35, 0x3c74af1a
	;; [unrolled: 1-line block ×4, first 2 shown]
	v_cmp_nlt_f64_e64 s0, 0x4090cc00, v[1:2]
	v_rcp_f64_e32 v[6:7], v[3:4]
	v_fma_f64 v[8:9], -v[3:4], v[6:7], 1.0
	v_fma_f64 v[6:7], v[6:7], v[8:9], v[6:7]
	v_fma_f64 v[8:9], -v[3:4], v[6:7], 1.0
	v_fma_f64 v[6:7], v[6:7], v[8:9], v[6:7]
	v_mul_f64 v[8:9], v[10:11], v[6:7]
	v_fma_f64 v[3:4], -v[3:4], v[8:9], v[10:11]
	v_div_fmas_f64 v[3:4], v[3:4], v[6:7], v[8:9]
	v_cmp_gt_f64_e32 vcc_lo, 0x10000000, v[1:2]
	v_div_fixup_f64 v[3:4], v[3:4], v[1:2], 0x40200000
	v_cndmask_b32_e64 v16, 0, 0x100, vcc_lo
	v_ldexp_f64 v[16:17], v[1:2], v16
	v_add_f64 v[3:4], v[3:4], -2.0
	v_rsq_f64_e32 v[18:19], v[16:17]
	v_fma_f64 v[6:7], v[3:4], s[36:37], s[34:35]
	s_mov_b32 s37, 0x3c5a8c5d
	s_mov_b32 s34, 0x17771d52
	;; [unrolled: 1-line block ×3, first 2 shown]
	v_mul_f64 v[20:21], v[16:17], v[18:19]
	v_mul_f64 v[18:19], v[18:19], 0.5
	v_fma_f64 v[8:9], v[3:4], v[6:7], s[36:37]
	s_mov_b32 s36, 0x6a5dcb37
	s_mov_b32 s37, 0x3e5ade15
	v_fma_f64 v[22:23], -v[18:19], v[20:21], 0.5
	v_add_f64 v[8:9], v[8:9], s[34:35]
	s_mov_b32 s34, 0x44ee2c0b
	s_mov_b32 s35, 0x3caa7d5e
	v_fma_f64 v[20:21], v[20:21], v[22:23], v[20:21]
	v_fma_f64 v[18:19], v[18:19], v[22:23], v[18:19]
	v_fma_f64 v[6:7], v[3:4], v[8:9], -v[6:7]
	v_fma_f64 v[22:23], -v[20:21], v[20:21], v[16:17]
	v_add_f64 v[6:7], v[6:7], s[34:35]
	s_mov_b32 s34, 0xd8758ef2
	s_mov_b32 s35, 0xbcc5d2a3
	v_fma_f64 v[8:9], v[3:4], v[6:7], -v[8:9]
	v_add_f64 v[8:9], v[8:9], s[34:35]
	s_mov_b32 s34, 0xefee81bd
	s_mov_b32 s35, 0x3ce25ced
	v_fma_f64 v[6:7], v[3:4], v[8:9], -v[6:7]
	;; [unrolled: 4-line block ×14, first 2 shown]
	v_add_f64 v[6:7], v[6:7], s[34:35]
	s_mov_b32 s34, 0x652b82fe
	s_mov_b32 s35, 0xbff71547
	v_mul_f64 v[10:11], v[1:2], s[34:35]
	s_mov_b32 s34, 0x8fada5c6
	s_mov_b32 s35, 0xbe978052
	v_fma_f64 v[8:9], v[3:4], v[6:7], -v[8:9]
	v_rndne_f64_e32 v[10:11], v[10:11]
	v_add_f64 v[8:9], v[8:9], s[34:35]
	s_mov_b32 s34, 0xfefa39ef
	s_mov_b32 s35, 0xbfe62e42
	v_fma_f64 v[12:13], v[10:11], s[34:35], -v[1:2]
	s_mov_b32 s34, 0x3b39803f
	s_mov_b32 s35, 0xbc7abc9e
	v_fma_f64 v[6:7], v[3:4], v[8:9], -v[6:7]
	v_fma_f64 v[12:13], v[10:11], s[34:35], v[12:13]
	s_mov_b32 s34, 0x1752d1b6
	s_mov_b32 s35, 0x3ec42fe3
	v_add_f64 v[6:7], v[6:7], s[34:35]
	s_mov_b32 s34, 0xfca7ab0c
	s_mov_b32 s35, 0x3e928af3
	v_fma_f64 v[14:15], v[12:13], s[36:37], s[34:35]
	s_mov_b32 s34, 0x623fde64
	s_mov_b32 s35, 0x3ec71dee
	v_fma_f64 v[8:9], v[3:4], v[6:7], -v[8:9]
	v_fma_f64 v[14:15], v[12:13], v[14:15], s[34:35]
	s_mov_b32 s34, 0x1dcdb2e5
	s_mov_b32 s35, 0xbef44d71
	v_add_f64 v[8:9], v[8:9], s[34:35]
	s_mov_b32 s34, 0x7c89e6b0
	s_mov_b32 s35, 0x3efa0199
	v_fma_f64 v[14:15], v[12:13], v[14:15], s[34:35]
	;; [unrolled: 10-line block ×5, first 2 shown]
	s_mov_b32 s34, 0xaa062c8a
	s_mov_b32 s35, 0x4005c3d7
	v_fma_f64 v[3:4], v[3:4], v[6:7], -v[8:9]
	v_fma_f64 v[6:7], v[22:23], v[18:19], v[20:21]
	v_cvt_i32_f64_e32 v22, v[10:11]
	v_fma_f64 v[14:15], v[12:13], v[14:15], 1.0
	v_add_f64 v[3:4], v[3:4], s[34:35]
	v_fma_f64 v[20:21], -v[6:7], v[6:7], v[16:17]
	v_fma_f64 v[10:11], v[12:13], v[14:15], 1.0
	v_add_f64 v[3:4], v[3:4], -v[8:9]
	v_fma_f64 v[6:7], v[20:21], v[18:19], v[6:7]
	v_ldexp_f64 v[8:9], v[10:11], v22
	v_mul_f64 v[1:2], v[3:4], 0.5
	v_cndmask_b32_e64 v3, 0, 0xffffff80, vcc_lo
	v_cmp_class_f64_e64 vcc_lo, v[16:17], 0x260
	v_ldexp_f64 v[3:4], v[6:7], v3
	v_cndmask_b32_e64 v7, 0, v9, s0
	v_cndmask_b32_e64 v6, 0, v8, s0
	v_mul_f64 v[1:2], v[6:7], v[1:2]
	v_cndmask_b32_e32 v4, v4, v17, vcc_lo
	v_cndmask_b32_e32 v3, v3, v16, vcc_lo
	v_div_scale_f64 v[6:7], null, v[3:4], v[3:4], v[1:2]
	v_rcp_f64_e32 v[8:9], v[6:7]
	v_fma_f64 v[10:11], -v[6:7], v[8:9], 1.0
	v_fma_f64 v[8:9], v[8:9], v[10:11], v[8:9]
	v_fma_f64 v[10:11], -v[6:7], v[8:9], 1.0
	v_fma_f64 v[8:9], v[8:9], v[10:11], v[8:9]
	v_div_scale_f64 v[10:11], vcc_lo, v[1:2], v[3:4], v[1:2]
	v_mul_f64 v[12:13], v[10:11], v[8:9]
	v_fma_f64 v[6:7], -v[6:7], v[12:13], v[10:11]
	v_div_fmas_f64 v[6:7], v[6:7], v[8:9], v[12:13]
	v_div_fixup_f64 v[3:4], v[6:7], v[3:4], v[1:2]
.LBB7_163:
	s_or_b32 exec_lo, exec_lo, s1
.LBB7_164:
	s_or_b32 exec_lo, exec_lo, s21
.LBB7_165:
	s_or_b32 exec_lo, exec_lo, s20
	v_add_nc_u32_e32 v5, 0x80, v5
	global_store_dwordx2 v0, v[3:4], s[4:5]
	s_or_b32 exec_lo, exec_lo, s30
	s_mov_b32 s20, exec_lo
	v_cmpx_gt_i32_e64 s27, v5
	s_cbranch_execz .LBB7_148
.LBB7_166:
	s_andn2_b32 vcc_lo, exec_lo, s24
	s_cbranch_vccnz .LBB7_171
; %bb.167:
	s_andn2_b32 vcc_lo, exec_lo, s29
	s_cbranch_vccnz .LBB7_172
; %bb.168:
	s_add_i32 s28, s28, 1
	s_cmp_eq_u32 s23, 2
	s_cbranch_scc1 .LBB7_173
; %bb.169:
	v_mov_b32_e32 v2, 0
	v_mov_b32_e32 v0, 0
	;; [unrolled: 1-line block ×3, first 2 shown]
	s_and_b32 s21, s28, 28
	s_mov_b32 s27, 0
	s_mov_b64 s[0:1], s[2:3]
.LBB7_170:                              ; =>This Inner Loop Header: Depth=1
	s_clause 0x1
	s_load_dwordx8 s[36:43], s[0:1], 0x4
	s_load_dwordx4 s[52:55], s[0:1], 0x24
	s_load_dwordx8 s[44:51], s[18:19], 0x0
	s_add_u32 s0, s0, 48
	s_addc_u32 s1, s1, 0
	s_add_i32 s27, s27, 4
	s_add_u32 s18, s18, 32
	s_addc_u32 s19, s19, 0
	s_cmp_eq_u32 s21, s27
	s_waitcnt lgkmcnt(0)
	v_mul_hi_u32 v3, s37, v1
	v_add_nc_u32_e32 v3, v1, v3
	v_lshrrev_b32_e32 v3, s38, v3
	v_mul_hi_u32 v4, s40, v3
	v_mul_lo_u32 v7, v3, s36
	v_add_nc_u32_e32 v4, v3, v4
	v_sub_nc_u32_e32 v1, v1, v7
	v_lshrrev_b32_e32 v4, s41, v4
	v_mul_lo_u32 v7, v1, s44
	v_mul_lo_u32 v9, v1, s45
	v_mul_hi_u32 v6, s43, v4
	v_add_nc_u32_e32 v6, v4, v6
	v_lshrrev_b32_e32 v6, s52, v6
	v_mul_hi_u32 v8, s54, v6
	v_mul_lo_u32 v10, v6, s42
	v_add_nc_u32_e32 v1, v6, v8
	v_mul_lo_u32 v8, v4, s39
	v_sub_nc_u32_e32 v4, v4, v10
	v_lshrrev_b32_e32 v1, s55, v1
	v_mul_lo_u32 v10, v4, s48
	v_mul_lo_u32 v4, v4, s49
	v_sub_nc_u32_e32 v3, v3, v8
	v_mul_lo_u32 v11, v1, s53
	v_mul_lo_u32 v8, v3, s46
	;; [unrolled: 1-line block ×3, first 2 shown]
	v_sub_nc_u32_e32 v6, v6, v11
	v_add3_u32 v0, v7, v0, v8
	v_mul_lo_u32 v11, v6, s50
	v_mul_lo_u32 v6, v6, s51
	v_add3_u32 v2, v9, v2, v3
	v_add3_u32 v0, v10, v0, v11
	;; [unrolled: 1-line block ×3, first 2 shown]
	s_cbranch_scc0 .LBB7_170
	s_branch .LBB7_174
.LBB7_171:
                                        ; implicit-def: $vgpr0
                                        ; implicit-def: $vgpr2
	s_branch .LBB7_178
.LBB7_172:
	v_mov_b32_e32 v0, 0
	v_mov_b32_e32 v2, 0
	s_branch .LBB7_177
.LBB7_173:
	v_mov_b32_e32 v0, 0
	v_mov_b32_e32 v2, 0
	;; [unrolled: 1-line block ×3, first 2 shown]
	s_mov_b32 s21, 0
.LBB7_174:
	s_and_b32 s27, s28, 3
	s_cmp_eq_u32 s27, 0
	s_cbranch_scc1 .LBB7_177
; %bb.175:
	s_lshl_b32 s0, s21, 3
	s_mul_i32 s18, s21, 12
	s_add_u32 s0, s2, s0
	s_addc_u32 s1, s3, 0
	s_add_u32 s0, s0, 0xc4
	s_addc_u32 s1, s1, 0
	;; [unrolled: 2-line block ×3, first 2 shown]
	.p2align	6
.LBB7_176:                              ; =>This Inner Loop Header: Depth=1
	s_clause 0x1
	s_load_dwordx2 s[28:29], s[18:19], 0x4
	s_load_dword s21, s[18:19], 0xc
	s_load_dwordx2 s[30:31], s[0:1], 0x0
	s_add_u32 s18, s18, 12
	s_addc_u32 s19, s19, 0
	s_add_u32 s0, s0, 8
	s_addc_u32 s1, s1, 0
	s_add_i32 s27, s27, -1
	s_cmp_lg_u32 s27, 0
	s_waitcnt lgkmcnt(0)
	v_mul_hi_u32 v3, s29, v1
	v_add_nc_u32_e32 v3, v1, v3
	v_lshrrev_b32_e32 v4, s21, v3
	v_mul_lo_u32 v3, v4, s28
	v_sub_nc_u32_e32 v3, v1, v3
	v_mad_u64_u32 v[0:1], null, v3, s30, v[0:1]
	v_mad_u64_u32 v[2:3], null, v3, s31, v[2:3]
	v_mov_b32_e32 v1, v4
	s_cbranch_scc1 .LBB7_176
.LBB7_177:
	s_cbranch_execnz .LBB7_180
.LBB7_178:
	s_waitcnt lgkmcnt(0)
	v_mul_hi_u32 v0, s13, v5
	s_andn2_b32 vcc_lo, exec_lo, s26
	v_add_nc_u32_e32 v0, v5, v0
	v_lshrrev_b32_e32 v1, s14, v0
	v_mul_lo_u32 v0, v1, s12
	v_sub_nc_u32_e32 v2, v5, v0
	v_mul_lo_u32 v0, v2, s8
	v_mul_lo_u32 v2, v2, s9
	s_cbranch_vccnz .LBB7_180
; %bb.179:
	v_mul_hi_u32 v3, s16, v1
	v_add_nc_u32_e32 v3, v1, v3
	v_lshrrev_b32_e32 v3, s17, v3
	v_mul_lo_u32 v3, v3, s15
	v_sub_nc_u32_e32 v3, v1, v3
	v_mad_u64_u32 v[0:1], null, v3, s10, v[0:1]
	v_mad_u64_u32 v[2:3], null, v3, s11, v[2:3]
.LBB7_180:
	s_waitcnt lgkmcnt(0)
	global_load_dwordx2 v[1:2], v2, s[6:7]
	v_mov_b32_e32 v3, 0
	v_mov_b32_e32 v4, 0x7ff00000
	s_mov_b32 s6, exec_lo
	s_waitcnt vmcnt(0)
	v_cmpx_neq_f64_e32 0, v[1:2]
	s_cbranch_execz .LBB7_188
; %bb.181:
	v_mov_b32_e32 v3, 0
	v_mov_b32_e32 v4, 0x7ff80000
	s_mov_b32 s7, exec_lo
	v_cmpx_ngt_f64_e32 0, v[1:2]
	s_cbranch_execz .LBB7_187
; %bb.182:
                                        ; implicit-def: $vgpr3_vgpr4
	s_mov_b32 s0, exec_lo
	v_cmpx_ge_f64_e32 2.0, v[1:2]
	s_xor_b32 s8, exec_lo, s0
	s_cbranch_execz .LBB7_184
; %bb.183:
	v_fma_f64 v[3:4], v[1:2], 0.5, -2.0
	s_mov_b32 s0, 0xc38a0576
	s_mov_b32 s1, 0xbc7857d0
	;; [unrolled: 1-line block ×4, first 2 shown]
	v_mul_f64 v[9:10], v[1:2], 0.5
	v_fma_f64 v[25:26], v[1:2], v[1:2], -2.0
	s_mov_b32 s13, 0xbc603228
	s_mov_b32 s12, 0x3d3cda56
	;; [unrolled: 1-line block ×4, first 2 shown]
	v_fma_f64 v[5:6], v[3:4], s[10:11], s[0:1]
	s_mov_b32 s11, 0xbc499f2a
	s_mov_b32 s0, 0xe593bfac
	;; [unrolled: 1-line block ×3, first 2 shown]
	v_frexp_mant_f64_e32 v[11:12], v[9:10]
	v_frexp_exp_i32_f64_e32 v29, v[9:10]
	v_fma_f64 v[7:8], v[3:4], v[5:6], s[10:11]
	s_mov_b32 s10, 0x97eb07de
	s_mov_b32 s11, 0xbdd25103
	v_add_f64 v[7:8], v[7:8], s[0:1]
	s_mov_b32 s0, 0x7e0d1573
	s_mov_b32 s1, 0xbcd3eaaa
	v_fma_f64 v[5:6], v[3:4], v[7:8], -v[5:6]
	v_add_f64 v[5:6], v[5:6], s[0:1]
	s_mov_b32 s0, 0x615290c
	s_mov_b32 s1, 0x3d011d7f
	v_fma_f64 v[7:8], v[3:4], v[5:6], -v[7:8]
	v_add_f64 v[7:8], v[7:8], s[0:1]
	s_mov_b32 s0, 0x1c8f0b3b
	s_mov_b32 s1, 0xbd2c628e
	v_fma_f64 v[5:6], v[3:4], v[7:8], -v[5:6]
	v_add_f64 v[5:6], v[5:6], s[0:1]
	s_mov_b32 s0, 0x4779d955
	s_mov_b32 s1, 0x3d56af78
	v_fma_f64 v[7:8], v[3:4], v[5:6], -v[7:8]
	v_add_f64 v[7:8], v[7:8], s[0:1]
	s_mov_b32 s0, 0x5fb70366
	s_mov_b32 s1, 0xbd817383
	v_fma_f64 v[5:6], v[3:4], v[7:8], -v[5:6]
	v_add_f64 v[5:6], v[5:6], s[0:1]
	s_mov_b32 s0, 0xb21d3154
	s_mov_b32 s1, 0x3da9cee2
	v_fma_f64 v[7:8], v[3:4], v[5:6], -v[7:8]
	v_add_f64 v[7:8], v[7:8], s[0:1]
	s_mov_b32 s1, 0x3fe55555
	s_mov_b32 s0, 0x55555555
	v_cmp_gt_f64_e32 vcc_lo, s[0:1], v[11:12]
	s_mov_b32 s0, 0x55555780
	v_fma_f64 v[5:6], v[3:4], v[7:8], -v[5:6]
	v_cndmask_b32_e64 v13, 0, 1, vcc_lo
	v_ldexp_f64 v[11:12], v[11:12], v13
	v_add_f64 v[5:6], v[5:6], s[10:11]
	s_mov_b32 s10, 0xb43fdf6c
	s_mov_b32 s11, 0x3df8ea34
	v_add_f64 v[13:14], v[11:12], 1.0
	v_add_f64 v[19:20], v[11:12], -1.0
	v_fma_f64 v[7:8], v[3:4], v[5:6], -v[7:8]
	v_rcp_f64_e32 v[15:16], v[13:14]
	v_add_f64 v[21:22], v[13:14], -1.0
	v_add_f64 v[7:8], v[7:8], s[10:11]
	s_mov_b32 s10, 0x28ea67e6
	s_mov_b32 s11, 0xbe20361b
	v_add_f64 v[11:12], v[11:12], -v[21:22]
	v_fma_f64 v[17:18], -v[13:14], v[15:16], 1.0
	v_fma_f64 v[5:6], v[3:4], v[7:8], -v[5:6]
	v_fma_f64 v[15:16], v[17:18], v[15:16], v[15:16]
	v_add_f64 v[5:6], v[5:6], s[10:11]
	s_mov_b32 s10, 0x2395010
	s_mov_b32 s11, 0x3e44258e
	v_fma_f64 v[17:18], -v[13:14], v[15:16], 1.0
	v_fma_f64 v[7:8], v[3:4], v[5:6], -v[7:8]
	v_fma_f64 v[15:16], v[17:18], v[15:16], v[15:16]
	v_add_f64 v[7:8], v[7:8], s[10:11]
	s_mov_b32 s10, 0x24b8c3e8
	s_mov_b32 s11, 0xbe67dd3e
	v_mul_f64 v[17:18], v[19:20], v[15:16]
	v_fma_f64 v[5:6], v[3:4], v[7:8], -v[5:6]
	v_mul_f64 v[23:24], v[13:14], v[17:18]
	v_add_f64 v[5:6], v[5:6], s[10:11]
	s_mov_b32 s10, 0xb347d108
	s_mov_b32 s11, 0x3e8ae344
	v_fma_f64 v[13:14], v[17:18], v[13:14], -v[23:24]
	v_fma_f64 v[7:8], v[3:4], v[5:6], -v[7:8]
	v_fma_f64 v[11:12], v[17:18], v[11:12], v[13:14]
	v_add_f64 v[7:8], v[7:8], s[10:11]
	s_mov_b32 s10, 0x7a0399e0
	s_mov_b32 s11, 0xbce5dd51
	v_fma_f64 v[27:28], v[25:26], s[12:13], s[10:11]
	s_mov_b32 s13, 0x3c603228
	s_mov_b32 s10, 0xddd0e045
	;; [unrolled: 1-line block ×3, first 2 shown]
	v_add_f64 v[13:14], v[23:24], v[11:12]
	v_fma_f64 v[5:6], v[3:4], v[7:8], -v[5:6]
	v_add_f64 v[21:22], v[19:20], -v[13:14]
	v_add_f64 v[23:24], v[13:14], -v[23:24]
	v_add_f64 v[5:6], v[5:6], s[14:15]
	s_mov_b32 s14, 0xd3d694fe
	s_mov_b32 s15, 0xbf2533ca
	v_add_f64 v[19:20], v[19:20], -v[21:22]
	v_add_f64 v[11:12], v[23:24], -v[11:12]
	v_fma_f64 v[7:8], v[3:4], v[5:6], -v[7:8]
	v_add_f64 v[13:14], v[19:20], -v[13:14]
	v_fma_f64 v[19:20], v[25:26], v[27:28], s[12:13]
	s_mov_b32 s12, 0xd511afc5
	s_mov_b32 s13, 0x3ecd1c4e
	v_add_f64 v[7:8], v[7:8], s[12:13]
	s_mov_b32 s12, 0xb8debbcf
	s_mov_b32 s13, 0xbeebd5f9
	v_add_f64 v[11:12], v[11:12], v[13:14]
	v_add_f64 v[13:14], v[19:20], s[10:11]
	s_mov_b32 s10, 0xb84626ca
	s_mov_b32 s11, 0xbde3663b
	v_fma_f64 v[5:6], v[3:4], v[7:8], -v[5:6]
	v_add_f64 v[11:12], v[21:22], v[11:12]
	v_fma_f64 v[19:20], v[25:26], v[13:14], -v[27:28]
	v_add_f64 v[5:6], v[5:6], s[12:13]
	s_mov_b32 s12, 0x42c70d0b
	s_mov_b32 s13, 0x3f0911b5
	v_mul_f64 v[11:12], v[15:16], v[11:12]
	v_add_f64 v[15:16], v[19:20], s[10:11]
	s_mov_b32 s10, 0x145c31d0
	s_mov_b32 s11, 0xbe57c41d
	v_fma_f64 v[7:8], v[3:4], v[5:6], -v[7:8]
	v_add_f64 v[19:20], v[17:18], v[11:12]
	v_fma_f64 v[13:14], v[25:26], v[15:16], -v[13:14]
	v_add_f64 v[7:8], v[7:8], s[12:13]
	s_mov_b32 s12, 0xbf559e2b
	s_mov_b32 s13, 0x3fc3ab76
	v_mul_f64 v[21:22], v[19:20], v[19:20]
	v_add_f64 v[13:14], v[13:14], s[10:11]
	s_mov_b32 s10, 0x6b47b09a
	s_mov_b32 s11, 0x3fc38538
	v_add_f64 v[17:18], v[19:20], -v[17:18]
	v_fma_f64 v[5:6], v[3:4], v[7:8], -v[5:6]
	v_fma_f64 v[23:24], v[21:22], s[12:13], s[10:11]
	v_fma_f64 v[15:16], v[25:26], v[13:14], -v[15:16]
	s_mov_b32 s10, 0x2c832e3a
	s_mov_b32 s11, 0xbec469b3
	;; [unrolled: 1-line block ×4, first 2 shown]
	v_mul_f64 v[27:28], v[19:20], v[21:22]
	v_add_f64 v[11:12], v[11:12], -v[17:18]
	v_add_f64 v[5:6], v[5:6], s[14:15]
	s_mov_b32 s14, 0xb6c6df7d
	s_mov_b32 s15, 0x3f40c95d
	v_fma_f64 v[23:24], v[21:22], v[23:24], s[12:13]
	v_add_f64 v[15:16], v[15:16], s[10:11]
	s_mov_b32 s10, 0x16291751
	s_mov_b32 s11, 0x3fcc71c0
	;; [unrolled: 1-line block ×4, first 2 shown]
	v_ldexp_f64 v[11:12], v[11:12], 1
	v_fma_f64 v[7:8], v[3:4], v[5:6], -v[7:8]
	v_fma_f64 v[23:24], v[21:22], v[23:24], s[10:11]
	v_fma_f64 v[13:14], v[25:26], v[15:16], -v[13:14]
	s_mov_b32 s10, 0xe5a3bd02
	s_mov_b32 s11, 0xbf26ade2
	v_add_f64 v[7:8], v[7:8], s[14:15]
	s_mov_b32 s14, 0xe7bb2349
	s_mov_b32 s15, 0x3f9951e3
	v_fma_f64 v[23:24], v[21:22], v[23:24], s[12:13]
	v_add_f64 v[13:14], v[13:14], s[10:11]
	s_mov_b32 s10, 0x998ef7b6
	s_mov_b32 s11, 0x3fd99999
	;; [unrolled: 1-line block ×4, first 2 shown]
	v_fma_f64 v[5:6], v[3:4], v[7:8], -v[5:6]
	v_fma_f64 v[23:24], v[21:22], v[23:24], s[10:11]
	v_fma_f64 v[15:16], v[25:26], v[13:14], -v[15:16]
	s_mov_b32 s10, 0x9d7d4192
	s_mov_b32 s11, 0xbf7c9293
	v_add_f64 v[5:6], v[5:6], s[12:13]
	s_mov_b32 s12, 0x49d3a1b4
	s_mov_b32 s13, 0x3f710653
	v_fma_f64 v[21:22], v[21:22], v[23:24], s[0:1]
	v_add_f64 v[15:16], v[15:16], s[10:11]
	v_ldexp_f64 v[23:24], v[19:20], 1
	s_mov_b32 s0, 0x43c1db74
	s_mov_b32 s1, 0xbfbf6372
	;; [unrolled: 1-line block ×4, first 2 shown]
	v_fma_f64 v[7:8], v[3:4], v[5:6], -v[7:8]
	v_mul_f64 v[21:22], v[27:28], v[21:22]
	v_fma_f64 v[13:14], v[25:26], v[15:16], -v[13:14]
	v_subrev_co_ci_u32_e64 v27, null, 0, v29, vcc_lo
	v_mul_f64 v[29:30], v[1:2], s[10:11]
	s_mov_b32 s10, 0x757b0dd4
	s_mov_b32 s11, 0xbfd69a1b
	v_cvt_f64_i32_e32 v[27:28], v27
	v_add_f64 v[7:8], v[7:8], s[12:13]
	s_mov_b32 s12, 0x7913a26a
	s_mov_b32 s13, 0xbf85a29f
	v_add_f64 v[19:20], v[23:24], v[21:22]
	v_add_f64 v[13:14], v[13:14], s[0:1]
	s_mov_b32 s1, 0x3fe62e42
	s_mov_b32 s0, 0xfefa39ef
	v_mul_f64 v[31:32], v[27:28], s[0:1]
	v_fma_f64 v[5:6], v[3:4], v[7:8], -v[5:6]
	v_add_f64 v[17:18], v[19:20], -v[23:24]
	v_fma_f64 v[15:16], v[25:26], v[13:14], -v[15:16]
	v_rndne_f64_e32 v[23:24], v[29:30]
	v_fma_f64 v[29:30], v[27:28], s[0:1], -v[31:32]
	s_mov_b32 s1, 0xbfe62e42
	v_add_f64 v[5:6], v[5:6], s[12:13]
	s_mov_b32 s12, 0x6a5dcb37
	s_mov_b32 s13, 0x3e5ade15
	v_add_f64 v[17:18], v[21:22], -v[17:18]
	v_add_f64 v[15:16], v[15:16], s[10:11]
	v_fma_f64 v[21:22], v[23:24], s[0:1], v[1:2]
	s_mov_b32 s1, 0x3c7abc9e
	s_mov_b32 s0, 0x3b39803f
	;; [unrolled: 1-line block ×4, first 2 shown]
	v_fma_f64 v[27:28], v[27:28], s[0:1], v[29:30]
	s_mov_b32 s1, 0xbc7abc9e
	v_fma_f64 v[7:8], v[3:4], v[5:6], -v[7:8]
	v_add_f64 v[11:12], v[11:12], v[17:18]
	v_fma_f64 v[15:16], v[25:26], v[15:16], -v[13:14]
	v_fma_f64 v[17:18], v[23:24], s[0:1], v[21:22]
	s_mov_b32 s0, 0x361008ca
	s_mov_b32 s1, 0x3ff867a1
	v_add_f64 v[21:22], v[31:32], v[27:28]
	v_add_f64 v[7:8], v[7:8], s[14:15]
	;; [unrolled: 1-line block ×4, first 2 shown]
	v_fma_f64 v[29:30], v[17:18], s[12:13], s[10:11]
	s_mov_b32 s0, 0x623fde64
	s_mov_b32 s1, 0x3ec71dee
	;; [unrolled: 1-line block ×4, first 2 shown]
	v_add_f64 v[31:32], v[21:22], -v[31:32]
	v_fma_f64 v[5:6], v[3:4], v[7:8], -v[5:6]
	v_add_f64 v[33:34], v[21:22], v[25:26]
	v_add_f64 v[13:14], v[15:16], -v[13:14]
	v_fma_f64 v[29:30], v[17:18], v[29:30], s[0:1]
	s_mov_b32 s0, 0x7c89e6b0
	s_mov_b32 s1, 0x3efa0199
	v_add_f64 v[19:20], v[25:26], -v[19:20]
	v_add_f64 v[27:28], v[27:28], -v[31:32]
	v_add_f64 v[5:6], v[5:6], s[10:11]
	s_mov_b32 s10, 0xd536f53c
	s_mov_b32 s11, 0x3fba46da
	v_add_f64 v[15:16], v[33:34], -v[21:22]
	v_mul_f64 v[13:14], v[13:14], 0.5
	v_fma_f64 v[29:30], v[17:18], v[29:30], s[0:1]
	s_mov_b32 s0, 0x14761f6e
	s_mov_b32 s1, 0x3f2a01a0
	v_add_f64 v[11:12], v[11:12], -v[19:20]
	v_fma_f64 v[7:8], v[3:4], v[5:6], -v[7:8]
	v_add_f64 v[35:36], v[33:34], -v[15:16]
	v_div_scale_f64 v[37:38], null, v[1:2], v[1:2], v[13:14]
	v_fma_f64 v[29:30], v[17:18], v[29:30], s[0:1]
	s_mov_b32 s0, 0x1852b7b0
	s_mov_b32 s1, 0x3f56c16c
	v_add_f64 v[15:16], v[25:26], -v[15:16]
	v_add_f64 v[7:8], v[7:8], s[10:11]
	s_mov_b32 s10, 0x469192e
	s_mov_b32 s11, 0xbfc694d1
	v_add_f64 v[19:20], v[21:22], -v[35:36]
	v_rcp_f64_e32 v[25:26], v[37:38]
	v_fma_f64 v[21:22], v[17:18], v[29:30], s[0:1]
	s_mov_b32 s0, 0x11122322
	s_mov_b32 s1, 0x3f811111
	v_add_f64 v[29:30], v[27:28], v[11:12]
	v_fma_f64 v[5:6], v[3:4], v[7:8], -v[5:6]
	v_add_f64 v[15:16], v[15:16], v[19:20]
	v_fma_f64 v[19:20], v[17:18], v[21:22], s[0:1]
	v_fma_f64 v[21:22], -v[37:38], v[25:26], 1.0
	s_mov_b32 s0, 0x555502a1
	s_mov_b32 s1, 0x3fa55555
	v_add_f64 v[31:32], v[29:30], -v[27:28]
	v_add_f64 v[5:6], v[5:6], s[10:11]
	s_mov_b32 s10, 0x724a7ffa
	s_mov_b32 s11, 0x3fd02a63
	v_add_f64 v[15:16], v[29:30], v[15:16]
	v_fma_f64 v[19:20], v[17:18], v[19:20], s[0:1]
	v_fma_f64 v[21:22], v[25:26], v[21:22], v[25:26]
	s_mov_b32 s0, 0x55555511
	s_mov_b32 s1, 0x3fc55555
	v_add_f64 v[25:26], v[29:30], -v[31:32]
	v_add_f64 v[11:12], v[11:12], -v[31:32]
	v_div_scale_f64 v[31:32], vcc_lo, v[13:14], v[1:2], v[13:14]
	v_fma_f64 v[3:4], v[3:4], v[5:6], -v[7:8]
	v_add_f64 v[29:30], v[33:34], v[15:16]
	v_fma_f64 v[19:20], v[17:18], v[19:20], s[0:1]
	v_fma_f64 v[5:6], -v[37:38], v[21:22], 1.0
	s_mov_b32 s0, 11
	s_mov_b32 s1, 0x3fe00000
	v_add_f64 v[25:26], v[27:28], -v[25:26]
	v_add_f64 v[3:4], v[3:4], s[10:11]
	v_add_f64 v[27:28], v[29:30], -v[33:34]
	v_fma_f64 v[19:20], v[17:18], v[19:20], s[0:1]
	v_fma_f64 v[5:6], v[21:22], v[5:6], v[21:22]
	v_cvt_i32_f64_e32 v21, v[23:24]
	v_cmp_neq_f64_e64 s0, 0, v[9:10]
	v_add_f64 v[11:12], v[11:12], v[25:26]
	v_add_f64 v[3:4], v[3:4], -v[7:8]
	v_add_f64 v[15:16], v[15:16], -v[27:28]
	v_fma_f64 v[19:20], v[17:18], v[19:20], 1.0
	v_mul_f64 v[7:8], v[31:32], v[5:6]
	v_mul_f64 v[3:4], v[3:4], 0.5
	v_add_f64 v[11:12], v[11:12], v[15:16]
	v_fma_f64 v[15:16], v[17:18], v[19:20], 1.0
	v_fma_f64 v[17:18], -v[37:38], v[7:8], v[31:32]
	v_mul_f64 v[3:4], v[1:2], v[3:4]
	v_add_f64 v[11:12], v[29:30], v[11:12]
	v_ldexp_f64 v[15:16], v[15:16], v21
	v_div_fmas_f64 v[5:6], v[17:18], v[5:6], v[7:8]
	v_cmp_neq_f64_e32 vcc_lo, 0x7ff00000, v[9:10]
	v_mul_f64 v[3:4], v[15:16], v[3:4]
	v_div_fixup_f64 v[1:2], v[5:6], v[1:2], v[13:14]
	v_cndmask_b32_e32 v7, 0x7ff00000, v12, vcc_lo
	s_and_b32 vcc_lo, s0, vcc_lo
	v_cndmask_b32_e32 v5, 0, v11, vcc_lo
	v_cndmask_b32_e64 v6, 0xfff00000, v7, s0
	v_fma_f64 v[3:4], v[5:6], v[3:4], v[1:2]
                                        ; implicit-def: $vgpr1_vgpr2
.LBB7_184:
	s_andn2_saveexec_b32 s1, s8
	s_cbranch_execz .LBB7_186
; %bb.185:
	v_div_scale_f64 v[3:4], null, v[1:2], v[1:2], 0x40200000
	v_div_scale_f64 v[9:10], vcc_lo, 0x40200000, v[1:2], 0x40200000
	s_mov_b32 s8, 0x838f5ed3
	s_mov_b32 s9, 0x3c74af1a
	;; [unrolled: 1-line block ×4, first 2 shown]
	v_cmp_nlt_f64_e64 s0, 0x4090cc00, v[1:2]
	v_rcp_f64_e32 v[5:6], v[3:4]
	v_fma_f64 v[7:8], -v[3:4], v[5:6], 1.0
	v_fma_f64 v[5:6], v[5:6], v[7:8], v[5:6]
	v_fma_f64 v[7:8], -v[3:4], v[5:6], 1.0
	v_fma_f64 v[5:6], v[5:6], v[7:8], v[5:6]
	v_mul_f64 v[7:8], v[9:10], v[5:6]
	v_fma_f64 v[3:4], -v[3:4], v[7:8], v[9:10]
	v_div_fmas_f64 v[3:4], v[3:4], v[5:6], v[7:8]
	v_cmp_gt_f64_e32 vcc_lo, 0x10000000, v[1:2]
	v_div_fixup_f64 v[3:4], v[3:4], v[1:2], 0x40200000
	v_cndmask_b32_e64 v15, 0, 0x100, vcc_lo
	v_ldexp_f64 v[15:16], v[1:2], v15
	v_add_f64 v[3:4], v[3:4], -2.0
	v_rsq_f64_e32 v[17:18], v[15:16]
	v_fma_f64 v[5:6], v[3:4], s[10:11], s[8:9]
	s_mov_b32 s11, 0x3c5a8c5d
	s_mov_b32 s8, 0x17771d52
	;; [unrolled: 1-line block ×3, first 2 shown]
	v_mul_f64 v[19:20], v[15:16], v[17:18]
	v_mul_f64 v[17:18], v[17:18], 0.5
	v_fma_f64 v[7:8], v[3:4], v[5:6], s[10:11]
	s_mov_b32 s10, 0x6a5dcb37
	s_mov_b32 s11, 0x3e5ade15
	v_fma_f64 v[21:22], -v[17:18], v[19:20], 0.5
	v_add_f64 v[7:8], v[7:8], s[8:9]
	s_mov_b32 s8, 0x44ee2c0b
	s_mov_b32 s9, 0x3caa7d5e
	v_fma_f64 v[19:20], v[19:20], v[21:22], v[19:20]
	v_fma_f64 v[17:18], v[17:18], v[21:22], v[17:18]
	v_fma_f64 v[5:6], v[3:4], v[7:8], -v[5:6]
	v_fma_f64 v[21:22], -v[19:20], v[19:20], v[15:16]
	v_add_f64 v[5:6], v[5:6], s[8:9]
	s_mov_b32 s8, 0xd8758ef2
	s_mov_b32 s9, 0xbcc5d2a3
	v_fma_f64 v[7:8], v[3:4], v[5:6], -v[7:8]
	v_add_f64 v[7:8], v[7:8], s[8:9]
	s_mov_b32 s8, 0xefee81bd
	s_mov_b32 s9, 0x3ce25ced
	v_fma_f64 v[5:6], v[3:4], v[7:8], -v[5:6]
	;; [unrolled: 4-line block ×14, first 2 shown]
	v_add_f64 v[5:6], v[5:6], s[8:9]
	s_mov_b32 s8, 0x652b82fe
	s_mov_b32 s9, 0xbff71547
	v_mul_f64 v[9:10], v[1:2], s[8:9]
	s_mov_b32 s8, 0x8fada5c6
	s_mov_b32 s9, 0xbe978052
	v_fma_f64 v[7:8], v[3:4], v[5:6], -v[7:8]
	v_rndne_f64_e32 v[9:10], v[9:10]
	v_add_f64 v[7:8], v[7:8], s[8:9]
	s_mov_b32 s8, 0xfefa39ef
	s_mov_b32 s9, 0xbfe62e42
	v_fma_f64 v[11:12], v[9:10], s[8:9], -v[1:2]
	s_mov_b32 s8, 0x3b39803f
	s_mov_b32 s9, 0xbc7abc9e
	v_fma_f64 v[5:6], v[3:4], v[7:8], -v[5:6]
	v_fma_f64 v[11:12], v[9:10], s[8:9], v[11:12]
	s_mov_b32 s8, 0x1752d1b6
	s_mov_b32 s9, 0x3ec42fe3
	v_add_f64 v[5:6], v[5:6], s[8:9]
	s_mov_b32 s8, 0xfca7ab0c
	s_mov_b32 s9, 0x3e928af3
	v_fma_f64 v[13:14], v[11:12], s[10:11], s[8:9]
	s_mov_b32 s8, 0x623fde64
	s_mov_b32 s9, 0x3ec71dee
	v_fma_f64 v[7:8], v[3:4], v[5:6], -v[7:8]
	v_fma_f64 v[13:14], v[11:12], v[13:14], s[8:9]
	s_mov_b32 s8, 0x1dcdb2e5
	s_mov_b32 s9, 0xbef44d71
	v_add_f64 v[7:8], v[7:8], s[8:9]
	s_mov_b32 s8, 0x7c89e6b0
	s_mov_b32 s9, 0x3efa0199
	v_fma_f64 v[13:14], v[11:12], v[13:14], s[8:9]
	;; [unrolled: 10-line block ×5, first 2 shown]
	s_mov_b32 s8, 0xaa062c8a
	s_mov_b32 s9, 0x4005c3d7
	v_fma_f64 v[3:4], v[3:4], v[5:6], -v[7:8]
	v_fma_f64 v[5:6], v[21:22], v[17:18], v[19:20]
	v_cvt_i32_f64_e32 v21, v[9:10]
	v_fma_f64 v[13:14], v[11:12], v[13:14], 1.0
	v_add_f64 v[3:4], v[3:4], s[8:9]
	v_fma_f64 v[19:20], -v[5:6], v[5:6], v[15:16]
	v_fma_f64 v[9:10], v[11:12], v[13:14], 1.0
	v_add_f64 v[3:4], v[3:4], -v[7:8]
	v_fma_f64 v[5:6], v[19:20], v[17:18], v[5:6]
	v_ldexp_f64 v[7:8], v[9:10], v21
	v_mul_f64 v[1:2], v[3:4], 0.5
	v_cndmask_b32_e64 v3, 0, 0xffffff80, vcc_lo
	v_cmp_class_f64_e64 vcc_lo, v[15:16], 0x260
	v_ldexp_f64 v[3:4], v[5:6], v3
	v_cndmask_b32_e64 v6, 0, v8, s0
	v_cndmask_b32_e64 v5, 0, v7, s0
	v_mul_f64 v[1:2], v[5:6], v[1:2]
	v_cndmask_b32_e32 v4, v4, v16, vcc_lo
	v_cndmask_b32_e32 v3, v3, v15, vcc_lo
	v_div_scale_f64 v[5:6], null, v[3:4], v[3:4], v[1:2]
	v_rcp_f64_e32 v[7:8], v[5:6]
	v_fma_f64 v[9:10], -v[5:6], v[7:8], 1.0
	v_fma_f64 v[7:8], v[7:8], v[9:10], v[7:8]
	v_fma_f64 v[9:10], -v[5:6], v[7:8], 1.0
	v_fma_f64 v[7:8], v[7:8], v[9:10], v[7:8]
	v_div_scale_f64 v[9:10], vcc_lo, v[1:2], v[3:4], v[1:2]
	v_mul_f64 v[11:12], v[9:10], v[7:8]
	v_fma_f64 v[5:6], -v[5:6], v[11:12], v[9:10]
	v_div_fmas_f64 v[5:6], v[5:6], v[7:8], v[11:12]
	v_div_fixup_f64 v[3:4], v[5:6], v[3:4], v[1:2]
.LBB7_186:
	s_or_b32 exec_lo, exec_lo, s1
.LBB7_187:
	s_or_b32 exec_lo, exec_lo, s7
.LBB7_188:
	s_or_b32 exec_lo, exec_lo, s6
	global_store_dwordx2 v0, v[3:4], s[4:5]
	s_or_b32 exec_lo, exec_lo, s20
                                        ; implicit-def: $vgpr9
                                        ; implicit-def: $vgpr5
	s_andn2_saveexec_b32 s0, s25
	s_cbranch_execz .LBB7_149
	s_branch .LBB7_8
	.section	.rodata,"a",@progbits
	.p2align	6, 0x0
	.amdhsa_kernel _ZN2at6native32elementwise_kernel_manual_unrollILi128ELi4EZNS0_22gpu_kernel_impl_nocastIZZZNS0_12_GLOBAL__N_130modified_bessel_k1_kernel_cudaERNS_18TensorIteratorBaseEENKUlvE_clEvENKUlvE_clEvEUldE_EEvS5_RKT_EUlibE_EEviT1_
		.amdhsa_group_segment_fixed_size 0
		.amdhsa_private_segment_fixed_size 0
		.amdhsa_kernarg_size 360
		.amdhsa_user_sgpr_count 6
		.amdhsa_user_sgpr_private_segment_buffer 1
		.amdhsa_user_sgpr_dispatch_ptr 0
		.amdhsa_user_sgpr_queue_ptr 0
		.amdhsa_user_sgpr_kernarg_segment_ptr 1
		.amdhsa_user_sgpr_dispatch_id 0
		.amdhsa_user_sgpr_flat_scratch_init 0
		.amdhsa_user_sgpr_private_segment_size 0
		.amdhsa_wavefront_size32 1
		.amdhsa_uses_dynamic_stack 0
		.amdhsa_system_sgpr_private_segment_wavefront_offset 0
		.amdhsa_system_sgpr_workgroup_id_x 1
		.amdhsa_system_sgpr_workgroup_id_y 0
		.amdhsa_system_sgpr_workgroup_id_z 0
		.amdhsa_system_sgpr_workgroup_info 0
		.amdhsa_system_vgpr_workitem_id 0
		.amdhsa_next_free_vgpr 50
		.amdhsa_next_free_sgpr 56
		.amdhsa_reserve_vcc 1
		.amdhsa_reserve_flat_scratch 0
		.amdhsa_float_round_mode_32 0
		.amdhsa_float_round_mode_16_64 0
		.amdhsa_float_denorm_mode_32 3
		.amdhsa_float_denorm_mode_16_64 3
		.amdhsa_dx10_clamp 1
		.amdhsa_ieee_mode 1
		.amdhsa_fp16_overflow 0
		.amdhsa_workgroup_processor_mode 1
		.amdhsa_memory_ordered 1
		.amdhsa_forward_progress 1
		.amdhsa_shared_vgpr_count 0
		.amdhsa_exception_fp_ieee_invalid_op 0
		.amdhsa_exception_fp_denorm_src 0
		.amdhsa_exception_fp_ieee_div_zero 0
		.amdhsa_exception_fp_ieee_overflow 0
		.amdhsa_exception_fp_ieee_underflow 0
		.amdhsa_exception_fp_ieee_inexact 0
		.amdhsa_exception_int_div_zero 0
	.end_amdhsa_kernel
	.section	.text._ZN2at6native32elementwise_kernel_manual_unrollILi128ELi4EZNS0_22gpu_kernel_impl_nocastIZZZNS0_12_GLOBAL__N_130modified_bessel_k1_kernel_cudaERNS_18TensorIteratorBaseEENKUlvE_clEvENKUlvE_clEvEUldE_EEvS5_RKT_EUlibE_EEviT1_,"axG",@progbits,_ZN2at6native32elementwise_kernel_manual_unrollILi128ELi4EZNS0_22gpu_kernel_impl_nocastIZZZNS0_12_GLOBAL__N_130modified_bessel_k1_kernel_cudaERNS_18TensorIteratorBaseEENKUlvE_clEvENKUlvE_clEvEUldE_EEvS5_RKT_EUlibE_EEviT1_,comdat
.Lfunc_end7:
	.size	_ZN2at6native32elementwise_kernel_manual_unrollILi128ELi4EZNS0_22gpu_kernel_impl_nocastIZZZNS0_12_GLOBAL__N_130modified_bessel_k1_kernel_cudaERNS_18TensorIteratorBaseEENKUlvE_clEvENKUlvE_clEvEUldE_EEvS5_RKT_EUlibE_EEviT1_, .Lfunc_end7-_ZN2at6native32elementwise_kernel_manual_unrollILi128ELi4EZNS0_22gpu_kernel_impl_nocastIZZZNS0_12_GLOBAL__N_130modified_bessel_k1_kernel_cudaERNS_18TensorIteratorBaseEENKUlvE_clEvENKUlvE_clEvEUldE_EEvS5_RKT_EUlibE_EEviT1_
                                        ; -- End function
	.set _ZN2at6native32elementwise_kernel_manual_unrollILi128ELi4EZNS0_22gpu_kernel_impl_nocastIZZZNS0_12_GLOBAL__N_130modified_bessel_k1_kernel_cudaERNS_18TensorIteratorBaseEENKUlvE_clEvENKUlvE_clEvEUldE_EEvS5_RKT_EUlibE_EEviT1_.num_vgpr, 50
	.set _ZN2at6native32elementwise_kernel_manual_unrollILi128ELi4EZNS0_22gpu_kernel_impl_nocastIZZZNS0_12_GLOBAL__N_130modified_bessel_k1_kernel_cudaERNS_18TensorIteratorBaseEENKUlvE_clEvENKUlvE_clEvEUldE_EEvS5_RKT_EUlibE_EEviT1_.num_agpr, 0
	.set _ZN2at6native32elementwise_kernel_manual_unrollILi128ELi4EZNS0_22gpu_kernel_impl_nocastIZZZNS0_12_GLOBAL__N_130modified_bessel_k1_kernel_cudaERNS_18TensorIteratorBaseEENKUlvE_clEvENKUlvE_clEvEUldE_EEvS5_RKT_EUlibE_EEviT1_.numbered_sgpr, 56
	.set _ZN2at6native32elementwise_kernel_manual_unrollILi128ELi4EZNS0_22gpu_kernel_impl_nocastIZZZNS0_12_GLOBAL__N_130modified_bessel_k1_kernel_cudaERNS_18TensorIteratorBaseEENKUlvE_clEvENKUlvE_clEvEUldE_EEvS5_RKT_EUlibE_EEviT1_.num_named_barrier, 0
	.set _ZN2at6native32elementwise_kernel_manual_unrollILi128ELi4EZNS0_22gpu_kernel_impl_nocastIZZZNS0_12_GLOBAL__N_130modified_bessel_k1_kernel_cudaERNS_18TensorIteratorBaseEENKUlvE_clEvENKUlvE_clEvEUldE_EEvS5_RKT_EUlibE_EEviT1_.private_seg_size, 0
	.set _ZN2at6native32elementwise_kernel_manual_unrollILi128ELi4EZNS0_22gpu_kernel_impl_nocastIZZZNS0_12_GLOBAL__N_130modified_bessel_k1_kernel_cudaERNS_18TensorIteratorBaseEENKUlvE_clEvENKUlvE_clEvEUldE_EEvS5_RKT_EUlibE_EEviT1_.uses_vcc, 1
	.set _ZN2at6native32elementwise_kernel_manual_unrollILi128ELi4EZNS0_22gpu_kernel_impl_nocastIZZZNS0_12_GLOBAL__N_130modified_bessel_k1_kernel_cudaERNS_18TensorIteratorBaseEENKUlvE_clEvENKUlvE_clEvEUldE_EEvS5_RKT_EUlibE_EEviT1_.uses_flat_scratch, 0
	.set _ZN2at6native32elementwise_kernel_manual_unrollILi128ELi4EZNS0_22gpu_kernel_impl_nocastIZZZNS0_12_GLOBAL__N_130modified_bessel_k1_kernel_cudaERNS_18TensorIteratorBaseEENKUlvE_clEvENKUlvE_clEvEUldE_EEvS5_RKT_EUlibE_EEviT1_.has_dyn_sized_stack, 0
	.set _ZN2at6native32elementwise_kernel_manual_unrollILi128ELi4EZNS0_22gpu_kernel_impl_nocastIZZZNS0_12_GLOBAL__N_130modified_bessel_k1_kernel_cudaERNS_18TensorIteratorBaseEENKUlvE_clEvENKUlvE_clEvEUldE_EEvS5_RKT_EUlibE_EEviT1_.has_recursion, 0
	.set _ZN2at6native32elementwise_kernel_manual_unrollILi128ELi4EZNS0_22gpu_kernel_impl_nocastIZZZNS0_12_GLOBAL__N_130modified_bessel_k1_kernel_cudaERNS_18TensorIteratorBaseEENKUlvE_clEvENKUlvE_clEvEUldE_EEvS5_RKT_EUlibE_EEviT1_.has_indirect_call, 0
	.section	.AMDGPU.csdata,"",@progbits
; Kernel info:
; codeLenInByte = 38764
; TotalNumSgprs: 58
; NumVgprs: 50
; ScratchSize: 0
; MemoryBound: 0
; FloatMode: 240
; IeeeMode: 1
; LDSByteSize: 0 bytes/workgroup (compile time only)
; SGPRBlocks: 0
; VGPRBlocks: 6
; NumSGPRsForWavesPerEU: 58
; NumVGPRsForWavesPerEU: 50
; Occupancy: 16
; WaveLimiterHint : 1
; COMPUTE_PGM_RSRC2:SCRATCH_EN: 0
; COMPUTE_PGM_RSRC2:USER_SGPR: 6
; COMPUTE_PGM_RSRC2:TRAP_HANDLER: 0
; COMPUTE_PGM_RSRC2:TGID_X_EN: 1
; COMPUTE_PGM_RSRC2:TGID_Y_EN: 0
; COMPUTE_PGM_RSRC2:TGID_Z_EN: 0
; COMPUTE_PGM_RSRC2:TIDIG_COMP_CNT: 0
	.section	.text._ZN2at6native32elementwise_kernel_manual_unrollILi128ELi4EZNS0_15gpu_kernel_implIZZZNS0_12_GLOBAL__N_130modified_bessel_k1_kernel_cudaERNS_18TensorIteratorBaseEENKUlvE_clEvENKUlvE_clEvEUldE_EEvS5_RKT_EUlibE_EEviT1_,"axG",@progbits,_ZN2at6native32elementwise_kernel_manual_unrollILi128ELi4EZNS0_15gpu_kernel_implIZZZNS0_12_GLOBAL__N_130modified_bessel_k1_kernel_cudaERNS_18TensorIteratorBaseEENKUlvE_clEvENKUlvE_clEvEUldE_EEvS5_RKT_EUlibE_EEviT1_,comdat
	.globl	_ZN2at6native32elementwise_kernel_manual_unrollILi128ELi4EZNS0_15gpu_kernel_implIZZZNS0_12_GLOBAL__N_130modified_bessel_k1_kernel_cudaERNS_18TensorIteratorBaseEENKUlvE_clEvENKUlvE_clEvEUldE_EEvS5_RKT_EUlibE_EEviT1_ ; -- Begin function _ZN2at6native32elementwise_kernel_manual_unrollILi128ELi4EZNS0_15gpu_kernel_implIZZZNS0_12_GLOBAL__N_130modified_bessel_k1_kernel_cudaERNS_18TensorIteratorBaseEENKUlvE_clEvENKUlvE_clEvEUldE_EEvS5_RKT_EUlibE_EEviT1_
	.p2align	8
	.type	_ZN2at6native32elementwise_kernel_manual_unrollILi128ELi4EZNS0_15gpu_kernel_implIZZZNS0_12_GLOBAL__N_130modified_bessel_k1_kernel_cudaERNS_18TensorIteratorBaseEENKUlvE_clEvENKUlvE_clEvEUldE_EEvS5_RKT_EUlibE_EEviT1_,@function
_ZN2at6native32elementwise_kernel_manual_unrollILi128ELi4EZNS0_15gpu_kernel_implIZZZNS0_12_GLOBAL__N_130modified_bessel_k1_kernel_cudaERNS_18TensorIteratorBaseEENKUlvE_clEvENKUlvE_clEvEUldE_EEvS5_RKT_EUlibE_EEviT1_: ; @_ZN2at6native32elementwise_kernel_manual_unrollILi128ELi4EZNS0_15gpu_kernel_implIZZZNS0_12_GLOBAL__N_130modified_bessel_k1_kernel_cudaERNS_18TensorIteratorBaseEENKUlvE_clEvENKUlvE_clEvEUldE_EEvS5_RKT_EUlibE_EEviT1_
; %bb.0:
	v_mov_b32_e32 v1, 0
	s_clause 0x2
	s_load_dword s13, s[4:5], 0x0
	s_load_dwordx2 s[2:3], s[4:5], 0x18
	s_load_dwordx4 s[8:11], s[4:5], 0x8
	v_lshl_or_b32 v10, s6, 9, v0
	s_mov_b32 s12, 0
	global_load_ushort v1, v1, s[4:5] offset:33
	s_mov_b32 s5, 0
	v_or_b32_e32 v0, 0x180, v10
	s_waitcnt vmcnt(0)
	v_readfirstlane_b32 s4, v1
	s_and_b32 s0, 0xffff, s4
	s_lshr_b32 s6, s0, 8
	s_mov_b32 s0, exec_lo
	s_waitcnt lgkmcnt(0)
	v_cmpx_le_i32_e64 s13, v0
	s_xor_b32 s7, exec_lo, s0
	s_cbranch_execz .LBB8_1063
; %bb.1:
	s_mov_b32 s1, -1
	s_mov_b32 s16, 0
	s_mov_b32 s14, 0
	s_mov_b32 s15, exec_lo
	v_cmpx_gt_i32_e64 s13, v10
	s_cbranch_execz .LBB8_260
; %bb.2:
	v_mul_lo_u32 v0, v10, s3
	s_and_b32 s0, 0xffff, s6
	s_cmp_lt_i32 s0, 11
	v_ashrrev_i32_e32 v1, 31, v0
	v_add_co_u32 v0, vcc_lo, s10, v0
	v_add_co_ci_u32_e64 v1, null, s11, v1, vcc_lo
	s_cbranch_scc1 .LBB8_9
; %bb.3:
	s_cmp_gt_i32 s0, 25
	s_cbranch_scc0 .LBB8_26
; %bb.4:
	s_cmp_gt_i32 s0, 28
	s_cbranch_scc0 .LBB8_29
	;; [unrolled: 3-line block ×4, first 2 shown]
; %bb.7:
	s_cmp_eq_u32 s0, 46
	s_cbranch_scc0 .LBB8_35
; %bb.8:
	global_load_dword v2, v[0:1], off
	s_waitcnt vmcnt(0)
	v_lshlrev_b32_e32 v2, 16, v2
	v_cvt_f64_f32_e32 v[2:3], v2
	s_branch .LBB8_37
.LBB8_9:
	s_mov_b32 s1, 0
                                        ; implicit-def: $vgpr2_vgpr3
	s_cbranch_execnz .LBB8_210
.LBB8_10:
	s_andn2_b32 vcc_lo, exec_lo, s1
	s_cbranch_vccnz .LBB8_257
.LBB8_11:
	v_mov_b32_e32 v0, 0
	v_mov_b32_e32 v1, 0x7ff00000
	s_mov_b32 s12, exec_lo
	s_waitcnt vmcnt(0)
	v_cmpx_neq_f64_e32 0, v[2:3]
	s_cbranch_execz .LBB8_19
; %bb.12:
	v_mov_b32_e32 v0, 0
	v_mov_b32_e32 v1, 0x7ff80000
	s_mov_b32 s17, exec_lo
	v_cmpx_ngt_f64_e32 0, v[2:3]
	s_cbranch_execz .LBB8_18
; %bb.13:
                                        ; implicit-def: $vgpr0_vgpr1
	s_mov_b32 s0, exec_lo
	v_cmpx_ge_f64_e32 2.0, v[2:3]
	s_xor_b32 s18, exec_lo, s0
	s_cbranch_execz .LBB8_15
; %bb.14:
	v_fma_f64 v[0:1], v[2:3], 0.5, -2.0
	s_mov_b32 s0, 0xc38a0576
	s_mov_b32 s1, 0xbc7857d0
	;; [unrolled: 1-line block ×4, first 2 shown]
	v_mul_f64 v[8:9], v[2:3], 0.5
	v_fma_f64 v[25:26], v[2:3], v[2:3], -2.0
	s_mov_b32 s23, 0xbc603228
	s_mov_b32 s22, 0x3d3cda56
	s_mov_b32 s24, 0x8363992a
	s_mov_b32 s25, 0xbeacc079
	v_fma_f64 v[4:5], v[0:1], s[20:21], s[0:1]
	s_mov_b32 s21, 0xbc499f2a
	s_mov_b32 s0, 0xe593bfac
	;; [unrolled: 1-line block ×3, first 2 shown]
	v_frexp_mant_f64_e32 v[11:12], v[8:9]
	v_frexp_exp_i32_f64_e32 v29, v[8:9]
	v_fma_f64 v[6:7], v[0:1], v[4:5], s[20:21]
	s_mov_b32 s20, 0x97eb07de
	s_mov_b32 s21, 0xbdd25103
	v_add_f64 v[6:7], v[6:7], s[0:1]
	s_mov_b32 s0, 0x7e0d1573
	s_mov_b32 s1, 0xbcd3eaaa
	v_fma_f64 v[4:5], v[0:1], v[6:7], -v[4:5]
	v_add_f64 v[4:5], v[4:5], s[0:1]
	s_mov_b32 s0, 0x615290c
	s_mov_b32 s1, 0x3d011d7f
	v_fma_f64 v[6:7], v[0:1], v[4:5], -v[6:7]
	;; [unrolled: 4-line block ×6, first 2 shown]
	v_add_f64 v[6:7], v[6:7], s[0:1]
	s_mov_b32 s1, 0x3fe55555
	s_mov_b32 s0, 0x55555555
	v_cmp_gt_f64_e32 vcc_lo, s[0:1], v[11:12]
	s_mov_b32 s0, 0x55555780
	v_fma_f64 v[4:5], v[0:1], v[6:7], -v[4:5]
	v_cndmask_b32_e64 v13, 0, 1, vcc_lo
	v_ldexp_f64 v[11:12], v[11:12], v13
	v_add_f64 v[4:5], v[4:5], s[20:21]
	s_mov_b32 s20, 0xb43fdf6c
	s_mov_b32 s21, 0x3df8ea34
	v_add_f64 v[13:14], v[11:12], 1.0
	v_add_f64 v[19:20], v[11:12], -1.0
	v_fma_f64 v[6:7], v[0:1], v[4:5], -v[6:7]
	v_rcp_f64_e32 v[15:16], v[13:14]
	v_add_f64 v[21:22], v[13:14], -1.0
	v_add_f64 v[6:7], v[6:7], s[20:21]
	s_mov_b32 s20, 0x28ea67e6
	s_mov_b32 s21, 0xbe20361b
	v_add_f64 v[11:12], v[11:12], -v[21:22]
	v_fma_f64 v[17:18], -v[13:14], v[15:16], 1.0
	v_fma_f64 v[4:5], v[0:1], v[6:7], -v[4:5]
	v_fma_f64 v[15:16], v[17:18], v[15:16], v[15:16]
	v_add_f64 v[4:5], v[4:5], s[20:21]
	s_mov_b32 s20, 0x2395010
	s_mov_b32 s21, 0x3e44258e
	v_fma_f64 v[17:18], -v[13:14], v[15:16], 1.0
	v_fma_f64 v[6:7], v[0:1], v[4:5], -v[6:7]
	v_fma_f64 v[15:16], v[17:18], v[15:16], v[15:16]
	v_add_f64 v[6:7], v[6:7], s[20:21]
	s_mov_b32 s20, 0x24b8c3e8
	s_mov_b32 s21, 0xbe67dd3e
	v_mul_f64 v[17:18], v[19:20], v[15:16]
	v_fma_f64 v[4:5], v[0:1], v[6:7], -v[4:5]
	v_mul_f64 v[23:24], v[13:14], v[17:18]
	v_add_f64 v[4:5], v[4:5], s[20:21]
	s_mov_b32 s20, 0xb347d108
	s_mov_b32 s21, 0x3e8ae344
	v_fma_f64 v[13:14], v[17:18], v[13:14], -v[23:24]
	v_fma_f64 v[6:7], v[0:1], v[4:5], -v[6:7]
	v_fma_f64 v[11:12], v[17:18], v[11:12], v[13:14]
	v_add_f64 v[6:7], v[6:7], s[20:21]
	s_mov_b32 s20, 0x7a0399e0
	s_mov_b32 s21, 0xbce5dd51
	v_fma_f64 v[27:28], v[25:26], s[22:23], s[20:21]
	s_mov_b32 s23, 0x3c603228
	s_mov_b32 s20, 0xddd0e045
	;; [unrolled: 1-line block ×3, first 2 shown]
	v_add_f64 v[13:14], v[23:24], v[11:12]
	v_fma_f64 v[4:5], v[0:1], v[6:7], -v[4:5]
	v_add_f64 v[21:22], v[19:20], -v[13:14]
	v_add_f64 v[23:24], v[13:14], -v[23:24]
	v_add_f64 v[4:5], v[4:5], s[24:25]
	s_mov_b32 s24, 0xd3d694fe
	s_mov_b32 s25, 0xbf2533ca
	v_add_f64 v[19:20], v[19:20], -v[21:22]
	v_add_f64 v[11:12], v[23:24], -v[11:12]
	v_fma_f64 v[6:7], v[0:1], v[4:5], -v[6:7]
	v_add_f64 v[13:14], v[19:20], -v[13:14]
	v_fma_f64 v[19:20], v[25:26], v[27:28], s[22:23]
	s_mov_b32 s22, 0xd511afc5
	s_mov_b32 s23, 0x3ecd1c4e
	v_add_f64 v[6:7], v[6:7], s[22:23]
	s_mov_b32 s22, 0xb8debbcf
	s_mov_b32 s23, 0xbeebd5f9
	v_add_f64 v[11:12], v[11:12], v[13:14]
	v_add_f64 v[13:14], v[19:20], s[20:21]
	s_mov_b32 s20, 0xb84626ca
	s_mov_b32 s21, 0xbde3663b
	v_fma_f64 v[4:5], v[0:1], v[6:7], -v[4:5]
	v_add_f64 v[11:12], v[21:22], v[11:12]
	v_fma_f64 v[19:20], v[25:26], v[13:14], -v[27:28]
	v_add_f64 v[4:5], v[4:5], s[22:23]
	s_mov_b32 s22, 0x42c70d0b
	s_mov_b32 s23, 0x3f0911b5
	v_mul_f64 v[11:12], v[15:16], v[11:12]
	v_add_f64 v[15:16], v[19:20], s[20:21]
	s_mov_b32 s20, 0x145c31d0
	s_mov_b32 s21, 0xbe57c41d
	v_fma_f64 v[6:7], v[0:1], v[4:5], -v[6:7]
	v_add_f64 v[19:20], v[17:18], v[11:12]
	v_fma_f64 v[13:14], v[25:26], v[15:16], -v[13:14]
	v_add_f64 v[6:7], v[6:7], s[22:23]
	s_mov_b32 s22, 0xbf559e2b
	s_mov_b32 s23, 0x3fc3ab76
	v_mul_f64 v[21:22], v[19:20], v[19:20]
	v_add_f64 v[13:14], v[13:14], s[20:21]
	s_mov_b32 s20, 0x6b47b09a
	s_mov_b32 s21, 0x3fc38538
	v_add_f64 v[17:18], v[19:20], -v[17:18]
	v_fma_f64 v[4:5], v[0:1], v[6:7], -v[4:5]
	v_fma_f64 v[23:24], v[21:22], s[22:23], s[20:21]
	v_fma_f64 v[15:16], v[25:26], v[13:14], -v[15:16]
	s_mov_b32 s20, 0x2c832e3a
	s_mov_b32 s21, 0xbec469b3
	;; [unrolled: 1-line block ×4, first 2 shown]
	v_mul_f64 v[27:28], v[19:20], v[21:22]
	v_add_f64 v[11:12], v[11:12], -v[17:18]
	v_add_f64 v[4:5], v[4:5], s[24:25]
	s_mov_b32 s24, 0xb6c6df7d
	s_mov_b32 s25, 0x3f40c95d
	v_fma_f64 v[23:24], v[21:22], v[23:24], s[22:23]
	v_add_f64 v[15:16], v[15:16], s[20:21]
	s_mov_b32 s20, 0x16291751
	s_mov_b32 s21, 0x3fcc71c0
	;; [unrolled: 1-line block ×4, first 2 shown]
	v_ldexp_f64 v[11:12], v[11:12], 1
	v_fma_f64 v[6:7], v[0:1], v[4:5], -v[6:7]
	v_fma_f64 v[23:24], v[21:22], v[23:24], s[20:21]
	v_fma_f64 v[13:14], v[25:26], v[15:16], -v[13:14]
	s_mov_b32 s20, 0xe5a3bd02
	s_mov_b32 s21, 0xbf26ade2
	v_add_f64 v[6:7], v[6:7], s[24:25]
	s_mov_b32 s24, 0xe7bb2349
	s_mov_b32 s25, 0x3f9951e3
	v_fma_f64 v[23:24], v[21:22], v[23:24], s[22:23]
	v_add_f64 v[13:14], v[13:14], s[20:21]
	s_mov_b32 s20, 0x998ef7b6
	s_mov_b32 s21, 0x3fd99999
	;; [unrolled: 1-line block ×4, first 2 shown]
	v_fma_f64 v[4:5], v[0:1], v[6:7], -v[4:5]
	v_fma_f64 v[23:24], v[21:22], v[23:24], s[20:21]
	v_fma_f64 v[15:16], v[25:26], v[13:14], -v[15:16]
	s_mov_b32 s20, 0x9d7d4192
	s_mov_b32 s21, 0xbf7c9293
	v_add_f64 v[4:5], v[4:5], s[22:23]
	s_mov_b32 s22, 0x49d3a1b4
	s_mov_b32 s23, 0x3f710653
	v_fma_f64 v[21:22], v[21:22], v[23:24], s[0:1]
	v_add_f64 v[15:16], v[15:16], s[20:21]
	v_ldexp_f64 v[23:24], v[19:20], 1
	s_mov_b32 s0, 0x43c1db74
	s_mov_b32 s1, 0xbfbf6372
	s_mov_b32 s20, 0x652b82fe
	s_mov_b32 s21, 0x3ff71547
	v_fma_f64 v[6:7], v[0:1], v[4:5], -v[6:7]
	v_mul_f64 v[21:22], v[27:28], v[21:22]
	v_fma_f64 v[13:14], v[25:26], v[15:16], -v[13:14]
	v_subrev_co_ci_u32_e64 v27, null, 0, v29, vcc_lo
	v_mul_f64 v[29:30], v[2:3], s[20:21]
	s_mov_b32 s20, 0x757b0dd4
	s_mov_b32 s21, 0xbfd69a1b
	v_cvt_f64_i32_e32 v[27:28], v27
	v_add_f64 v[6:7], v[6:7], s[22:23]
	s_mov_b32 s22, 0x7913a26a
	s_mov_b32 s23, 0xbf85a29f
	v_add_f64 v[19:20], v[23:24], v[21:22]
	v_add_f64 v[13:14], v[13:14], s[0:1]
	s_mov_b32 s1, 0x3fe62e42
	s_mov_b32 s0, 0xfefa39ef
	v_mul_f64 v[31:32], v[27:28], s[0:1]
	v_fma_f64 v[4:5], v[0:1], v[6:7], -v[4:5]
	v_add_f64 v[17:18], v[19:20], -v[23:24]
	v_fma_f64 v[15:16], v[25:26], v[13:14], -v[15:16]
	v_rndne_f64_e32 v[23:24], v[29:30]
	v_fma_f64 v[29:30], v[27:28], s[0:1], -v[31:32]
	s_mov_b32 s1, 0xbfe62e42
	v_add_f64 v[4:5], v[4:5], s[22:23]
	s_mov_b32 s22, 0x6a5dcb37
	s_mov_b32 s23, 0x3e5ade15
	v_add_f64 v[17:18], v[21:22], -v[17:18]
	v_add_f64 v[15:16], v[15:16], s[20:21]
	v_fma_f64 v[21:22], v[23:24], s[0:1], v[2:3]
	s_mov_b32 s1, 0x3c7abc9e
	s_mov_b32 s0, 0x3b39803f
	;; [unrolled: 1-line block ×4, first 2 shown]
	v_fma_f64 v[27:28], v[27:28], s[0:1], v[29:30]
	s_mov_b32 s1, 0xbc7abc9e
	v_fma_f64 v[6:7], v[0:1], v[4:5], -v[6:7]
	v_add_f64 v[11:12], v[11:12], v[17:18]
	v_fma_f64 v[15:16], v[25:26], v[15:16], -v[13:14]
	v_fma_f64 v[17:18], v[23:24], s[0:1], v[21:22]
	s_mov_b32 s0, 0x361008ca
	s_mov_b32 s1, 0x3ff867a1
	v_add_f64 v[21:22], v[31:32], v[27:28]
	v_add_f64 v[6:7], v[6:7], s[24:25]
	;; [unrolled: 1-line block ×4, first 2 shown]
	v_fma_f64 v[29:30], v[17:18], s[22:23], s[20:21]
	s_mov_b32 s0, 0x623fde64
	s_mov_b32 s1, 0x3ec71dee
	;; [unrolled: 1-line block ×4, first 2 shown]
	v_add_f64 v[31:32], v[21:22], -v[31:32]
	v_fma_f64 v[4:5], v[0:1], v[6:7], -v[4:5]
	v_add_f64 v[33:34], v[21:22], v[25:26]
	v_add_f64 v[13:14], v[15:16], -v[13:14]
	v_fma_f64 v[29:30], v[17:18], v[29:30], s[0:1]
	s_mov_b32 s0, 0x7c89e6b0
	s_mov_b32 s1, 0x3efa0199
	v_add_f64 v[19:20], v[25:26], -v[19:20]
	v_add_f64 v[27:28], v[27:28], -v[31:32]
	v_add_f64 v[4:5], v[4:5], s[20:21]
	s_mov_b32 s20, 0xd536f53c
	s_mov_b32 s21, 0x3fba46da
	v_add_f64 v[15:16], v[33:34], -v[21:22]
	v_mul_f64 v[13:14], v[13:14], 0.5
	v_fma_f64 v[29:30], v[17:18], v[29:30], s[0:1]
	s_mov_b32 s0, 0x14761f6e
	s_mov_b32 s1, 0x3f2a01a0
	v_add_f64 v[11:12], v[11:12], -v[19:20]
	v_fma_f64 v[6:7], v[0:1], v[4:5], -v[6:7]
	v_add_f64 v[35:36], v[33:34], -v[15:16]
	v_div_scale_f64 v[37:38], null, v[2:3], v[2:3], v[13:14]
	v_fma_f64 v[29:30], v[17:18], v[29:30], s[0:1]
	s_mov_b32 s0, 0x1852b7b0
	s_mov_b32 s1, 0x3f56c16c
	v_add_f64 v[15:16], v[25:26], -v[15:16]
	v_add_f64 v[6:7], v[6:7], s[20:21]
	s_mov_b32 s20, 0x469192e
	s_mov_b32 s21, 0xbfc694d1
	v_add_f64 v[19:20], v[21:22], -v[35:36]
	v_rcp_f64_e32 v[25:26], v[37:38]
	v_fma_f64 v[21:22], v[17:18], v[29:30], s[0:1]
	s_mov_b32 s0, 0x11122322
	s_mov_b32 s1, 0x3f811111
	v_add_f64 v[29:30], v[27:28], v[11:12]
	v_fma_f64 v[4:5], v[0:1], v[6:7], -v[4:5]
	v_add_f64 v[15:16], v[15:16], v[19:20]
	v_fma_f64 v[19:20], v[17:18], v[21:22], s[0:1]
	v_fma_f64 v[21:22], -v[37:38], v[25:26], 1.0
	s_mov_b32 s0, 0x555502a1
	s_mov_b32 s1, 0x3fa55555
	v_add_f64 v[31:32], v[29:30], -v[27:28]
	v_add_f64 v[4:5], v[4:5], s[20:21]
	s_mov_b32 s20, 0x724a7ffa
	s_mov_b32 s21, 0x3fd02a63
	v_add_f64 v[15:16], v[29:30], v[15:16]
	v_fma_f64 v[19:20], v[17:18], v[19:20], s[0:1]
	v_fma_f64 v[21:22], v[25:26], v[21:22], v[25:26]
	s_mov_b32 s0, 0x55555511
	s_mov_b32 s1, 0x3fc55555
	v_add_f64 v[25:26], v[29:30], -v[31:32]
	v_add_f64 v[11:12], v[11:12], -v[31:32]
	v_div_scale_f64 v[31:32], vcc_lo, v[13:14], v[2:3], v[13:14]
	v_fma_f64 v[0:1], v[0:1], v[4:5], -v[6:7]
	v_add_f64 v[29:30], v[33:34], v[15:16]
	v_fma_f64 v[19:20], v[17:18], v[19:20], s[0:1]
	v_fma_f64 v[4:5], -v[37:38], v[21:22], 1.0
	s_mov_b32 s0, 11
	s_mov_b32 s1, 0x3fe00000
	v_add_f64 v[25:26], v[27:28], -v[25:26]
	v_add_f64 v[0:1], v[0:1], s[20:21]
	v_add_f64 v[27:28], v[29:30], -v[33:34]
	v_fma_f64 v[19:20], v[17:18], v[19:20], s[0:1]
	v_fma_f64 v[4:5], v[21:22], v[4:5], v[21:22]
	v_cvt_i32_f64_e32 v21, v[23:24]
	v_cmp_neq_f64_e64 s0, 0, v[8:9]
	v_add_f64 v[11:12], v[11:12], v[25:26]
	v_add_f64 v[0:1], v[0:1], -v[6:7]
	v_add_f64 v[15:16], v[15:16], -v[27:28]
	v_fma_f64 v[19:20], v[17:18], v[19:20], 1.0
	v_mul_f64 v[6:7], v[31:32], v[4:5]
	v_mul_f64 v[0:1], v[0:1], 0.5
	v_add_f64 v[11:12], v[11:12], v[15:16]
	v_fma_f64 v[15:16], v[17:18], v[19:20], 1.0
	v_fma_f64 v[17:18], -v[37:38], v[6:7], v[31:32]
	v_mul_f64 v[0:1], v[2:3], v[0:1]
	v_add_f64 v[11:12], v[29:30], v[11:12]
	v_ldexp_f64 v[15:16], v[15:16], v21
	v_div_fmas_f64 v[4:5], v[17:18], v[4:5], v[6:7]
	v_cmp_neq_f64_e32 vcc_lo, 0x7ff00000, v[8:9]
	v_mul_f64 v[0:1], v[15:16], v[0:1]
	v_div_fixup_f64 v[2:3], v[4:5], v[2:3], v[13:14]
	v_cndmask_b32_e32 v6, 0x7ff00000, v12, vcc_lo
	s_and_b32 vcc_lo, s0, vcc_lo
	v_cndmask_b32_e32 v4, 0, v11, vcc_lo
	v_cndmask_b32_e64 v5, 0xfff00000, v6, s0
	v_fma_f64 v[0:1], v[4:5], v[0:1], v[2:3]
                                        ; implicit-def: $vgpr2_vgpr3
.LBB8_15:
	s_andn2_saveexec_b32 s1, s18
	s_cbranch_execz .LBB8_17
; %bb.16:
	v_div_scale_f64 v[0:1], null, v[2:3], v[2:3], 0x40200000
	v_div_scale_f64 v[8:9], vcc_lo, 0x40200000, v[2:3], 0x40200000
	s_mov_b32 s18, 0x838f5ed3
	s_mov_b32 s19, 0x3c74af1a
	;; [unrolled: 1-line block ×4, first 2 shown]
	v_cmp_nlt_f64_e64 s0, 0x4090cc00, v[2:3]
	v_rcp_f64_e32 v[4:5], v[0:1]
	v_fma_f64 v[6:7], -v[0:1], v[4:5], 1.0
	v_fma_f64 v[4:5], v[4:5], v[6:7], v[4:5]
	v_fma_f64 v[6:7], -v[0:1], v[4:5], 1.0
	v_fma_f64 v[4:5], v[4:5], v[6:7], v[4:5]
	v_mul_f64 v[6:7], v[8:9], v[4:5]
	v_fma_f64 v[0:1], -v[0:1], v[6:7], v[8:9]
	v_div_fmas_f64 v[0:1], v[0:1], v[4:5], v[6:7]
	v_cmp_gt_f64_e32 vcc_lo, 0x10000000, v[2:3]
	v_div_fixup_f64 v[0:1], v[0:1], v[2:3], 0x40200000
	v_cndmask_b32_e64 v15, 0, 0x100, vcc_lo
	v_ldexp_f64 v[15:16], v[2:3], v15
	v_add_f64 v[0:1], v[0:1], -2.0
	v_rsq_f64_e32 v[17:18], v[15:16]
	v_fma_f64 v[4:5], v[0:1], s[20:21], s[18:19]
	s_mov_b32 s21, 0x3c5a8c5d
	s_mov_b32 s18, 0x17771d52
	;; [unrolled: 1-line block ×3, first 2 shown]
	v_mul_f64 v[19:20], v[15:16], v[17:18]
	v_mul_f64 v[17:18], v[17:18], 0.5
	v_fma_f64 v[6:7], v[0:1], v[4:5], s[20:21]
	s_mov_b32 s20, 0x6a5dcb37
	s_mov_b32 s21, 0x3e5ade15
	v_fma_f64 v[21:22], -v[17:18], v[19:20], 0.5
	v_add_f64 v[6:7], v[6:7], s[18:19]
	s_mov_b32 s18, 0x44ee2c0b
	s_mov_b32 s19, 0x3caa7d5e
	v_fma_f64 v[19:20], v[19:20], v[21:22], v[19:20]
	v_fma_f64 v[17:18], v[17:18], v[21:22], v[17:18]
	v_fma_f64 v[4:5], v[0:1], v[6:7], -v[4:5]
	v_fma_f64 v[21:22], -v[19:20], v[19:20], v[15:16]
	v_add_f64 v[4:5], v[4:5], s[18:19]
	s_mov_b32 s18, 0xd8758ef2
	s_mov_b32 s19, 0xbcc5d2a3
	v_fma_f64 v[6:7], v[0:1], v[4:5], -v[6:7]
	v_add_f64 v[6:7], v[6:7], s[18:19]
	s_mov_b32 s18, 0xefee81bd
	s_mov_b32 s19, 0x3ce25ced
	v_fma_f64 v[4:5], v[0:1], v[6:7], -v[4:5]
	;; [unrolled: 4-line block ×14, first 2 shown]
	v_add_f64 v[4:5], v[4:5], s[18:19]
	s_mov_b32 s18, 0x652b82fe
	s_mov_b32 s19, 0xbff71547
	v_mul_f64 v[8:9], v[2:3], s[18:19]
	s_mov_b32 s18, 0x8fada5c6
	s_mov_b32 s19, 0xbe978052
	v_fma_f64 v[6:7], v[0:1], v[4:5], -v[6:7]
	v_rndne_f64_e32 v[8:9], v[8:9]
	v_add_f64 v[6:7], v[6:7], s[18:19]
	s_mov_b32 s18, 0xfefa39ef
	s_mov_b32 s19, 0xbfe62e42
	v_fma_f64 v[11:12], v[8:9], s[18:19], -v[2:3]
	s_mov_b32 s18, 0x3b39803f
	s_mov_b32 s19, 0xbc7abc9e
	v_cndmask_b32_e64 v2, 0, 0xffffff80, vcc_lo
	v_cmp_class_f64_e64 vcc_lo, v[15:16], 0x260
	v_fma_f64 v[4:5], v[0:1], v[6:7], -v[4:5]
	v_fma_f64 v[11:12], v[8:9], s[18:19], v[11:12]
	s_mov_b32 s18, 0x1752d1b6
	s_mov_b32 s19, 0x3ec42fe3
	v_add_f64 v[4:5], v[4:5], s[18:19]
	s_mov_b32 s18, 0xfca7ab0c
	s_mov_b32 s19, 0x3e928af3
	v_fma_f64 v[13:14], v[11:12], s[20:21], s[18:19]
	s_mov_b32 s18, 0x623fde64
	s_mov_b32 s19, 0x3ec71dee
	v_fma_f64 v[6:7], v[0:1], v[4:5], -v[6:7]
	v_fma_f64 v[13:14], v[11:12], v[13:14], s[18:19]
	s_mov_b32 s18, 0x1dcdb2e5
	s_mov_b32 s19, 0xbef44d71
	v_add_f64 v[6:7], v[6:7], s[18:19]
	s_mov_b32 s18, 0x7c89e6b0
	s_mov_b32 s19, 0x3efa0199
	v_fma_f64 v[13:14], v[11:12], v[13:14], s[18:19]
	s_mov_b32 s18, 0x14761f6e
	s_mov_b32 s19, 0x3f2a01a0
	;; [unrolled: 10-line block ×5, first 2 shown]
	v_fma_f64 v[0:1], v[0:1], v[4:5], -v[6:7]
	v_fma_f64 v[4:5], v[21:22], v[17:18], v[19:20]
	v_cvt_i32_f64_e32 v21, v[8:9]
	v_fma_f64 v[13:14], v[11:12], v[13:14], 1.0
	v_add_f64 v[0:1], v[0:1], s[18:19]
	v_fma_f64 v[19:20], -v[4:5], v[4:5], v[15:16]
	v_fma_f64 v[8:9], v[11:12], v[13:14], 1.0
	v_add_f64 v[0:1], v[0:1], -v[6:7]
	v_fma_f64 v[4:5], v[19:20], v[17:18], v[4:5]
	v_ldexp_f64 v[6:7], v[8:9], v21
	v_mul_f64 v[0:1], v[0:1], 0.5
	v_ldexp_f64 v[2:3], v[4:5], v2
	v_cndmask_b32_e64 v5, 0, v7, s0
	v_cndmask_b32_e64 v4, 0, v6, s0
	v_mul_f64 v[0:1], v[4:5], v[0:1]
	v_cndmask_b32_e32 v3, v3, v16, vcc_lo
	v_cndmask_b32_e32 v2, v2, v15, vcc_lo
	v_div_scale_f64 v[4:5], null, v[2:3], v[2:3], v[0:1]
	v_rcp_f64_e32 v[6:7], v[4:5]
	v_fma_f64 v[8:9], -v[4:5], v[6:7], 1.0
	v_fma_f64 v[6:7], v[6:7], v[8:9], v[6:7]
	v_fma_f64 v[8:9], -v[4:5], v[6:7], 1.0
	v_fma_f64 v[6:7], v[6:7], v[8:9], v[6:7]
	v_div_scale_f64 v[8:9], vcc_lo, v[0:1], v[2:3], v[0:1]
	v_mul_f64 v[11:12], v[8:9], v[6:7]
	v_fma_f64 v[4:5], -v[4:5], v[11:12], v[8:9]
	v_div_fmas_f64 v[4:5], v[4:5], v[6:7], v[11:12]
	v_div_fixup_f64 v[0:1], v[4:5], v[2:3], v[0:1]
.LBB8_17:
	s_or_b32 exec_lo, exec_lo, s1
.LBB8_18:
	s_or_b32 exec_lo, exec_lo, s17
.LBB8_19:
	s_or_b32 exec_lo, exec_lo, s12
	v_mul_lo_u32 v2, v10, s2
	s_and_b32 s1, s4, 0xff
	s_cmp_lt_i32 s1, 11
	v_ashrrev_i32_e32 v3, 31, v2
	v_add_co_u32 v4, vcc_lo, s8, v2
	v_add_co_ci_u32_e64 v5, null, s9, v3, vcc_lo
	s_cbranch_scc1 .LBB8_27
; %bb.20:
	s_and_b32 s12, 0xffff, s1
	s_cmp_gt_i32 s12, 25
	s_cbranch_scc0 .LBB8_30
; %bb.21:
	s_cmp_gt_i32 s12, 28
	s_cbranch_scc0 .LBB8_32
; %bb.22:
	s_cmp_gt_i32 s12, 43
	s_cbranch_scc0 .LBB8_34
; %bb.23:
	s_cmp_gt_i32 s12, 45
	s_cbranch_scc0 .LBB8_40
; %bb.24:
	s_mov_b32 s18, 0
	s_mov_b32 s0, -1
	s_cmp_eq_u32 s12, 46
	s_mov_b32 s17, 0
	s_cbranch_scc0 .LBB8_41
; %bb.25:
	v_cvt_f32_f64_e32 v2, v[0:1]
	s_mov_b32 s17, -1
	s_mov_b32 s0, 0
	v_bfe_u32 v3, v2, 16, 1
	v_cmp_o_f32_e32 vcc_lo, v2, v2
	v_add3_u32 v2, v2, v3, 0x7fff
	v_mov_b32_e32 v3, 0x7fc0
	v_cndmask_b32_sdwa v2, v3, v2, vcc_lo dst_sel:DWORD dst_unused:UNUSED_PAD src0_sel:DWORD src1_sel:WORD_1
	global_store_dword v[4:5], v2, off
	s_branch .LBB8_41
.LBB8_26:
	s_mov_b32 s1, 0
                                        ; implicit-def: $vgpr2_vgpr3
	s_cbranch_execnz .LBB8_177
	s_branch .LBB8_209
.LBB8_27:
	s_mov_b32 s0, 0
	s_mov_b32 s17, 0
	s_cbranch_execnz .LBB8_110
.LBB8_28:
	s_andn2_b32 vcc_lo, exec_lo, s17
	s_cbranch_vccnz .LBB8_258
	s_branch .LBB8_148
.LBB8_29:
	s_mov_b32 s12, -1
	s_mov_b32 s1, 0
                                        ; implicit-def: $vgpr2_vgpr3
	s_branch .LBB8_156
.LBB8_30:
	s_mov_b32 s18, -1
	s_mov_b32 s0, 0
	s_mov_b32 s17, 0
	s_branch .LBB8_68
.LBB8_31:
	s_mov_b32 s12, -1
	s_mov_b32 s1, 0
                                        ; implicit-def: $vgpr2_vgpr3
	s_branch .LBB8_151
.LBB8_32:
	s_mov_b32 s18, -1
	s_mov_b32 s0, 0
	s_mov_b32 s17, 0
	s_branch .LBB8_51
.LBB8_33:
	s_mov_b32 s12, -1
	s_branch .LBB8_36
.LBB8_34:
	s_mov_b32 s18, -1
	s_mov_b32 s0, 0
	s_mov_b32 s17, 0
	s_branch .LBB8_47
.LBB8_35:
	s_mov_b32 s14, -1
.LBB8_36:
	s_mov_b32 s1, 0
                                        ; implicit-def: $vgpr2_vgpr3
.LBB8_37:
	s_and_b32 vcc_lo, exec_lo, s12
	s_cbranch_vccz .LBB8_150
; %bb.38:
	s_cmp_eq_u32 s0, 44
	s_cbranch_scc0 .LBB8_149
; %bb.39:
	global_load_ubyte v4, v[0:1], off
	s_mov_b32 s14, 0
	s_mov_b32 s1, -1
	s_waitcnt vmcnt(0)
	v_lshlrev_b32_e32 v2, 23, v4
	v_cmp_ne_u32_e32 vcc_lo, 0xff, v4
	v_cvt_f64_f32_e32 v[2:3], v2
	v_cndmask_b32_e32 v2, 0x20000000, v2, vcc_lo
	v_cndmask_b32_e32 v3, 0x7ff80000, v3, vcc_lo
	v_cmp_ne_u32_e32 vcc_lo, 0, v4
	v_cndmask_b32_e32 v3, 0x38000000, v3, vcc_lo
	v_cndmask_b32_e32 v2, 0, v2, vcc_lo
	s_branch .LBB8_150
.LBB8_40:
	s_mov_b32 s18, -1
	s_mov_b32 s0, 0
	s_mov_b32 s17, 0
.LBB8_41:
	s_and_b32 vcc_lo, exec_lo, s18
	s_cbranch_vccz .LBB8_46
; %bb.42:
	s_cmp_eq_u32 s12, 44
	s_mov_b32 s0, -1
	s_cbranch_scc0 .LBB8_46
; %bb.43:
	v_cvt_f32_f64_e32 v2, v[0:1]
	v_mov_b32_e32 v3, 0xff
	s_mov_b32 s17, exec_lo
	v_bfe_u32 v6, v2, 23, 8
	v_cmpx_ne_u32_e32 0xff, v6
	s_cbranch_execz .LBB8_45
; %bb.44:
	v_and_b32_e32 v3, 0x400000, v2
	v_and_or_b32 v6, 0x3fffff, v2, v6
	v_lshrrev_b32_e32 v2, 23, v2
	v_cmp_ne_u32_e32 vcc_lo, 0, v3
	v_cmp_ne_u32_e64 s0, 0, v6
	s_and_b32 s0, vcc_lo, s0
	v_cndmask_b32_e64 v3, 0, 1, s0
	v_add_nc_u32_e32 v3, v2, v3
.LBB8_45:
	s_or_b32 exec_lo, exec_lo, s17
	s_mov_b32 s17, -1
	s_mov_b32 s0, 0
	global_store_byte v[4:5], v3, off
.LBB8_46:
	s_mov_b32 s18, 0
.LBB8_47:
	s_and_b32 vcc_lo, exec_lo, s18
	s_cbranch_vccz .LBB8_50
; %bb.48:
	s_cmp_eq_u32 s12, 29
	s_mov_b32 s0, -1
	s_cbranch_scc0 .LBB8_50
; %bb.49:
	v_trunc_f64_e32 v[2:3], v[0:1]
	s_mov_b32 s17, -1
	s_mov_b32 s0, 0
	s_mov_b32 s18, 0
	v_ldexp_f64 v[6:7], v[2:3], 0xffffffe0
	v_floor_f64_e32 v[6:7], v[6:7]
	v_fma_f64 v[2:3], 0xc1f00000, v[6:7], v[2:3]
	v_cvt_u32_f64_e32 v7, v[6:7]
	v_cvt_u32_f64_e32 v6, v[2:3]
	global_store_dwordx2 v[4:5], v[6:7], off
	s_branch .LBB8_51
.LBB8_50:
	s_mov_b32 s18, 0
.LBB8_51:
	s_and_b32 vcc_lo, exec_lo, s18
	s_cbranch_vccz .LBB8_67
; %bb.52:
	s_cmp_lt_i32 s12, 27
	s_mov_b32 s17, -1
	s_cbranch_scc1 .LBB8_58
; %bb.53:
	v_cvt_u32_f64_e32 v2, v[0:1]
	s_cmp_gt_i32 s12, 27
	s_cbranch_scc0 .LBB8_55
; %bb.54:
	s_mov_b32 s17, 0
	global_store_dword v[4:5], v2, off
.LBB8_55:
	s_andn2_b32 vcc_lo, exec_lo, s17
	s_cbranch_vccnz .LBB8_57
; %bb.56:
	global_store_short v[4:5], v2, off
.LBB8_57:
	s_mov_b32 s17, 0
.LBB8_58:
	s_andn2_b32 vcc_lo, exec_lo, s17
	s_cbranch_vccnz .LBB8_66
; %bb.59:
	v_cvt_f32_f64_e32 v2, v[0:1]
	v_mov_b32_e32 v6, 0x80
	s_mov_b32 s17, exec_lo
	v_and_b32_e32 v3, 0x7fffffff, v2
	v_cmpx_gt_u32_e32 0x43800000, v3
	s_cbranch_execz .LBB8_65
; %bb.60:
	v_cmp_lt_u32_e32 vcc_lo, 0x3bffffff, v3
	s_mov_b32 s18, 0
                                        ; implicit-def: $vgpr3
	s_and_saveexec_b32 s19, vcc_lo
	s_xor_b32 s19, exec_lo, s19
	s_cbranch_execz .LBB8_295
; %bb.61:
	v_bfe_u32 v3, v2, 20, 1
	s_mov_b32 s18, exec_lo
	v_add3_u32 v3, v2, v3, 0x487ffff
	v_lshrrev_b32_e32 v3, 20, v3
	s_andn2_saveexec_b32 s19, s19
	s_cbranch_execnz .LBB8_296
.LBB8_62:
	s_or_b32 exec_lo, exec_lo, s19
	v_mov_b32_e32 v6, 0
	s_and_saveexec_b32 s19, s18
.LBB8_63:
	v_lshrrev_b32_e32 v2, 24, v2
	v_and_or_b32 v6, 0x80, v2, v3
.LBB8_64:
	s_or_b32 exec_lo, exec_lo, s19
.LBB8_65:
	s_or_b32 exec_lo, exec_lo, s17
	global_store_byte v[4:5], v6, off
.LBB8_66:
	s_mov_b32 s17, -1
.LBB8_67:
	s_mov_b32 s18, 0
.LBB8_68:
	s_and_b32 vcc_lo, exec_lo, s18
	s_cbranch_vccz .LBB8_109
; %bb.69:
	s_cmp_gt_i32 s12, 22
	s_mov_b32 s18, -1
	s_cbranch_scc0 .LBB8_101
; %bb.70:
	s_cmp_lt_i32 s12, 24
	s_mov_b32 s17, -1
	s_cbranch_scc1 .LBB8_90
; %bb.71:
	s_cmp_gt_i32 s12, 24
	s_cbranch_scc0 .LBB8_79
; %bb.72:
	v_cvt_f32_f64_e32 v2, v[0:1]
	v_mov_b32_e32 v6, 0x80
	s_mov_b32 s17, exec_lo
	v_and_b32_e32 v3, 0x7fffffff, v2
	v_cmpx_gt_u32_e32 0x47800000, v3
	s_cbranch_execz .LBB8_78
; %bb.73:
	v_cmp_lt_u32_e32 vcc_lo, 0x37ffffff, v3
	s_mov_b32 s18, 0
                                        ; implicit-def: $vgpr3
	s_and_saveexec_b32 s19, vcc_lo
	s_xor_b32 s19, exec_lo, s19
	s_cbranch_execz .LBB8_299
; %bb.74:
	v_bfe_u32 v3, v2, 21, 1
	s_mov_b32 s18, exec_lo
	v_add3_u32 v3, v2, v3, 0x88fffff
	v_lshrrev_b32_e32 v3, 21, v3
	s_andn2_saveexec_b32 s19, s19
	s_cbranch_execnz .LBB8_300
.LBB8_75:
	s_or_b32 exec_lo, exec_lo, s19
	v_mov_b32_e32 v6, 0
	s_and_saveexec_b32 s19, s18
.LBB8_76:
	v_lshrrev_b32_e32 v2, 24, v2
	v_and_or_b32 v6, 0x80, v2, v3
.LBB8_77:
	s_or_b32 exec_lo, exec_lo, s19
.LBB8_78:
	s_or_b32 exec_lo, exec_lo, s17
	s_mov_b32 s17, 0
	global_store_byte v[4:5], v6, off
.LBB8_79:
	s_and_b32 vcc_lo, exec_lo, s17
	s_cbranch_vccz .LBB8_89
; %bb.80:
	v_cvt_f32_f64_e32 v2, v[0:1]
	s_mov_b32 s17, exec_lo
                                        ; implicit-def: $vgpr3
	v_and_b32_e32 v6, 0x7fffffff, v2
	v_cmpx_gt_u32_e32 0x43f00000, v6
	s_xor_b32 s17, exec_lo, s17
	s_cbranch_execz .LBB8_86
; %bb.81:
	s_mov_b32 s18, exec_lo
                                        ; implicit-def: $vgpr3
	v_cmpx_lt_u32_e32 0x3c7fffff, v6
	s_xor_b32 s18, exec_lo, s18
; %bb.82:
	v_bfe_u32 v3, v2, 20, 1
	v_add3_u32 v3, v2, v3, 0x407ffff
	v_and_b32_e32 v6, 0xff00000, v3
	v_lshrrev_b32_e32 v3, 20, v3
	v_cmp_ne_u32_e32 vcc_lo, 0x7f00000, v6
	v_cndmask_b32_e32 v3, 0x7e, v3, vcc_lo
; %bb.83:
	s_andn2_saveexec_b32 s18, s18
; %bb.84:
	v_add_f32_e64 v3, 0x46800000, |v2|
; %bb.85:
	s_or_b32 exec_lo, exec_lo, s18
                                        ; implicit-def: $vgpr6
.LBB8_86:
	s_andn2_saveexec_b32 s17, s17
; %bb.87:
	v_mov_b32_e32 v3, 0x7f
	v_cmp_lt_u32_e32 vcc_lo, 0x7f800000, v6
	v_cndmask_b32_e32 v3, 0x7e, v3, vcc_lo
; %bb.88:
	s_or_b32 exec_lo, exec_lo, s17
	v_lshrrev_b32_e32 v2, 24, v2
	v_and_or_b32 v2, 0x80, v2, v3
	global_store_byte v[4:5], v2, off
.LBB8_89:
	s_mov_b32 s17, 0
.LBB8_90:
	s_andn2_b32 vcc_lo, exec_lo, s17
	s_cbranch_vccnz .LBB8_100
; %bb.91:
	v_cvt_f32_f64_e32 v2, v[0:1]
	s_mov_b32 s17, exec_lo
                                        ; implicit-def: $vgpr3
	v_and_b32_e32 v6, 0x7fffffff, v2
	v_cmpx_gt_u32_e32 0x47800000, v6
	s_xor_b32 s17, exec_lo, s17
	s_cbranch_execz .LBB8_97
; %bb.92:
	s_mov_b32 s18, exec_lo
                                        ; implicit-def: $vgpr3
	v_cmpx_lt_u32_e32 0x387fffff, v6
	s_xor_b32 s18, exec_lo, s18
; %bb.93:
	v_bfe_u32 v3, v2, 21, 1
	v_add3_u32 v3, v2, v3, 0x80fffff
	v_lshrrev_b32_e32 v3, 21, v3
; %bb.94:
	s_andn2_saveexec_b32 s18, s18
; %bb.95:
	v_add_f32_e64 v3, 0x43000000, |v2|
; %bb.96:
	s_or_b32 exec_lo, exec_lo, s18
                                        ; implicit-def: $vgpr6
.LBB8_97:
	s_andn2_saveexec_b32 s17, s17
; %bb.98:
	v_mov_b32_e32 v3, 0x7f
	v_cmp_lt_u32_e32 vcc_lo, 0x7f800000, v6
	v_cndmask_b32_e32 v3, 0x7c, v3, vcc_lo
; %bb.99:
	s_or_b32 exec_lo, exec_lo, s17
	v_lshrrev_b32_e32 v2, 24, v2
	v_and_or_b32 v2, 0x80, v2, v3
	global_store_byte v[4:5], v2, off
.LBB8_100:
	s_mov_b32 s18, 0
	s_mov_b32 s17, -1
.LBB8_101:
	s_andn2_b32 vcc_lo, exec_lo, s18
	s_cbranch_vccnz .LBB8_109
; %bb.102:
	s_cmp_gt_i32 s12, 14
	s_mov_b32 s18, -1
	s_cbranch_scc0 .LBB8_106
; %bb.103:
	s_cmp_eq_u32 s12, 15
	s_mov_b32 s0, -1
	s_cbranch_scc0 .LBB8_105
; %bb.104:
	v_cvt_f32_f64_e32 v2, v[0:1]
	s_mov_b32 s17, -1
	s_mov_b32 s0, 0
	v_bfe_u32 v3, v2, 16, 1
	v_cmp_o_f32_e32 vcc_lo, v2, v2
	v_add3_u32 v2, v2, v3, 0x7fff
	v_mov_b32_e32 v3, 0x7fc0
	v_cndmask_b32_sdwa v2, v3, v2, vcc_lo dst_sel:DWORD dst_unused:UNUSED_PAD src0_sel:DWORD src1_sel:WORD_1
	global_store_short v[4:5], v2, off
.LBB8_105:
	s_mov_b32 s18, 0
.LBB8_106:
	s_and_b32 vcc_lo, exec_lo, s18
	s_cbranch_vccz .LBB8_109
; %bb.107:
	s_cmp_eq_u32 s12, 11
	s_mov_b32 s0, -1
	s_cbranch_scc0 .LBB8_109
; %bb.108:
	v_cmp_neq_f64_e32 vcc_lo, 0, v[0:1]
	s_mov_b32 s17, -1
	s_mov_b32 s0, 0
	v_cndmask_b32_e64 v2, 0, 1, vcc_lo
	global_store_byte v[4:5], v2, off
.LBB8_109:
	s_branch .LBB8_28
.LBB8_110:
	s_and_b32 s1, 0xffff, s1
	s_mov_b32 s12, -1
	s_cmp_lt_i32 s1, 5
	s_cbranch_scc1 .LBB8_131
; %bb.111:
	s_cmp_lt_i32 s1, 8
	s_cbranch_scc1 .LBB8_121
; %bb.112:
	;; [unrolled: 3-line block ×3, first 2 shown]
	s_cmp_gt_i32 s1, 9
	s_cbranch_scc0 .LBB8_115
; %bb.114:
	v_mov_b32_e32 v2, 0
	s_mov_b32 s12, 0
	v_mov_b32_e32 v3, v2
	global_store_dwordx4 v[4:5], v[0:3], off
.LBB8_115:
	s_andn2_b32 vcc_lo, exec_lo, s12
	s_cbranch_vccnz .LBB8_117
; %bb.116:
	v_cvt_f32_f64_e32 v2, v[0:1]
	v_mov_b32_e32 v3, 0
	global_store_dwordx2 v[4:5], v[2:3], off
.LBB8_117:
	s_mov_b32 s12, 0
.LBB8_118:
	s_andn2_b32 vcc_lo, exec_lo, s12
	s_cbranch_vccnz .LBB8_120
; %bb.119:
	v_and_or_b32 v2, 0x1ff, v1, v0
	v_lshrrev_b32_e32 v3, 8, v1
	v_bfe_u32 v6, v1, 20, 11
	v_cmp_ne_u32_e32 vcc_lo, 0, v2
	v_sub_nc_u32_e32 v7, 0x3f1, v6
	v_add_nc_u32_e32 v6, 0xfffffc10, v6
	v_cndmask_b32_e64 v2, 0, 1, vcc_lo
	v_and_or_b32 v2, 0xffe, v3, v2
	v_med3_i32 v3, v7, 0, 13
	v_or_b32_e32 v7, 0x1000, v2
	v_lshrrev_b32_e32 v8, v3, v7
	v_lshlrev_b32_e32 v3, v3, v8
	v_cmp_ne_u32_e32 vcc_lo, v3, v7
	v_lshl_or_b32 v7, v6, 12, v2
	v_cndmask_b32_e64 v3, 0, 1, vcc_lo
	v_cmp_gt_i32_e32 vcc_lo, 1, v6
	v_or_b32_e32 v3, v8, v3
	v_cndmask_b32_e32 v3, v7, v3, vcc_lo
	v_and_b32_e32 v7, 7, v3
	v_lshrrev_b32_e32 v3, 2, v3
	v_cmp_lt_i32_e32 vcc_lo, 5, v7
	v_cndmask_b32_e64 v8, 0, 1, vcc_lo
	v_cmp_eq_u32_e32 vcc_lo, 3, v7
	v_cndmask_b32_e64 v7, 0, 1, vcc_lo
	v_cmp_ne_u32_e32 vcc_lo, 0, v2
	v_or_b32_e32 v7, v7, v8
	v_mov_b32_e32 v8, 0x7e00
	v_add_nc_u32_e32 v3, v3, v7
	v_cndmask_b32_e32 v2, 0x7c00, v8, vcc_lo
	v_cmp_gt_i32_e32 vcc_lo, 31, v6
	v_cndmask_b32_e32 v3, 0x7c00, v3, vcc_lo
	v_cmp_eq_u32_e32 vcc_lo, 0x40f, v6
	v_cndmask_b32_e32 v2, v3, v2, vcc_lo
	v_lshrrev_b32_e32 v3, 16, v1
	v_and_or_b32 v2, 0x8000, v3, v2
	v_and_b32_e32 v2, 0xffff, v2
	global_store_dword v[4:5], v2, off
.LBB8_120:
	s_mov_b32 s12, 0
.LBB8_121:
	s_andn2_b32 vcc_lo, exec_lo, s12
	s_cbranch_vccnz .LBB8_130
; %bb.122:
	s_cmp_lt_i32 s1, 6
	s_mov_b32 s12, -1
	s_cbranch_scc1 .LBB8_128
; %bb.123:
	s_cmp_gt_i32 s1, 6
	s_cbranch_scc0 .LBB8_125
; %bb.124:
	s_mov_b32 s12, 0
	global_store_dwordx2 v[4:5], v[0:1], off
.LBB8_125:
	s_andn2_b32 vcc_lo, exec_lo, s12
	s_cbranch_vccnz .LBB8_127
; %bb.126:
	v_cvt_f32_f64_e32 v2, v[0:1]
	global_store_dword v[4:5], v2, off
.LBB8_127:
	s_mov_b32 s12, 0
.LBB8_128:
	s_andn2_b32 vcc_lo, exec_lo, s12
	s_cbranch_vccnz .LBB8_130
; %bb.129:
	v_and_or_b32 v2, 0x1ff, v1, v0
	v_lshrrev_b32_e32 v3, 8, v1
	v_bfe_u32 v6, v1, 20, 11
	v_cmp_ne_u32_e32 vcc_lo, 0, v2
	v_sub_nc_u32_e32 v7, 0x3f1, v6
	v_add_nc_u32_e32 v6, 0xfffffc10, v6
	v_cndmask_b32_e64 v2, 0, 1, vcc_lo
	v_and_or_b32 v2, 0xffe, v3, v2
	v_med3_i32 v3, v7, 0, 13
	v_or_b32_e32 v7, 0x1000, v2
	v_lshrrev_b32_e32 v8, v3, v7
	v_lshlrev_b32_e32 v3, v3, v8
	v_cmp_ne_u32_e32 vcc_lo, v3, v7
	v_lshl_or_b32 v7, v6, 12, v2
	v_cndmask_b32_e64 v3, 0, 1, vcc_lo
	v_cmp_gt_i32_e32 vcc_lo, 1, v6
	v_or_b32_e32 v3, v8, v3
	v_cndmask_b32_e32 v3, v7, v3, vcc_lo
	v_and_b32_e32 v7, 7, v3
	v_lshrrev_b32_e32 v3, 2, v3
	v_cmp_lt_i32_e32 vcc_lo, 5, v7
	v_cndmask_b32_e64 v8, 0, 1, vcc_lo
	v_cmp_eq_u32_e32 vcc_lo, 3, v7
	v_cndmask_b32_e64 v7, 0, 1, vcc_lo
	v_cmp_ne_u32_e32 vcc_lo, 0, v2
	v_or_b32_e32 v7, v7, v8
	v_mov_b32_e32 v8, 0x7e00
	v_add_nc_u32_e32 v3, v3, v7
	v_cndmask_b32_e32 v2, 0x7c00, v8, vcc_lo
	v_cmp_gt_i32_e32 vcc_lo, 31, v6
	v_cndmask_b32_e32 v3, 0x7c00, v3, vcc_lo
	v_cmp_eq_u32_e32 vcc_lo, 0x40f, v6
	v_cndmask_b32_e32 v2, v3, v2, vcc_lo
	v_lshrrev_b32_e32 v3, 16, v1
	v_and_or_b32 v2, 0x8000, v3, v2
	global_store_short v[4:5], v2, off
.LBB8_130:
	s_mov_b32 s12, 0
.LBB8_131:
	s_andn2_b32 vcc_lo, exec_lo, s12
	s_cbranch_vccnz .LBB8_147
; %bb.132:
	s_cmp_lt_i32 s1, 2
	s_mov_b32 s12, -1
	s_cbranch_scc1 .LBB8_142
; %bb.133:
	s_cmp_lt_i32 s1, 3
	s_cbranch_scc1 .LBB8_139
; %bb.134:
	s_cmp_gt_i32 s1, 3
	s_cbranch_scc0 .LBB8_136
; %bb.135:
	v_trunc_f64_e32 v[2:3], v[0:1]
	s_mov_b32 s12, 0
	v_ldexp_f64 v[6:7], v[2:3], 0xffffffe0
	v_floor_f64_e32 v[6:7], v[6:7]
	v_fma_f64 v[2:3], 0xc1f00000, v[6:7], v[2:3]
	v_cvt_i32_f64_e32 v7, v[6:7]
	v_cvt_u32_f64_e32 v6, v[2:3]
	global_store_dwordx2 v[4:5], v[6:7], off
.LBB8_136:
	s_andn2_b32 vcc_lo, exec_lo, s12
	s_cbranch_vccnz .LBB8_138
; %bb.137:
	v_cvt_i32_f64_e32 v2, v[0:1]
	global_store_dword v[4:5], v2, off
.LBB8_138:
	s_mov_b32 s12, 0
.LBB8_139:
	s_andn2_b32 vcc_lo, exec_lo, s12
	s_cbranch_vccnz .LBB8_141
; %bb.140:
	v_cvt_i32_f64_e32 v2, v[0:1]
	global_store_short v[4:5], v2, off
.LBB8_141:
	s_mov_b32 s12, 0
.LBB8_142:
	s_andn2_b32 vcc_lo, exec_lo, s12
	s_cbranch_vccnz .LBB8_147
; %bb.143:
	s_cmp_gt_i32 s1, 0
	s_mov_b32 s1, -1
	s_cbranch_scc0 .LBB8_145
; %bb.144:
	v_cvt_i32_f64_e32 v2, v[0:1]
	s_mov_b32 s1, 0
	global_store_byte v[4:5], v2, off
.LBB8_145:
	s_andn2_b32 vcc_lo, exec_lo, s1
	s_cbranch_vccnz .LBB8_147
; %bb.146:
	v_trunc_f64_e32 v[0:1], v[0:1]
	v_ldexp_f64 v[2:3], v[0:1], 0xffffffe0
	v_floor_f64_e32 v[2:3], v[2:3]
	v_fma_f64 v[0:1], 0xc1f00000, v[2:3], v[0:1]
	v_cvt_u32_f64_e32 v0, v[0:1]
	global_store_byte v[4:5], v0, off
.LBB8_147:
.LBB8_148:
	v_add_nc_u32_e32 v10, 0x80, v10
	s_mov_b32 s1, -1
	s_branch .LBB8_259
.LBB8_149:
	s_mov_b32 s14, -1
                                        ; implicit-def: $vgpr2_vgpr3
.LBB8_150:
	s_mov_b32 s12, 0
.LBB8_151:
	s_and_b32 vcc_lo, exec_lo, s12
	s_cbranch_vccz .LBB8_155
; %bb.152:
	s_cmp_eq_u32 s0, 29
	s_cbranch_scc0 .LBB8_154
; %bb.153:
	global_load_dwordx2 v[2:3], v[0:1], off
	s_mov_b32 s1, -1
	s_mov_b32 s14, 0
	s_mov_b32 s12, 0
	s_waitcnt vmcnt(0)
	v_cvt_f64_u32_e32 v[3:4], v3
	v_cvt_f64_u32_e32 v[5:6], v2
	v_ldexp_f64 v[3:4], v[3:4], 32
	v_add_f64 v[2:3], v[3:4], v[5:6]
	s_branch .LBB8_156
.LBB8_154:
	s_mov_b32 s14, -1
                                        ; implicit-def: $vgpr2_vgpr3
.LBB8_155:
	s_mov_b32 s12, 0
.LBB8_156:
	s_and_b32 vcc_lo, exec_lo, s12
	s_cbranch_vccz .LBB8_176
; %bb.157:
	s_cmp_lt_i32 s0, 27
	s_cbranch_scc1 .LBB8_160
; %bb.158:
	s_cmp_gt_i32 s0, 27
	s_cbranch_scc0 .LBB8_161
; %bb.159:
	global_load_dword v2, v[0:1], off
	s_mov_b32 s1, 0
	s_waitcnt vmcnt(0)
	v_cvt_f64_u32_e32 v[2:3], v2
	s_branch .LBB8_162
.LBB8_160:
	s_mov_b32 s1, -1
                                        ; implicit-def: $vgpr2_vgpr3
	s_branch .LBB8_165
.LBB8_161:
	s_mov_b32 s1, -1
                                        ; implicit-def: $vgpr2_vgpr3
.LBB8_162:
	s_andn2_b32 vcc_lo, exec_lo, s1
	s_cbranch_vccnz .LBB8_164
; %bb.163:
	global_load_ushort v2, v[0:1], off
	s_waitcnt vmcnt(0)
	v_cvt_f64_u32_e32 v[2:3], v2
.LBB8_164:
	s_mov_b32 s1, 0
.LBB8_165:
	s_andn2_b32 vcc_lo, exec_lo, s1
	s_cbranch_vccnz .LBB8_175
; %bb.166:
	global_load_ubyte v4, v[0:1], off
	s_mov_b32 s1, 0
	s_mov_b32 s12, exec_lo
	s_waitcnt vmcnt(0)
	v_cmpx_lt_i16_e32 0x7f, v4
	s_xor_b32 s12, exec_lo, s12
	s_cbranch_execz .LBB8_170
; %bb.167:
	s_mov_b32 s1, -1
	s_mov_b32 s17, exec_lo
	v_cmpx_eq_u16_e32 0x80, v4
; %bb.168:
	s_xor_b32 s1, exec_lo, -1
; %bb.169:
	s_or_b32 exec_lo, exec_lo, s17
	s_and_b32 s1, s1, exec_lo
.LBB8_170:
	s_or_saveexec_b32 s12, s12
	v_bfrev_b32_e32 v2, 4
	v_mov_b32_e32 v3, 0x7ff80000
	s_xor_b32 exec_lo, exec_lo, s12
; %bb.171:
	v_cmp_ne_u16_e32 vcc_lo, 0, v4
	v_mov_b32_e32 v2, 0
	v_mov_b32_e32 v3, 0
	s_andn2_b32 s1, s1, exec_lo
	s_and_b32 s17, vcc_lo, exec_lo
	s_or_b32 s1, s1, s17
; %bb.172:
	s_or_b32 exec_lo, exec_lo, s12
	s_and_saveexec_b32 s12, s1
	s_cbranch_execz .LBB8_174
; %bb.173:
	v_and_b32_e32 v2, 0xffff, v4
	v_lshlrev_b32_e32 v4, 24, v4
	v_and_b32_e32 v3, 7, v2
	v_bfe_u32 v7, v2, 3, 4
	v_ffbh_u32_e32 v5, v3
	v_cmp_eq_u32_e32 vcc_lo, 0, v7
	v_min_u32_e32 v5, 32, v5
	v_subrev_nc_u32_e32 v6, 28, v5
	v_sub_nc_u32_e32 v5, 29, v5
	v_lshlrev_b32_e32 v2, v6, v2
	v_cndmask_b32_e32 v5, v7, v5, vcc_lo
	v_and_b32_e32 v2, 7, v2
	v_cndmask_b32_e32 v2, v3, v2, vcc_lo
	v_and_b32_e32 v3, 0x80000000, v4
	v_lshl_add_u32 v4, v5, 23, 0x3b800000
	v_lshlrev_b32_e32 v2, 20, v2
	v_or3_b32 v2, v3, v4, v2
	v_cvt_f64_f32_e32 v[2:3], v2
.LBB8_174:
	s_or_b32 exec_lo, exec_lo, s12
.LBB8_175:
	s_mov_b32 s1, -1
.LBB8_176:
	s_branch .LBB8_209
.LBB8_177:
	s_cmp_gt_i32 s0, 22
	s_cbranch_scc0 .LBB8_189
; %bb.178:
	s_cmp_lt_i32 s0, 24
	s_cbranch_scc1 .LBB8_190
; %bb.179:
	s_cmp_gt_i32 s0, 24
	s_cbranch_scc0 .LBB8_191
; %bb.180:
	global_load_ubyte v4, v[0:1], off
	s_mov_b32 s1, 0
	s_mov_b32 s12, exec_lo
	s_waitcnt vmcnt(0)
	v_cmpx_lt_i16_e32 0x7f, v4
	s_xor_b32 s12, exec_lo, s12
	s_cbranch_execz .LBB8_184
; %bb.181:
	s_mov_b32 s1, -1
	s_mov_b32 s17, exec_lo
	v_cmpx_eq_u16_e32 0x80, v4
; %bb.182:
	s_xor_b32 s1, exec_lo, -1
; %bb.183:
	s_or_b32 exec_lo, exec_lo, s17
	s_and_b32 s1, s1, exec_lo
.LBB8_184:
	s_or_saveexec_b32 s12, s12
	v_bfrev_b32_e32 v2, 4
	v_mov_b32_e32 v3, 0x7ff80000
	s_xor_b32 exec_lo, exec_lo, s12
; %bb.185:
	v_cmp_ne_u16_e32 vcc_lo, 0, v4
	v_mov_b32_e32 v2, 0
	v_mov_b32_e32 v3, 0
	s_andn2_b32 s1, s1, exec_lo
	s_and_b32 s17, vcc_lo, exec_lo
	s_or_b32 s1, s1, s17
; %bb.186:
	s_or_b32 exec_lo, exec_lo, s12
	s_and_saveexec_b32 s12, s1
	s_cbranch_execz .LBB8_188
; %bb.187:
	v_and_b32_e32 v2, 0xffff, v4
	v_lshlrev_b32_e32 v4, 24, v4
	v_and_b32_e32 v3, 3, v2
	v_bfe_u32 v7, v2, 2, 5
	v_ffbh_u32_e32 v5, v3
	v_cmp_eq_u32_e32 vcc_lo, 0, v7
	v_min_u32_e32 v5, 32, v5
	v_subrev_nc_u32_e32 v6, 29, v5
	v_sub_nc_u32_e32 v5, 30, v5
	v_lshlrev_b32_e32 v2, v6, v2
	v_cndmask_b32_e32 v5, v7, v5, vcc_lo
	v_and_b32_e32 v2, 3, v2
	v_cndmask_b32_e32 v2, v3, v2, vcc_lo
	v_and_b32_e32 v3, 0x80000000, v4
	v_lshl_add_u32 v4, v5, 23, 0x37800000
	v_lshlrev_b32_e32 v2, 21, v2
	v_or3_b32 v2, v3, v4, v2
	v_cvt_f64_f32_e32 v[2:3], v2
.LBB8_188:
	s_or_b32 exec_lo, exec_lo, s12
	s_mov_b32 s1, 0
	s_branch .LBB8_192
.LBB8_189:
	s_mov_b32 s12, -1
                                        ; implicit-def: $vgpr2_vgpr3
	s_branch .LBB8_198
.LBB8_190:
	s_mov_b32 s1, -1
                                        ; implicit-def: $vgpr2_vgpr3
	s_branch .LBB8_195
.LBB8_191:
	s_mov_b32 s1, -1
                                        ; implicit-def: $vgpr2_vgpr3
.LBB8_192:
	s_and_b32 vcc_lo, exec_lo, s1
	s_cbranch_vccz .LBB8_194
; %bb.193:
	global_load_ubyte v2, v[0:1], off
	s_waitcnt vmcnt(0)
	v_lshlrev_b32_e32 v2, 24, v2
	v_and_b32_e32 v3, 0x7f000000, v2
	v_ffbh_u32_e32 v4, v3
	v_add_nc_u32_e32 v6, 0x1000000, v3
	v_cmp_ne_u32_e32 vcc_lo, 0, v3
	v_min_u32_e32 v4, 32, v4
	v_sub_nc_u32_e64 v4, v4, 4 clamp
	v_lshlrev_b32_e32 v5, v4, v3
	v_lshlrev_b32_e32 v4, 23, v4
	v_lshrrev_b32_e32 v5, 4, v5
	v_sub_nc_u32_e32 v4, v5, v4
	v_ashrrev_i32_e32 v5, 8, v6
	v_add_nc_u32_e32 v4, 0x3c000000, v4
	v_and_or_b32 v4, 0x7f800000, v5, v4
	v_cndmask_b32_e32 v3, 0, v4, vcc_lo
	v_and_or_b32 v2, 0x80000000, v2, v3
	v_cvt_f64_f32_e32 v[2:3], v2
.LBB8_194:
	s_mov_b32 s1, 0
.LBB8_195:
	s_andn2_b32 vcc_lo, exec_lo, s1
	s_cbranch_vccnz .LBB8_197
; %bb.196:
	global_load_ubyte v2, v[0:1], off
	s_waitcnt vmcnt(0)
	v_lshlrev_b32_e32 v3, 25, v2
	v_lshlrev_b16 v2, 8, v2
	v_lshrrev_b32_e32 v4, 4, v3
	v_and_or_b32 v5, 0x7f00, v2, 0.5
	v_cmp_gt_u32_e32 vcc_lo, 0x8000000, v3
	v_bfe_i32 v2, v2, 0, 16
	v_or_b32_e32 v4, 0x70000000, v4
	v_add_f32_e32 v5, -0.5, v5
	v_mul_f32_e32 v4, 0x7800000, v4
	v_cndmask_b32_e32 v3, v4, v5, vcc_lo
	v_and_or_b32 v2, 0x80000000, v2, v3
	v_cvt_f64_f32_e32 v[2:3], v2
.LBB8_197:
	s_mov_b32 s12, 0
	s_mov_b32 s1, -1
.LBB8_198:
	s_andn2_b32 vcc_lo, exec_lo, s12
	s_cbranch_vccnz .LBB8_209
; %bb.199:
	s_cmp_gt_i32 s0, 14
	s_cbranch_scc0 .LBB8_202
; %bb.200:
	s_cmp_eq_u32 s0, 15
	s_cbranch_scc0 .LBB8_203
; %bb.201:
	global_load_ushort v2, v[0:1], off
	s_mov_b32 s1, -1
	s_mov_b32 s14, 0
	s_waitcnt vmcnt(0)
	v_lshlrev_b32_e32 v2, 16, v2
	v_cvt_f64_f32_e32 v[2:3], v2
	s_branch .LBB8_204
.LBB8_202:
	s_mov_b32 s12, -1
                                        ; implicit-def: $vgpr2_vgpr3
	s_branch .LBB8_205
.LBB8_203:
	s_mov_b32 s14, -1
                                        ; implicit-def: $vgpr2_vgpr3
.LBB8_204:
	s_mov_b32 s12, 0
.LBB8_205:
	s_and_b32 vcc_lo, exec_lo, s12
	s_cbranch_vccz .LBB8_209
; %bb.206:
	s_cmp_eq_u32 s0, 11
	s_cbranch_scc0 .LBB8_208
; %bb.207:
	global_load_ubyte v2, v[0:1], off
	s_mov_b32 s14, 0
	s_mov_b32 s1, -1
	s_waitcnt vmcnt(0)
	v_cmp_ne_u16_e32 vcc_lo, 0, v2
	v_mov_b32_e32 v2, 0
	v_cndmask_b32_e64 v3, 0, 0x3ff00000, vcc_lo
	s_branch .LBB8_209
.LBB8_208:
	s_mov_b32 s14, -1
                                        ; implicit-def: $vgpr2_vgpr3
.LBB8_209:
	s_branch .LBB8_10
.LBB8_210:
	s_cmp_lt_i32 s0, 5
	s_cbranch_scc1 .LBB8_215
; %bb.211:
	s_cmp_lt_i32 s0, 8
	s_cbranch_scc1 .LBB8_216
; %bb.212:
	s_cmp_lt_i32 s0, 9
	s_cbranch_scc1 .LBB8_217
; %bb.213:
	s_cmp_gt_i32 s0, 9
	s_cbranch_scc0 .LBB8_218
; %bb.214:
	global_load_dwordx2 v[2:3], v[0:1], off
	s_mov_b32 s1, 0
	s_branch .LBB8_219
.LBB8_215:
                                        ; implicit-def: $vgpr2_vgpr3
	s_branch .LBB8_237
.LBB8_216:
	s_mov_b32 s1, -1
                                        ; implicit-def: $vgpr2_vgpr3
	s_branch .LBB8_225
.LBB8_217:
	s_mov_b32 s1, -1
                                        ; implicit-def: $vgpr2_vgpr3
	s_branch .LBB8_222
.LBB8_218:
	s_mov_b32 s1, -1
                                        ; implicit-def: $vgpr2_vgpr3
.LBB8_219:
	s_andn2_b32 vcc_lo, exec_lo, s1
	s_cbranch_vccnz .LBB8_221
; %bb.220:
	global_load_dword v2, v[0:1], off
	s_waitcnt vmcnt(0)
	v_cvt_f64_f32_e32 v[2:3], v2
.LBB8_221:
	s_mov_b32 s1, 0
.LBB8_222:
	s_andn2_b32 vcc_lo, exec_lo, s1
	s_cbranch_vccnz .LBB8_224
; %bb.223:
	global_load_dword v2, v[0:1], off
	s_waitcnt vmcnt(0)
	v_cvt_f32_f16_e32 v2, v2
	v_cvt_f64_f32_e32 v[2:3], v2
.LBB8_224:
	s_mov_b32 s1, 0
.LBB8_225:
	s_andn2_b32 vcc_lo, exec_lo, s1
	s_cbranch_vccnz .LBB8_236
; %bb.226:
	s_cmp_lt_i32 s0, 6
	s_cbranch_scc1 .LBB8_229
; %bb.227:
	s_cmp_gt_i32 s0, 6
	s_cbranch_scc0 .LBB8_230
; %bb.228:
	global_load_dwordx2 v[2:3], v[0:1], off
	s_mov_b32 s1, 0
	s_branch .LBB8_231
.LBB8_229:
	s_mov_b32 s1, -1
                                        ; implicit-def: $vgpr2_vgpr3
	s_branch .LBB8_234
.LBB8_230:
	s_mov_b32 s1, -1
                                        ; implicit-def: $vgpr2_vgpr3
.LBB8_231:
	s_andn2_b32 vcc_lo, exec_lo, s1
	s_cbranch_vccnz .LBB8_233
; %bb.232:
	global_load_dword v2, v[0:1], off
	s_waitcnt vmcnt(0)
	v_cvt_f64_f32_e32 v[2:3], v2
.LBB8_233:
	s_mov_b32 s1, 0
.LBB8_234:
	s_andn2_b32 vcc_lo, exec_lo, s1
	s_cbranch_vccnz .LBB8_236
; %bb.235:
	global_load_ushort v2, v[0:1], off
	s_waitcnt vmcnt(0)
	v_cvt_f32_f16_e32 v2, v2
	v_cvt_f64_f32_e32 v[2:3], v2
.LBB8_236:
	s_cbranch_execnz .LBB8_256
.LBB8_237:
	s_cmp_lt_i32 s0, 2
	s_cbranch_scc1 .LBB8_241
; %bb.238:
	s_cmp_lt_i32 s0, 3
	s_cbranch_scc1 .LBB8_242
; %bb.239:
	s_cmp_gt_i32 s0, 3
	s_cbranch_scc0 .LBB8_243
; %bb.240:
	global_load_dwordx2 v[2:3], v[0:1], off
	s_mov_b32 s1, 0
	s_waitcnt vmcnt(0)
	v_cvt_f64_i32_e32 v[3:4], v3
	v_cvt_f64_u32_e32 v[5:6], v2
	v_ldexp_f64 v[3:4], v[3:4], 32
	v_add_f64 v[2:3], v[3:4], v[5:6]
	s_branch .LBB8_244
.LBB8_241:
	s_mov_b32 s1, -1
                                        ; implicit-def: $vgpr2_vgpr3
	s_branch .LBB8_250
.LBB8_242:
	s_mov_b32 s1, -1
                                        ; implicit-def: $vgpr2_vgpr3
	s_branch .LBB8_247
.LBB8_243:
	s_mov_b32 s1, -1
                                        ; implicit-def: $vgpr2_vgpr3
.LBB8_244:
	s_andn2_b32 vcc_lo, exec_lo, s1
	s_cbranch_vccnz .LBB8_246
; %bb.245:
	global_load_dword v2, v[0:1], off
	s_waitcnt vmcnt(0)
	v_cvt_f64_i32_e32 v[2:3], v2
.LBB8_246:
	s_mov_b32 s1, 0
.LBB8_247:
	s_andn2_b32 vcc_lo, exec_lo, s1
	s_cbranch_vccnz .LBB8_249
; %bb.248:
	global_load_sshort v2, v[0:1], off
	s_waitcnt vmcnt(0)
	v_cvt_f64_i32_e32 v[2:3], v2
.LBB8_249:
	s_mov_b32 s1, 0
.LBB8_250:
	s_andn2_b32 vcc_lo, exec_lo, s1
	s_cbranch_vccnz .LBB8_256
; %bb.251:
	s_cmp_gt_i32 s0, 0
	s_mov_b32 s0, 0
	s_cbranch_scc0 .LBB8_253
; %bb.252:
	global_load_sbyte v2, v[0:1], off
	s_waitcnt vmcnt(0)
	v_cvt_f64_i32_e32 v[2:3], v2
	s_branch .LBB8_254
.LBB8_253:
	s_mov_b32 s0, -1
                                        ; implicit-def: $vgpr2_vgpr3
.LBB8_254:
	s_andn2_b32 vcc_lo, exec_lo, s0
	s_cbranch_vccnz .LBB8_256
; %bb.255:
	global_load_ubyte v0, v[0:1], off
	s_waitcnt vmcnt(0)
	v_cvt_f64_u32_e32 v[2:3], v0
.LBB8_256:
	s_branch .LBB8_11
.LBB8_257:
	s_mov_b32 s0, 0
.LBB8_258:
	s_mov_b32 s1, 0
                                        ; implicit-def: $vgpr10
.LBB8_259:
	s_and_b32 s12, s0, exec_lo
	s_and_b32 s14, s14, exec_lo
	s_orn2_b32 s1, s1, exec_lo
.LBB8_260:
	s_or_b32 exec_lo, exec_lo, s15
	s_mov_b32 s17, 0
	s_mov_b32 s0, 0
                                        ; implicit-def: $vgpr0_vgpr1
                                        ; implicit-def: $vgpr2_vgpr3
	s_and_saveexec_b32 s15, s1
	s_cbranch_execz .LBB8_269
; %bb.261:
	s_mov_b32 s0, -1
	s_mov_b32 s16, s14
	s_mov_b32 s17, s12
	s_mov_b32 s18, exec_lo
	v_cmpx_gt_i32_e64 s13, v10
	s_cbranch_execz .LBB8_531
; %bb.262:
	v_mul_lo_u32 v0, v10, s3
	s_and_b32 s0, 0xffff, s6
	s_cmp_lt_i32 s0, 11
	v_ashrrev_i32_e32 v1, 31, v0
	v_add_co_u32 v0, vcc_lo, s10, v0
	v_add_co_ci_u32_e64 v1, null, s11, v1, vcc_lo
	s_cbranch_scc1 .LBB8_272
; %bb.263:
	s_cmp_gt_i32 s0, 25
	s_cbranch_scc0 .LBB8_289
; %bb.264:
	s_cmp_gt_i32 s0, 28
	s_cbranch_scc0 .LBB8_291
	;; [unrolled: 3-line block ×4, first 2 shown]
; %bb.267:
	s_cmp_eq_u32 s0, 46
	s_mov_b32 s17, 0
	s_cbranch_scc0 .LBB8_301
; %bb.268:
	global_load_dword v2, v[0:1], off
	s_mov_b32 s1, -1
	s_mov_b32 s16, 0
	s_waitcnt vmcnt(0)
	v_lshlrev_b32_e32 v2, 16, v2
	v_cvt_f64_f32_e32 v[2:3], v2
	s_branch .LBB8_303
.LBB8_269:
	s_or_b32 exec_lo, exec_lo, s15
	s_mov_b32 s13, 0
	s_and_saveexec_b32 s1, s14
	s_cbranch_execnz .LBB8_887
.LBB8_270:
	s_or_b32 exec_lo, exec_lo, s1
	s_and_saveexec_b32 s1, s16
	s_xor_b32 s1, exec_lo, s1
	s_cbranch_execz .LBB8_888
.LBB8_271:
	global_load_ubyte v2, v[0:1], off
	s_or_b32 s0, s0, exec_lo
	s_waitcnt vmcnt(0)
	v_cmp_ne_u16_e32 vcc_lo, 0, v2
	v_mov_b32_e32 v2, 0
	v_cndmask_b32_e64 v3, 0, 0x3ff00000, vcc_lo
	s_or_b32 exec_lo, exec_lo, s1
	s_and_saveexec_b32 s1, s17
	s_cbranch_execz .LBB8_934
	s_branch .LBB8_889
.LBB8_272:
	s_mov_b32 s1, 0
	s_mov_b32 s16, s14
                                        ; implicit-def: $vgpr2_vgpr3
	s_cbranch_execnz .LBB8_480
.LBB8_273:
	s_andn2_b32 vcc_lo, exec_lo, s1
	s_cbranch_vccnz .LBB8_528
.LBB8_274:
	v_mov_b32_e32 v0, 0
	v_mov_b32_e32 v1, 0x7ff00000
	s_mov_b32 s17, exec_lo
	s_waitcnt vmcnt(0)
	v_cmpx_neq_f64_e32 0, v[2:3]
	s_cbranch_execz .LBB8_282
; %bb.275:
	v_mov_b32_e32 v0, 0
	v_mov_b32_e32 v1, 0x7ff80000
	s_mov_b32 s19, exec_lo
	v_cmpx_ngt_f64_e32 0, v[2:3]
	s_cbranch_execz .LBB8_281
; %bb.276:
                                        ; implicit-def: $vgpr0_vgpr1
	s_mov_b32 s0, exec_lo
	v_cmpx_ge_f64_e32 2.0, v[2:3]
	s_xor_b32 s20, exec_lo, s0
	s_cbranch_execz .LBB8_278
; %bb.277:
	v_fma_f64 v[0:1], v[2:3], 0.5, -2.0
	s_mov_b32 s0, 0xc38a0576
	s_mov_b32 s1, 0xbc7857d0
	s_mov_b32 s23, 0x3c499f2a
	s_mov_b32 s22, 0xc3c4014
	v_mul_f64 v[8:9], v[2:3], 0.5
	v_fma_f64 v[25:26], v[2:3], v[2:3], -2.0
	s_mov_b32 s25, 0xbc603228
	s_mov_b32 s24, 0x3d3cda56
	;; [unrolled: 1-line block ×4, first 2 shown]
	v_fma_f64 v[4:5], v[0:1], s[22:23], s[0:1]
	s_mov_b32 s23, 0xbc499f2a
	s_mov_b32 s0, 0xe593bfac
	;; [unrolled: 1-line block ×3, first 2 shown]
	v_frexp_mant_f64_e32 v[11:12], v[8:9]
	v_frexp_exp_i32_f64_e32 v29, v[8:9]
	v_fma_f64 v[6:7], v[0:1], v[4:5], s[22:23]
	s_mov_b32 s22, 0x97eb07de
	s_mov_b32 s23, 0xbdd25103
	v_add_f64 v[6:7], v[6:7], s[0:1]
	s_mov_b32 s0, 0x7e0d1573
	s_mov_b32 s1, 0xbcd3eaaa
	v_fma_f64 v[4:5], v[0:1], v[6:7], -v[4:5]
	v_add_f64 v[4:5], v[4:5], s[0:1]
	s_mov_b32 s0, 0x615290c
	s_mov_b32 s1, 0x3d011d7f
	v_fma_f64 v[6:7], v[0:1], v[4:5], -v[6:7]
	v_add_f64 v[6:7], v[6:7], s[0:1]
	s_mov_b32 s0, 0x1c8f0b3b
	s_mov_b32 s1, 0xbd2c628e
	v_fma_f64 v[4:5], v[0:1], v[6:7], -v[4:5]
	v_add_f64 v[4:5], v[4:5], s[0:1]
	s_mov_b32 s0, 0x4779d955
	s_mov_b32 s1, 0x3d56af78
	v_fma_f64 v[6:7], v[0:1], v[4:5], -v[6:7]
	v_add_f64 v[6:7], v[6:7], s[0:1]
	s_mov_b32 s0, 0x5fb70366
	s_mov_b32 s1, 0xbd817383
	v_fma_f64 v[4:5], v[0:1], v[6:7], -v[4:5]
	v_add_f64 v[4:5], v[4:5], s[0:1]
	s_mov_b32 s0, 0xb21d3154
	s_mov_b32 s1, 0x3da9cee2
	v_fma_f64 v[6:7], v[0:1], v[4:5], -v[6:7]
	v_add_f64 v[6:7], v[6:7], s[0:1]
	s_mov_b32 s1, 0x3fe55555
	s_mov_b32 s0, 0x55555555
	v_cmp_gt_f64_e32 vcc_lo, s[0:1], v[11:12]
	s_mov_b32 s0, 0x55555780
	v_fma_f64 v[4:5], v[0:1], v[6:7], -v[4:5]
	v_cndmask_b32_e64 v13, 0, 1, vcc_lo
	v_ldexp_f64 v[11:12], v[11:12], v13
	v_add_f64 v[4:5], v[4:5], s[22:23]
	s_mov_b32 s22, 0xb43fdf6c
	s_mov_b32 s23, 0x3df8ea34
	v_add_f64 v[13:14], v[11:12], 1.0
	v_add_f64 v[19:20], v[11:12], -1.0
	v_fma_f64 v[6:7], v[0:1], v[4:5], -v[6:7]
	v_rcp_f64_e32 v[15:16], v[13:14]
	v_add_f64 v[21:22], v[13:14], -1.0
	v_add_f64 v[6:7], v[6:7], s[22:23]
	s_mov_b32 s22, 0x28ea67e6
	s_mov_b32 s23, 0xbe20361b
	v_add_f64 v[11:12], v[11:12], -v[21:22]
	v_fma_f64 v[17:18], -v[13:14], v[15:16], 1.0
	v_fma_f64 v[4:5], v[0:1], v[6:7], -v[4:5]
	v_fma_f64 v[15:16], v[17:18], v[15:16], v[15:16]
	v_add_f64 v[4:5], v[4:5], s[22:23]
	s_mov_b32 s22, 0x2395010
	s_mov_b32 s23, 0x3e44258e
	v_fma_f64 v[17:18], -v[13:14], v[15:16], 1.0
	v_fma_f64 v[6:7], v[0:1], v[4:5], -v[6:7]
	v_fma_f64 v[15:16], v[17:18], v[15:16], v[15:16]
	v_add_f64 v[6:7], v[6:7], s[22:23]
	s_mov_b32 s22, 0x24b8c3e8
	s_mov_b32 s23, 0xbe67dd3e
	v_mul_f64 v[17:18], v[19:20], v[15:16]
	v_fma_f64 v[4:5], v[0:1], v[6:7], -v[4:5]
	v_mul_f64 v[23:24], v[13:14], v[17:18]
	v_add_f64 v[4:5], v[4:5], s[22:23]
	s_mov_b32 s22, 0xb347d108
	s_mov_b32 s23, 0x3e8ae344
	v_fma_f64 v[13:14], v[17:18], v[13:14], -v[23:24]
	v_fma_f64 v[6:7], v[0:1], v[4:5], -v[6:7]
	v_fma_f64 v[11:12], v[17:18], v[11:12], v[13:14]
	v_add_f64 v[6:7], v[6:7], s[22:23]
	s_mov_b32 s22, 0x7a0399e0
	s_mov_b32 s23, 0xbce5dd51
	v_fma_f64 v[27:28], v[25:26], s[24:25], s[22:23]
	s_mov_b32 s25, 0x3c603228
	s_mov_b32 s22, 0xddd0e045
	;; [unrolled: 1-line block ×3, first 2 shown]
	v_add_f64 v[13:14], v[23:24], v[11:12]
	v_fma_f64 v[4:5], v[0:1], v[6:7], -v[4:5]
	v_add_f64 v[21:22], v[19:20], -v[13:14]
	v_add_f64 v[23:24], v[13:14], -v[23:24]
	v_add_f64 v[4:5], v[4:5], s[26:27]
	s_mov_b32 s26, 0xd3d694fe
	s_mov_b32 s27, 0xbf2533ca
	v_add_f64 v[19:20], v[19:20], -v[21:22]
	v_add_f64 v[11:12], v[23:24], -v[11:12]
	v_fma_f64 v[6:7], v[0:1], v[4:5], -v[6:7]
	v_add_f64 v[13:14], v[19:20], -v[13:14]
	v_fma_f64 v[19:20], v[25:26], v[27:28], s[24:25]
	s_mov_b32 s24, 0xd511afc5
	s_mov_b32 s25, 0x3ecd1c4e
	v_add_f64 v[6:7], v[6:7], s[24:25]
	s_mov_b32 s24, 0xb8debbcf
	s_mov_b32 s25, 0xbeebd5f9
	v_add_f64 v[11:12], v[11:12], v[13:14]
	v_add_f64 v[13:14], v[19:20], s[22:23]
	s_mov_b32 s22, 0xb84626ca
	s_mov_b32 s23, 0xbde3663b
	v_fma_f64 v[4:5], v[0:1], v[6:7], -v[4:5]
	v_add_f64 v[11:12], v[21:22], v[11:12]
	v_fma_f64 v[19:20], v[25:26], v[13:14], -v[27:28]
	v_add_f64 v[4:5], v[4:5], s[24:25]
	s_mov_b32 s24, 0x42c70d0b
	s_mov_b32 s25, 0x3f0911b5
	v_mul_f64 v[11:12], v[15:16], v[11:12]
	v_add_f64 v[15:16], v[19:20], s[22:23]
	s_mov_b32 s22, 0x145c31d0
	s_mov_b32 s23, 0xbe57c41d
	v_fma_f64 v[6:7], v[0:1], v[4:5], -v[6:7]
	v_add_f64 v[19:20], v[17:18], v[11:12]
	v_fma_f64 v[13:14], v[25:26], v[15:16], -v[13:14]
	v_add_f64 v[6:7], v[6:7], s[24:25]
	s_mov_b32 s24, 0xbf559e2b
	s_mov_b32 s25, 0x3fc3ab76
	v_mul_f64 v[21:22], v[19:20], v[19:20]
	v_add_f64 v[13:14], v[13:14], s[22:23]
	s_mov_b32 s22, 0x6b47b09a
	s_mov_b32 s23, 0x3fc38538
	v_add_f64 v[17:18], v[19:20], -v[17:18]
	v_fma_f64 v[4:5], v[0:1], v[6:7], -v[4:5]
	v_fma_f64 v[23:24], v[21:22], s[24:25], s[22:23]
	v_fma_f64 v[15:16], v[25:26], v[13:14], -v[15:16]
	s_mov_b32 s22, 0x2c832e3a
	s_mov_b32 s23, 0xbec469b3
	;; [unrolled: 1-line block ×4, first 2 shown]
	v_mul_f64 v[27:28], v[19:20], v[21:22]
	v_add_f64 v[11:12], v[11:12], -v[17:18]
	v_add_f64 v[4:5], v[4:5], s[26:27]
	s_mov_b32 s26, 0xb6c6df7d
	s_mov_b32 s27, 0x3f40c95d
	v_fma_f64 v[23:24], v[21:22], v[23:24], s[24:25]
	v_add_f64 v[15:16], v[15:16], s[22:23]
	s_mov_b32 s22, 0x16291751
	s_mov_b32 s23, 0x3fcc71c0
	;; [unrolled: 1-line block ×4, first 2 shown]
	v_ldexp_f64 v[11:12], v[11:12], 1
	v_fma_f64 v[6:7], v[0:1], v[4:5], -v[6:7]
	v_fma_f64 v[23:24], v[21:22], v[23:24], s[22:23]
	v_fma_f64 v[13:14], v[25:26], v[15:16], -v[13:14]
	s_mov_b32 s22, 0xe5a3bd02
	s_mov_b32 s23, 0xbf26ade2
	v_add_f64 v[6:7], v[6:7], s[26:27]
	s_mov_b32 s26, 0xe7bb2349
	s_mov_b32 s27, 0x3f9951e3
	v_fma_f64 v[23:24], v[21:22], v[23:24], s[24:25]
	v_add_f64 v[13:14], v[13:14], s[22:23]
	s_mov_b32 s22, 0x998ef7b6
	s_mov_b32 s23, 0x3fd99999
	;; [unrolled: 1-line block ×4, first 2 shown]
	v_fma_f64 v[4:5], v[0:1], v[6:7], -v[4:5]
	v_fma_f64 v[23:24], v[21:22], v[23:24], s[22:23]
	v_fma_f64 v[15:16], v[25:26], v[13:14], -v[15:16]
	s_mov_b32 s22, 0x9d7d4192
	s_mov_b32 s23, 0xbf7c9293
	v_add_f64 v[4:5], v[4:5], s[24:25]
	s_mov_b32 s24, 0x49d3a1b4
	s_mov_b32 s25, 0x3f710653
	v_fma_f64 v[21:22], v[21:22], v[23:24], s[0:1]
	v_add_f64 v[15:16], v[15:16], s[22:23]
	v_ldexp_f64 v[23:24], v[19:20], 1
	s_mov_b32 s0, 0x43c1db74
	s_mov_b32 s1, 0xbfbf6372
	s_mov_b32 s22, 0x652b82fe
	s_mov_b32 s23, 0x3ff71547
	v_fma_f64 v[6:7], v[0:1], v[4:5], -v[6:7]
	v_mul_f64 v[21:22], v[27:28], v[21:22]
	v_fma_f64 v[13:14], v[25:26], v[15:16], -v[13:14]
	v_subrev_co_ci_u32_e64 v27, null, 0, v29, vcc_lo
	v_mul_f64 v[29:30], v[2:3], s[22:23]
	s_mov_b32 s22, 0x757b0dd4
	s_mov_b32 s23, 0xbfd69a1b
	v_cvt_f64_i32_e32 v[27:28], v27
	v_add_f64 v[6:7], v[6:7], s[24:25]
	s_mov_b32 s24, 0x7913a26a
	s_mov_b32 s25, 0xbf85a29f
	v_add_f64 v[19:20], v[23:24], v[21:22]
	v_add_f64 v[13:14], v[13:14], s[0:1]
	s_mov_b32 s1, 0x3fe62e42
	s_mov_b32 s0, 0xfefa39ef
	v_mul_f64 v[31:32], v[27:28], s[0:1]
	v_fma_f64 v[4:5], v[0:1], v[6:7], -v[4:5]
	v_add_f64 v[17:18], v[19:20], -v[23:24]
	v_fma_f64 v[15:16], v[25:26], v[13:14], -v[15:16]
	v_rndne_f64_e32 v[23:24], v[29:30]
	v_fma_f64 v[29:30], v[27:28], s[0:1], -v[31:32]
	s_mov_b32 s1, 0xbfe62e42
	v_add_f64 v[4:5], v[4:5], s[24:25]
	s_mov_b32 s24, 0x6a5dcb37
	s_mov_b32 s25, 0x3e5ade15
	v_add_f64 v[17:18], v[21:22], -v[17:18]
	v_add_f64 v[15:16], v[15:16], s[22:23]
	v_fma_f64 v[21:22], v[23:24], s[0:1], v[2:3]
	s_mov_b32 s1, 0x3c7abc9e
	s_mov_b32 s0, 0x3b39803f
	;; [unrolled: 1-line block ×4, first 2 shown]
	v_fma_f64 v[27:28], v[27:28], s[0:1], v[29:30]
	s_mov_b32 s1, 0xbc7abc9e
	v_fma_f64 v[6:7], v[0:1], v[4:5], -v[6:7]
	v_add_f64 v[11:12], v[11:12], v[17:18]
	v_fma_f64 v[15:16], v[25:26], v[15:16], -v[13:14]
	v_fma_f64 v[17:18], v[23:24], s[0:1], v[21:22]
	s_mov_b32 s0, 0x361008ca
	s_mov_b32 s1, 0x3ff867a1
	v_add_f64 v[21:22], v[31:32], v[27:28]
	v_add_f64 v[6:7], v[6:7], s[26:27]
	;; [unrolled: 1-line block ×4, first 2 shown]
	v_fma_f64 v[29:30], v[17:18], s[24:25], s[22:23]
	s_mov_b32 s0, 0x623fde64
	s_mov_b32 s1, 0x3ec71dee
	;; [unrolled: 1-line block ×4, first 2 shown]
	v_add_f64 v[31:32], v[21:22], -v[31:32]
	v_fma_f64 v[4:5], v[0:1], v[6:7], -v[4:5]
	v_add_f64 v[33:34], v[21:22], v[25:26]
	v_add_f64 v[13:14], v[15:16], -v[13:14]
	v_fma_f64 v[29:30], v[17:18], v[29:30], s[0:1]
	s_mov_b32 s0, 0x7c89e6b0
	s_mov_b32 s1, 0x3efa0199
	v_add_f64 v[19:20], v[25:26], -v[19:20]
	v_add_f64 v[27:28], v[27:28], -v[31:32]
	v_add_f64 v[4:5], v[4:5], s[22:23]
	s_mov_b32 s22, 0xd536f53c
	s_mov_b32 s23, 0x3fba46da
	v_add_f64 v[15:16], v[33:34], -v[21:22]
	v_mul_f64 v[13:14], v[13:14], 0.5
	v_fma_f64 v[29:30], v[17:18], v[29:30], s[0:1]
	s_mov_b32 s0, 0x14761f6e
	s_mov_b32 s1, 0x3f2a01a0
	v_add_f64 v[11:12], v[11:12], -v[19:20]
	v_fma_f64 v[6:7], v[0:1], v[4:5], -v[6:7]
	v_add_f64 v[35:36], v[33:34], -v[15:16]
	v_div_scale_f64 v[37:38], null, v[2:3], v[2:3], v[13:14]
	v_fma_f64 v[29:30], v[17:18], v[29:30], s[0:1]
	s_mov_b32 s0, 0x1852b7b0
	s_mov_b32 s1, 0x3f56c16c
	v_add_f64 v[15:16], v[25:26], -v[15:16]
	v_add_f64 v[6:7], v[6:7], s[22:23]
	s_mov_b32 s22, 0x469192e
	s_mov_b32 s23, 0xbfc694d1
	v_add_f64 v[19:20], v[21:22], -v[35:36]
	v_rcp_f64_e32 v[25:26], v[37:38]
	v_fma_f64 v[21:22], v[17:18], v[29:30], s[0:1]
	s_mov_b32 s0, 0x11122322
	s_mov_b32 s1, 0x3f811111
	v_add_f64 v[29:30], v[27:28], v[11:12]
	v_fma_f64 v[4:5], v[0:1], v[6:7], -v[4:5]
	v_add_f64 v[15:16], v[15:16], v[19:20]
	v_fma_f64 v[19:20], v[17:18], v[21:22], s[0:1]
	v_fma_f64 v[21:22], -v[37:38], v[25:26], 1.0
	s_mov_b32 s0, 0x555502a1
	s_mov_b32 s1, 0x3fa55555
	v_add_f64 v[31:32], v[29:30], -v[27:28]
	v_add_f64 v[4:5], v[4:5], s[22:23]
	s_mov_b32 s22, 0x724a7ffa
	s_mov_b32 s23, 0x3fd02a63
	v_add_f64 v[15:16], v[29:30], v[15:16]
	v_fma_f64 v[19:20], v[17:18], v[19:20], s[0:1]
	v_fma_f64 v[21:22], v[25:26], v[21:22], v[25:26]
	s_mov_b32 s0, 0x55555511
	s_mov_b32 s1, 0x3fc55555
	v_add_f64 v[25:26], v[29:30], -v[31:32]
	v_add_f64 v[11:12], v[11:12], -v[31:32]
	v_div_scale_f64 v[31:32], vcc_lo, v[13:14], v[2:3], v[13:14]
	v_fma_f64 v[0:1], v[0:1], v[4:5], -v[6:7]
	v_add_f64 v[29:30], v[33:34], v[15:16]
	v_fma_f64 v[19:20], v[17:18], v[19:20], s[0:1]
	v_fma_f64 v[4:5], -v[37:38], v[21:22], 1.0
	s_mov_b32 s0, 11
	s_mov_b32 s1, 0x3fe00000
	v_add_f64 v[25:26], v[27:28], -v[25:26]
	v_add_f64 v[0:1], v[0:1], s[22:23]
	v_add_f64 v[27:28], v[29:30], -v[33:34]
	v_fma_f64 v[19:20], v[17:18], v[19:20], s[0:1]
	v_fma_f64 v[4:5], v[21:22], v[4:5], v[21:22]
	v_cvt_i32_f64_e32 v21, v[23:24]
	v_cmp_neq_f64_e64 s0, 0, v[8:9]
	v_add_f64 v[11:12], v[11:12], v[25:26]
	v_add_f64 v[0:1], v[0:1], -v[6:7]
	v_add_f64 v[15:16], v[15:16], -v[27:28]
	v_fma_f64 v[19:20], v[17:18], v[19:20], 1.0
	v_mul_f64 v[6:7], v[31:32], v[4:5]
	v_mul_f64 v[0:1], v[0:1], 0.5
	v_add_f64 v[11:12], v[11:12], v[15:16]
	v_fma_f64 v[15:16], v[17:18], v[19:20], 1.0
	v_fma_f64 v[17:18], -v[37:38], v[6:7], v[31:32]
	v_mul_f64 v[0:1], v[2:3], v[0:1]
	v_add_f64 v[11:12], v[29:30], v[11:12]
	v_ldexp_f64 v[15:16], v[15:16], v21
	v_div_fmas_f64 v[4:5], v[17:18], v[4:5], v[6:7]
	v_cmp_neq_f64_e32 vcc_lo, 0x7ff00000, v[8:9]
	v_mul_f64 v[0:1], v[15:16], v[0:1]
	v_div_fixup_f64 v[2:3], v[4:5], v[2:3], v[13:14]
	v_cndmask_b32_e32 v6, 0x7ff00000, v12, vcc_lo
	s_and_b32 vcc_lo, s0, vcc_lo
	v_cndmask_b32_e32 v4, 0, v11, vcc_lo
	v_cndmask_b32_e64 v5, 0xfff00000, v6, s0
	v_fma_f64 v[0:1], v[4:5], v[0:1], v[2:3]
                                        ; implicit-def: $vgpr2_vgpr3
.LBB8_278:
	s_andn2_saveexec_b32 s1, s20
	s_cbranch_execz .LBB8_280
; %bb.279:
	v_div_scale_f64 v[0:1], null, v[2:3], v[2:3], 0x40200000
	v_div_scale_f64 v[8:9], vcc_lo, 0x40200000, v[2:3], 0x40200000
	s_mov_b32 s20, 0x838f5ed3
	s_mov_b32 s21, 0x3c74af1a
	;; [unrolled: 1-line block ×4, first 2 shown]
	v_cmp_nlt_f64_e64 s0, 0x4090cc00, v[2:3]
	v_rcp_f64_e32 v[4:5], v[0:1]
	v_fma_f64 v[6:7], -v[0:1], v[4:5], 1.0
	v_fma_f64 v[4:5], v[4:5], v[6:7], v[4:5]
	v_fma_f64 v[6:7], -v[0:1], v[4:5], 1.0
	v_fma_f64 v[4:5], v[4:5], v[6:7], v[4:5]
	v_mul_f64 v[6:7], v[8:9], v[4:5]
	v_fma_f64 v[0:1], -v[0:1], v[6:7], v[8:9]
	v_div_fmas_f64 v[0:1], v[0:1], v[4:5], v[6:7]
	v_cmp_gt_f64_e32 vcc_lo, 0x10000000, v[2:3]
	v_div_fixup_f64 v[0:1], v[0:1], v[2:3], 0x40200000
	v_cndmask_b32_e64 v15, 0, 0x100, vcc_lo
	v_ldexp_f64 v[15:16], v[2:3], v15
	v_add_f64 v[0:1], v[0:1], -2.0
	v_rsq_f64_e32 v[17:18], v[15:16]
	v_fma_f64 v[4:5], v[0:1], s[22:23], s[20:21]
	s_mov_b32 s23, 0x3c5a8c5d
	s_mov_b32 s20, 0x17771d52
	;; [unrolled: 1-line block ×3, first 2 shown]
	v_mul_f64 v[19:20], v[15:16], v[17:18]
	v_mul_f64 v[17:18], v[17:18], 0.5
	v_fma_f64 v[6:7], v[0:1], v[4:5], s[22:23]
	s_mov_b32 s22, 0x6a5dcb37
	s_mov_b32 s23, 0x3e5ade15
	v_fma_f64 v[21:22], -v[17:18], v[19:20], 0.5
	v_add_f64 v[6:7], v[6:7], s[20:21]
	s_mov_b32 s20, 0x44ee2c0b
	s_mov_b32 s21, 0x3caa7d5e
	v_fma_f64 v[19:20], v[19:20], v[21:22], v[19:20]
	v_fma_f64 v[17:18], v[17:18], v[21:22], v[17:18]
	v_fma_f64 v[4:5], v[0:1], v[6:7], -v[4:5]
	v_fma_f64 v[21:22], -v[19:20], v[19:20], v[15:16]
	v_add_f64 v[4:5], v[4:5], s[20:21]
	s_mov_b32 s20, 0xd8758ef2
	s_mov_b32 s21, 0xbcc5d2a3
	v_fma_f64 v[6:7], v[0:1], v[4:5], -v[6:7]
	v_add_f64 v[6:7], v[6:7], s[20:21]
	s_mov_b32 s20, 0xefee81bd
	s_mov_b32 s21, 0x3ce25ced
	v_fma_f64 v[4:5], v[0:1], v[6:7], -v[4:5]
	;; [unrolled: 4-line block ×14, first 2 shown]
	v_add_f64 v[4:5], v[4:5], s[20:21]
	s_mov_b32 s20, 0x652b82fe
	s_mov_b32 s21, 0xbff71547
	v_mul_f64 v[8:9], v[2:3], s[20:21]
	s_mov_b32 s20, 0x8fada5c6
	s_mov_b32 s21, 0xbe978052
	v_fma_f64 v[6:7], v[0:1], v[4:5], -v[6:7]
	v_rndne_f64_e32 v[8:9], v[8:9]
	v_add_f64 v[6:7], v[6:7], s[20:21]
	s_mov_b32 s20, 0xfefa39ef
	s_mov_b32 s21, 0xbfe62e42
	v_fma_f64 v[11:12], v[8:9], s[20:21], -v[2:3]
	s_mov_b32 s20, 0x3b39803f
	s_mov_b32 s21, 0xbc7abc9e
	v_cndmask_b32_e64 v2, 0, 0xffffff80, vcc_lo
	v_cmp_class_f64_e64 vcc_lo, v[15:16], 0x260
	v_fma_f64 v[4:5], v[0:1], v[6:7], -v[4:5]
	v_fma_f64 v[11:12], v[8:9], s[20:21], v[11:12]
	s_mov_b32 s20, 0x1752d1b6
	s_mov_b32 s21, 0x3ec42fe3
	v_add_f64 v[4:5], v[4:5], s[20:21]
	s_mov_b32 s20, 0xfca7ab0c
	s_mov_b32 s21, 0x3e928af3
	v_fma_f64 v[13:14], v[11:12], s[22:23], s[20:21]
	s_mov_b32 s20, 0x623fde64
	s_mov_b32 s21, 0x3ec71dee
	v_fma_f64 v[6:7], v[0:1], v[4:5], -v[6:7]
	v_fma_f64 v[13:14], v[11:12], v[13:14], s[20:21]
	s_mov_b32 s20, 0x1dcdb2e5
	s_mov_b32 s21, 0xbef44d71
	v_add_f64 v[6:7], v[6:7], s[20:21]
	s_mov_b32 s20, 0x7c89e6b0
	s_mov_b32 s21, 0x3efa0199
	v_fma_f64 v[13:14], v[11:12], v[13:14], s[20:21]
	s_mov_b32 s20, 0x14761f6e
	s_mov_b32 s21, 0x3f2a01a0
	;; [unrolled: 10-line block ×5, first 2 shown]
	v_fma_f64 v[0:1], v[0:1], v[4:5], -v[6:7]
	v_fma_f64 v[4:5], v[21:22], v[17:18], v[19:20]
	v_cvt_i32_f64_e32 v21, v[8:9]
	v_fma_f64 v[13:14], v[11:12], v[13:14], 1.0
	v_add_f64 v[0:1], v[0:1], s[20:21]
	v_fma_f64 v[19:20], -v[4:5], v[4:5], v[15:16]
	v_fma_f64 v[8:9], v[11:12], v[13:14], 1.0
	v_add_f64 v[0:1], v[0:1], -v[6:7]
	v_fma_f64 v[4:5], v[19:20], v[17:18], v[4:5]
	v_ldexp_f64 v[6:7], v[8:9], v21
	v_mul_f64 v[0:1], v[0:1], 0.5
	v_ldexp_f64 v[2:3], v[4:5], v2
	v_cndmask_b32_e64 v5, 0, v7, s0
	v_cndmask_b32_e64 v4, 0, v6, s0
	v_mul_f64 v[0:1], v[4:5], v[0:1]
	v_cndmask_b32_e32 v3, v3, v16, vcc_lo
	v_cndmask_b32_e32 v2, v2, v15, vcc_lo
	v_div_scale_f64 v[4:5], null, v[2:3], v[2:3], v[0:1]
	v_rcp_f64_e32 v[6:7], v[4:5]
	v_fma_f64 v[8:9], -v[4:5], v[6:7], 1.0
	v_fma_f64 v[6:7], v[6:7], v[8:9], v[6:7]
	v_fma_f64 v[8:9], -v[4:5], v[6:7], 1.0
	v_fma_f64 v[6:7], v[6:7], v[8:9], v[6:7]
	v_div_scale_f64 v[8:9], vcc_lo, v[0:1], v[2:3], v[0:1]
	v_mul_f64 v[11:12], v[8:9], v[6:7]
	v_fma_f64 v[4:5], -v[4:5], v[11:12], v[8:9]
	v_div_fmas_f64 v[4:5], v[4:5], v[6:7], v[11:12]
	v_div_fixup_f64 v[0:1], v[4:5], v[2:3], v[0:1]
.LBB8_280:
	s_or_b32 exec_lo, exec_lo, s1
.LBB8_281:
	s_or_b32 exec_lo, exec_lo, s19
.LBB8_282:
	s_or_b32 exec_lo, exec_lo, s17
	v_mul_lo_u32 v2, v10, s2
	s_and_b32 s1, s4, 0xff
	s_cmp_lt_i32 s1, 11
	v_ashrrev_i32_e32 v3, 31, v2
	v_add_co_u32 v4, vcc_lo, s8, v2
	v_add_co_ci_u32_e64 v5, null, s9, v3, vcc_lo
	s_cbranch_scc1 .LBB8_290
; %bb.283:
	s_and_b32 s17, 0xffff, s1
	s_cmp_gt_i32 s17, 25
	s_cbranch_scc0 .LBB8_292
; %bb.284:
	s_cmp_gt_i32 s17, 28
	s_cbranch_scc0 .LBB8_294
; %bb.285:
	;; [unrolled: 3-line block ×4, first 2 shown]
	s_mov_b32 s20, 0
	s_mov_b32 s0, -1
	s_cmp_eq_u32 s17, 46
	s_mov_b32 s19, 0
	s_cbranch_scc0 .LBB8_307
; %bb.288:
	v_cvt_f32_f64_e32 v2, v[0:1]
	s_mov_b32 s19, -1
	s_mov_b32 s0, 0
	v_bfe_u32 v3, v2, 16, 1
	v_cmp_o_f32_e32 vcc_lo, v2, v2
	v_add3_u32 v2, v2, v3, 0x7fff
	v_mov_b32_e32 v3, 0x7fc0
	v_cndmask_b32_sdwa v2, v3, v2, vcc_lo dst_sel:DWORD dst_unused:UNUSED_PAD src0_sel:DWORD src1_sel:WORD_1
	global_store_dword v[4:5], v2, off
	s_branch .LBB8_307
.LBB8_289:
	s_mov_b32 s17, -1
	s_mov_b32 s1, 0
	s_mov_b32 s16, s14
                                        ; implicit-def: $vgpr2_vgpr3
	s_branch .LBB8_446
.LBB8_290:
	s_mov_b32 s17, -1
	s_mov_b32 s19, 0
	s_mov_b32 s0, s12
	s_branch .LBB8_376
.LBB8_291:
	s_mov_b32 s17, -1
	s_mov_b32 s1, 0
	s_mov_b32 s16, s14
                                        ; implicit-def: $vgpr2_vgpr3
	s_branch .LBB8_425
.LBB8_292:
	s_mov_b32 s20, -1
	s_mov_b32 s19, 0
	s_mov_b32 s0, s12
	s_branch .LBB8_334
.LBB8_293:
	s_mov_b32 s17, -1
	s_mov_b32 s1, 0
	s_mov_b32 s16, s14
                                        ; implicit-def: $vgpr2_vgpr3
	s_branch .LBB8_420
.LBB8_294:
	s_mov_b32 s20, -1
	s_mov_b32 s19, 0
	s_mov_b32 s0, s12
	s_branch .LBB8_317
.LBB8_295:
	s_andn2_saveexec_b32 s19, s19
	s_cbranch_execz .LBB8_62
.LBB8_296:
	v_add_f32_e64 v3, 0x46000000, |v2|
	s_andn2_b32 s18, s18, exec_lo
	v_and_b32_e32 v3, 0xff, v3
	v_cmp_ne_u32_e32 vcc_lo, 0, v3
	s_and_b32 s20, vcc_lo, exec_lo
	s_or_b32 s18, s18, s20
	s_or_b32 exec_lo, exec_lo, s19
	v_mov_b32_e32 v6, 0
	s_and_saveexec_b32 s19, s18
	s_cbranch_execnz .LBB8_63
	s_branch .LBB8_64
.LBB8_297:
	s_mov_b32 s17, -1
	s_mov_b32 s1, 0
	s_mov_b32 s16, s14
	s_branch .LBB8_302
.LBB8_298:
	s_mov_b32 s20, -1
	s_mov_b32 s19, 0
	s_mov_b32 s0, s12
	s_branch .LBB8_313
.LBB8_299:
	s_andn2_saveexec_b32 s19, s19
	s_cbranch_execz .LBB8_75
.LBB8_300:
	v_add_f32_e64 v3, 0x42800000, |v2|
	s_andn2_b32 s18, s18, exec_lo
	v_and_b32_e32 v3, 0xff, v3
	v_cmp_ne_u32_e32 vcc_lo, 0, v3
	s_and_b32 s20, vcc_lo, exec_lo
	s_or_b32 s18, s18, s20
	s_or_b32 exec_lo, exec_lo, s19
	v_mov_b32_e32 v6, 0
	s_and_saveexec_b32 s19, s18
	s_cbranch_execnz .LBB8_76
	s_branch .LBB8_77
.LBB8_301:
	s_mov_b32 s16, -1
	s_mov_b32 s1, 0
.LBB8_302:
                                        ; implicit-def: $vgpr2_vgpr3
.LBB8_303:
	s_and_b32 vcc_lo, exec_lo, s17
	s_cbranch_vccz .LBB8_419
; %bb.304:
	s_cmp_eq_u32 s0, 44
	s_cbranch_scc0 .LBB8_418
; %bb.305:
	global_load_ubyte v4, v[0:1], off
	s_mov_b32 s16, 0
	s_mov_b32 s1, -1
	s_waitcnt vmcnt(0)
	v_lshlrev_b32_e32 v2, 23, v4
	v_cmp_ne_u32_e32 vcc_lo, 0xff, v4
	v_cvt_f64_f32_e32 v[2:3], v2
	v_cndmask_b32_e32 v2, 0x20000000, v2, vcc_lo
	v_cndmask_b32_e32 v3, 0x7ff80000, v3, vcc_lo
	v_cmp_ne_u32_e32 vcc_lo, 0, v4
	v_cndmask_b32_e32 v3, 0x38000000, v3, vcc_lo
	v_cndmask_b32_e32 v2, 0, v2, vcc_lo
	s_branch .LBB8_419
.LBB8_306:
	s_mov_b32 s20, -1
	s_mov_b32 s19, 0
	s_mov_b32 s0, s12
.LBB8_307:
	s_and_b32 vcc_lo, exec_lo, s20
	s_cbranch_vccz .LBB8_312
; %bb.308:
	s_cmp_eq_u32 s17, 44
	s_mov_b32 s0, -1
	s_cbranch_scc0 .LBB8_312
; %bb.309:
	v_cvt_f32_f64_e32 v2, v[0:1]
	v_mov_b32_e32 v3, 0xff
	s_mov_b32 s19, exec_lo
	v_bfe_u32 v6, v2, 23, 8
	v_cmpx_ne_u32_e32 0xff, v6
	s_cbranch_execz .LBB8_311
; %bb.310:
	v_and_b32_e32 v3, 0x400000, v2
	v_and_or_b32 v6, 0x3fffff, v2, v6
	v_lshrrev_b32_e32 v2, 23, v2
	v_cmp_ne_u32_e32 vcc_lo, 0, v3
	v_cmp_ne_u32_e64 s0, 0, v6
	s_and_b32 s0, vcc_lo, s0
	v_cndmask_b32_e64 v3, 0, 1, s0
	v_add_nc_u32_e32 v3, v2, v3
.LBB8_311:
	s_or_b32 exec_lo, exec_lo, s19
	s_mov_b32 s19, -1
	s_mov_b32 s0, 0
	global_store_byte v[4:5], v3, off
.LBB8_312:
	s_mov_b32 s20, 0
.LBB8_313:
	s_and_b32 vcc_lo, exec_lo, s20
	s_cbranch_vccz .LBB8_316
; %bb.314:
	s_cmp_eq_u32 s17, 29
	s_mov_b32 s0, -1
	s_cbranch_scc0 .LBB8_316
; %bb.315:
	v_trunc_f64_e32 v[2:3], v[0:1]
	s_mov_b32 s19, -1
	s_mov_b32 s0, 0
	s_mov_b32 s20, 0
	v_ldexp_f64 v[6:7], v[2:3], 0xffffffe0
	v_floor_f64_e32 v[6:7], v[6:7]
	v_fma_f64 v[2:3], 0xc1f00000, v[6:7], v[2:3]
	v_cvt_u32_f64_e32 v7, v[6:7]
	v_cvt_u32_f64_e32 v6, v[2:3]
	global_store_dwordx2 v[4:5], v[6:7], off
	s_branch .LBB8_317
.LBB8_316:
	s_mov_b32 s20, 0
.LBB8_317:
	s_and_b32 vcc_lo, exec_lo, s20
	s_cbranch_vccz .LBB8_333
; %bb.318:
	s_cmp_lt_i32 s17, 27
	s_mov_b32 s19, -1
	s_cbranch_scc1 .LBB8_324
; %bb.319:
	v_cvt_u32_f64_e32 v2, v[0:1]
	s_cmp_gt_i32 s17, 27
	s_cbranch_scc0 .LBB8_321
; %bb.320:
	s_mov_b32 s19, 0
	global_store_dword v[4:5], v2, off
.LBB8_321:
	s_andn2_b32 vcc_lo, exec_lo, s19
	s_cbranch_vccnz .LBB8_323
; %bb.322:
	global_store_short v[4:5], v2, off
.LBB8_323:
	s_mov_b32 s19, 0
.LBB8_324:
	s_andn2_b32 vcc_lo, exec_lo, s19
	s_cbranch_vccnz .LBB8_332
; %bb.325:
	v_cvt_f32_f64_e32 v2, v[0:1]
	v_mov_b32_e32 v6, 0x80
	s_mov_b32 s19, exec_lo
	v_and_b32_e32 v3, 0x7fffffff, v2
	v_cmpx_gt_u32_e32 0x43800000, v3
	s_cbranch_execz .LBB8_331
; %bb.326:
	v_cmp_lt_u32_e32 vcc_lo, 0x3bffffff, v3
	s_mov_b32 s20, 0
                                        ; implicit-def: $vgpr3
	s_and_saveexec_b32 s21, vcc_lo
	s_xor_b32 s21, exec_lo, s21
	s_cbranch_execz .LBB8_544
; %bb.327:
	v_bfe_u32 v3, v2, 20, 1
	s_mov_b32 s20, exec_lo
	v_add3_u32 v3, v2, v3, 0x487ffff
	v_lshrrev_b32_e32 v3, 20, v3
	s_andn2_saveexec_b32 s21, s21
	s_cbranch_execnz .LBB8_545
.LBB8_328:
	s_or_b32 exec_lo, exec_lo, s21
	v_mov_b32_e32 v6, 0
	s_and_saveexec_b32 s21, s20
.LBB8_329:
	v_lshrrev_b32_e32 v2, 24, v2
	v_and_or_b32 v6, 0x80, v2, v3
.LBB8_330:
	s_or_b32 exec_lo, exec_lo, s21
.LBB8_331:
	s_or_b32 exec_lo, exec_lo, s19
	global_store_byte v[4:5], v6, off
.LBB8_332:
	s_mov_b32 s19, -1
.LBB8_333:
	s_mov_b32 s20, 0
.LBB8_334:
	s_and_b32 vcc_lo, exec_lo, s20
	s_cbranch_vccz .LBB8_375
; %bb.335:
	s_cmp_gt_i32 s17, 22
	s_mov_b32 s20, -1
	s_cbranch_scc0 .LBB8_367
; %bb.336:
	s_cmp_lt_i32 s17, 24
	s_mov_b32 s19, -1
	s_cbranch_scc1 .LBB8_356
; %bb.337:
	s_cmp_gt_i32 s17, 24
	s_cbranch_scc0 .LBB8_345
; %bb.338:
	v_cvt_f32_f64_e32 v2, v[0:1]
	v_mov_b32_e32 v6, 0x80
	s_mov_b32 s19, exec_lo
	v_and_b32_e32 v3, 0x7fffffff, v2
	v_cmpx_gt_u32_e32 0x47800000, v3
	s_cbranch_execz .LBB8_344
; %bb.339:
	v_cmp_lt_u32_e32 vcc_lo, 0x37ffffff, v3
	s_mov_b32 s20, 0
                                        ; implicit-def: $vgpr3
	s_and_saveexec_b32 s21, vcc_lo
	s_xor_b32 s21, exec_lo, s21
	s_cbranch_execz .LBB8_547
; %bb.340:
	v_bfe_u32 v3, v2, 21, 1
	s_mov_b32 s20, exec_lo
	v_add3_u32 v3, v2, v3, 0x88fffff
	v_lshrrev_b32_e32 v3, 21, v3
	s_andn2_saveexec_b32 s21, s21
	s_cbranch_execnz .LBB8_548
.LBB8_341:
	s_or_b32 exec_lo, exec_lo, s21
	v_mov_b32_e32 v6, 0
	s_and_saveexec_b32 s21, s20
.LBB8_342:
	v_lshrrev_b32_e32 v2, 24, v2
	v_and_or_b32 v6, 0x80, v2, v3
.LBB8_343:
	s_or_b32 exec_lo, exec_lo, s21
.LBB8_344:
	s_or_b32 exec_lo, exec_lo, s19
	s_mov_b32 s19, 0
	global_store_byte v[4:5], v6, off
.LBB8_345:
	s_and_b32 vcc_lo, exec_lo, s19
	s_cbranch_vccz .LBB8_355
; %bb.346:
	v_cvt_f32_f64_e32 v2, v[0:1]
	s_mov_b32 s19, exec_lo
                                        ; implicit-def: $vgpr3
	v_and_b32_e32 v6, 0x7fffffff, v2
	v_cmpx_gt_u32_e32 0x43f00000, v6
	s_xor_b32 s19, exec_lo, s19
	s_cbranch_execz .LBB8_352
; %bb.347:
	s_mov_b32 s20, exec_lo
                                        ; implicit-def: $vgpr3
	v_cmpx_lt_u32_e32 0x3c7fffff, v6
	s_xor_b32 s20, exec_lo, s20
; %bb.348:
	v_bfe_u32 v3, v2, 20, 1
	v_add3_u32 v3, v2, v3, 0x407ffff
	v_and_b32_e32 v6, 0xff00000, v3
	v_lshrrev_b32_e32 v3, 20, v3
	v_cmp_ne_u32_e32 vcc_lo, 0x7f00000, v6
	v_cndmask_b32_e32 v3, 0x7e, v3, vcc_lo
; %bb.349:
	s_andn2_saveexec_b32 s20, s20
; %bb.350:
	v_add_f32_e64 v3, 0x46800000, |v2|
; %bb.351:
	s_or_b32 exec_lo, exec_lo, s20
                                        ; implicit-def: $vgpr6
.LBB8_352:
	s_andn2_saveexec_b32 s19, s19
; %bb.353:
	v_mov_b32_e32 v3, 0x7f
	v_cmp_lt_u32_e32 vcc_lo, 0x7f800000, v6
	v_cndmask_b32_e32 v3, 0x7e, v3, vcc_lo
; %bb.354:
	s_or_b32 exec_lo, exec_lo, s19
	v_lshrrev_b32_e32 v2, 24, v2
	v_and_or_b32 v2, 0x80, v2, v3
	global_store_byte v[4:5], v2, off
.LBB8_355:
	s_mov_b32 s19, 0
.LBB8_356:
	s_andn2_b32 vcc_lo, exec_lo, s19
	s_cbranch_vccnz .LBB8_366
; %bb.357:
	v_cvt_f32_f64_e32 v2, v[0:1]
	s_mov_b32 s19, exec_lo
                                        ; implicit-def: $vgpr3
	v_and_b32_e32 v6, 0x7fffffff, v2
	v_cmpx_gt_u32_e32 0x47800000, v6
	s_xor_b32 s19, exec_lo, s19
	s_cbranch_execz .LBB8_363
; %bb.358:
	s_mov_b32 s20, exec_lo
                                        ; implicit-def: $vgpr3
	v_cmpx_lt_u32_e32 0x387fffff, v6
	s_xor_b32 s20, exec_lo, s20
; %bb.359:
	v_bfe_u32 v3, v2, 21, 1
	v_add3_u32 v3, v2, v3, 0x80fffff
	v_lshrrev_b32_e32 v3, 21, v3
; %bb.360:
	s_andn2_saveexec_b32 s20, s20
; %bb.361:
	v_add_f32_e64 v3, 0x43000000, |v2|
; %bb.362:
	s_or_b32 exec_lo, exec_lo, s20
                                        ; implicit-def: $vgpr6
.LBB8_363:
	s_andn2_saveexec_b32 s19, s19
; %bb.364:
	v_mov_b32_e32 v3, 0x7f
	v_cmp_lt_u32_e32 vcc_lo, 0x7f800000, v6
	v_cndmask_b32_e32 v3, 0x7c, v3, vcc_lo
; %bb.365:
	s_or_b32 exec_lo, exec_lo, s19
	v_lshrrev_b32_e32 v2, 24, v2
	v_and_or_b32 v2, 0x80, v2, v3
	global_store_byte v[4:5], v2, off
.LBB8_366:
	s_mov_b32 s20, 0
	s_mov_b32 s19, -1
.LBB8_367:
	s_andn2_b32 vcc_lo, exec_lo, s20
	s_cbranch_vccnz .LBB8_375
; %bb.368:
	s_cmp_gt_i32 s17, 14
	s_mov_b32 s20, -1
	s_cbranch_scc0 .LBB8_372
; %bb.369:
	s_cmp_eq_u32 s17, 15
	s_mov_b32 s0, -1
	s_cbranch_scc0 .LBB8_371
; %bb.370:
	v_cvt_f32_f64_e32 v2, v[0:1]
	s_mov_b32 s19, -1
	s_mov_b32 s0, 0
	v_bfe_u32 v3, v2, 16, 1
	v_cmp_o_f32_e32 vcc_lo, v2, v2
	v_add3_u32 v2, v2, v3, 0x7fff
	v_mov_b32_e32 v3, 0x7fc0
	v_cndmask_b32_sdwa v2, v3, v2, vcc_lo dst_sel:DWORD dst_unused:UNUSED_PAD src0_sel:DWORD src1_sel:WORD_1
	global_store_short v[4:5], v2, off
.LBB8_371:
	s_mov_b32 s20, 0
.LBB8_372:
	s_and_b32 vcc_lo, exec_lo, s20
	s_cbranch_vccz .LBB8_375
; %bb.373:
	s_cmp_eq_u32 s17, 11
	s_mov_b32 s0, -1
	s_cbranch_scc0 .LBB8_375
; %bb.374:
	v_cmp_neq_f64_e32 vcc_lo, 0, v[0:1]
	s_mov_b32 s19, -1
	s_mov_b32 s0, 0
	v_cndmask_b32_e64 v2, 0, 1, vcc_lo
	global_store_byte v[4:5], v2, off
.LBB8_375:
	s_mov_b32 s17, 0
.LBB8_376:
	s_and_b32 vcc_lo, exec_lo, s17
	s_cbranch_vccz .LBB8_415
; %bb.377:
	s_and_b32 s1, 0xffff, s1
	s_mov_b32 s17, -1
	s_cmp_lt_i32 s1, 5
	s_cbranch_scc1 .LBB8_398
; %bb.378:
	s_cmp_lt_i32 s1, 8
	s_cbranch_scc1 .LBB8_388
; %bb.379:
	;; [unrolled: 3-line block ×3, first 2 shown]
	s_cmp_gt_i32 s1, 9
	s_cbranch_scc0 .LBB8_382
; %bb.381:
	v_mov_b32_e32 v2, 0
	s_mov_b32 s17, 0
	v_mov_b32_e32 v3, v2
	global_store_dwordx4 v[4:5], v[0:3], off
.LBB8_382:
	s_andn2_b32 vcc_lo, exec_lo, s17
	s_cbranch_vccnz .LBB8_384
; %bb.383:
	v_cvt_f32_f64_e32 v2, v[0:1]
	v_mov_b32_e32 v3, 0
	global_store_dwordx2 v[4:5], v[2:3], off
.LBB8_384:
	s_mov_b32 s17, 0
.LBB8_385:
	s_andn2_b32 vcc_lo, exec_lo, s17
	s_cbranch_vccnz .LBB8_387
; %bb.386:
	v_and_or_b32 v2, 0x1ff, v1, v0
	v_lshrrev_b32_e32 v3, 8, v1
	v_bfe_u32 v6, v1, 20, 11
	v_cmp_ne_u32_e32 vcc_lo, 0, v2
	v_sub_nc_u32_e32 v7, 0x3f1, v6
	v_add_nc_u32_e32 v6, 0xfffffc10, v6
	v_cndmask_b32_e64 v2, 0, 1, vcc_lo
	v_and_or_b32 v2, 0xffe, v3, v2
	v_med3_i32 v3, v7, 0, 13
	v_or_b32_e32 v7, 0x1000, v2
	v_lshrrev_b32_e32 v8, v3, v7
	v_lshlrev_b32_e32 v3, v3, v8
	v_cmp_ne_u32_e32 vcc_lo, v3, v7
	v_lshl_or_b32 v7, v6, 12, v2
	v_cndmask_b32_e64 v3, 0, 1, vcc_lo
	v_cmp_gt_i32_e32 vcc_lo, 1, v6
	v_or_b32_e32 v3, v8, v3
	v_cndmask_b32_e32 v3, v7, v3, vcc_lo
	v_and_b32_e32 v7, 7, v3
	v_lshrrev_b32_e32 v3, 2, v3
	v_cmp_lt_i32_e32 vcc_lo, 5, v7
	v_cndmask_b32_e64 v8, 0, 1, vcc_lo
	v_cmp_eq_u32_e32 vcc_lo, 3, v7
	v_cndmask_b32_e64 v7, 0, 1, vcc_lo
	v_cmp_ne_u32_e32 vcc_lo, 0, v2
	v_or_b32_e32 v7, v7, v8
	v_mov_b32_e32 v8, 0x7e00
	v_add_nc_u32_e32 v3, v3, v7
	v_cndmask_b32_e32 v2, 0x7c00, v8, vcc_lo
	v_cmp_gt_i32_e32 vcc_lo, 31, v6
	v_cndmask_b32_e32 v3, 0x7c00, v3, vcc_lo
	v_cmp_eq_u32_e32 vcc_lo, 0x40f, v6
	v_cndmask_b32_e32 v2, v3, v2, vcc_lo
	v_lshrrev_b32_e32 v3, 16, v1
	v_and_or_b32 v2, 0x8000, v3, v2
	v_and_b32_e32 v2, 0xffff, v2
	global_store_dword v[4:5], v2, off
.LBB8_387:
	s_mov_b32 s17, 0
.LBB8_388:
	s_andn2_b32 vcc_lo, exec_lo, s17
	s_cbranch_vccnz .LBB8_397
; %bb.389:
	s_cmp_lt_i32 s1, 6
	s_mov_b32 s17, -1
	s_cbranch_scc1 .LBB8_395
; %bb.390:
	s_cmp_gt_i32 s1, 6
	s_cbranch_scc0 .LBB8_392
; %bb.391:
	s_mov_b32 s17, 0
	global_store_dwordx2 v[4:5], v[0:1], off
.LBB8_392:
	s_andn2_b32 vcc_lo, exec_lo, s17
	s_cbranch_vccnz .LBB8_394
; %bb.393:
	v_cvt_f32_f64_e32 v2, v[0:1]
	global_store_dword v[4:5], v2, off
.LBB8_394:
	s_mov_b32 s17, 0
.LBB8_395:
	s_andn2_b32 vcc_lo, exec_lo, s17
	s_cbranch_vccnz .LBB8_397
; %bb.396:
	v_and_or_b32 v2, 0x1ff, v1, v0
	v_lshrrev_b32_e32 v3, 8, v1
	v_bfe_u32 v6, v1, 20, 11
	v_cmp_ne_u32_e32 vcc_lo, 0, v2
	v_sub_nc_u32_e32 v7, 0x3f1, v6
	v_add_nc_u32_e32 v6, 0xfffffc10, v6
	v_cndmask_b32_e64 v2, 0, 1, vcc_lo
	v_and_or_b32 v2, 0xffe, v3, v2
	v_med3_i32 v3, v7, 0, 13
	v_or_b32_e32 v7, 0x1000, v2
	v_lshrrev_b32_e32 v8, v3, v7
	v_lshlrev_b32_e32 v3, v3, v8
	v_cmp_ne_u32_e32 vcc_lo, v3, v7
	v_lshl_or_b32 v7, v6, 12, v2
	v_cndmask_b32_e64 v3, 0, 1, vcc_lo
	v_cmp_gt_i32_e32 vcc_lo, 1, v6
	v_or_b32_e32 v3, v8, v3
	v_cndmask_b32_e32 v3, v7, v3, vcc_lo
	v_and_b32_e32 v7, 7, v3
	v_lshrrev_b32_e32 v3, 2, v3
	v_cmp_lt_i32_e32 vcc_lo, 5, v7
	v_cndmask_b32_e64 v8, 0, 1, vcc_lo
	v_cmp_eq_u32_e32 vcc_lo, 3, v7
	v_cndmask_b32_e64 v7, 0, 1, vcc_lo
	v_cmp_ne_u32_e32 vcc_lo, 0, v2
	v_or_b32_e32 v7, v7, v8
	v_mov_b32_e32 v8, 0x7e00
	v_add_nc_u32_e32 v3, v3, v7
	v_cndmask_b32_e32 v2, 0x7c00, v8, vcc_lo
	v_cmp_gt_i32_e32 vcc_lo, 31, v6
	v_cndmask_b32_e32 v3, 0x7c00, v3, vcc_lo
	v_cmp_eq_u32_e32 vcc_lo, 0x40f, v6
	v_cndmask_b32_e32 v2, v3, v2, vcc_lo
	v_lshrrev_b32_e32 v3, 16, v1
	v_and_or_b32 v2, 0x8000, v3, v2
	global_store_short v[4:5], v2, off
.LBB8_397:
	s_mov_b32 s17, 0
.LBB8_398:
	s_andn2_b32 vcc_lo, exec_lo, s17
	s_cbranch_vccnz .LBB8_414
; %bb.399:
	s_cmp_lt_i32 s1, 2
	s_mov_b32 s17, -1
	s_cbranch_scc1 .LBB8_409
; %bb.400:
	s_cmp_lt_i32 s1, 3
	s_cbranch_scc1 .LBB8_406
; %bb.401:
	s_cmp_gt_i32 s1, 3
	s_cbranch_scc0 .LBB8_403
; %bb.402:
	v_trunc_f64_e32 v[2:3], v[0:1]
	s_mov_b32 s17, 0
	v_ldexp_f64 v[6:7], v[2:3], 0xffffffe0
	v_floor_f64_e32 v[6:7], v[6:7]
	v_fma_f64 v[2:3], 0xc1f00000, v[6:7], v[2:3]
	v_cvt_i32_f64_e32 v7, v[6:7]
	v_cvt_u32_f64_e32 v6, v[2:3]
	global_store_dwordx2 v[4:5], v[6:7], off
.LBB8_403:
	s_andn2_b32 vcc_lo, exec_lo, s17
	s_cbranch_vccnz .LBB8_405
; %bb.404:
	v_cvt_i32_f64_e32 v2, v[0:1]
	global_store_dword v[4:5], v2, off
.LBB8_405:
	s_mov_b32 s17, 0
.LBB8_406:
	s_andn2_b32 vcc_lo, exec_lo, s17
	s_cbranch_vccnz .LBB8_408
; %bb.407:
	v_cvt_i32_f64_e32 v2, v[0:1]
	global_store_short v[4:5], v2, off
.LBB8_408:
	s_mov_b32 s17, 0
.LBB8_409:
	s_andn2_b32 vcc_lo, exec_lo, s17
	s_cbranch_vccnz .LBB8_414
; %bb.410:
	s_cmp_gt_i32 s1, 0
	s_mov_b32 s1, -1
	s_cbranch_scc0 .LBB8_412
; %bb.411:
	v_cvt_i32_f64_e32 v2, v[0:1]
	s_mov_b32 s1, 0
	global_store_byte v[4:5], v2, off
.LBB8_412:
	s_andn2_b32 vcc_lo, exec_lo, s1
	s_cbranch_vccnz .LBB8_414
; %bb.413:
	v_trunc_f64_e32 v[0:1], v[0:1]
	v_ldexp_f64 v[2:3], v[0:1], 0xffffffe0
	v_floor_f64_e32 v[2:3], v[2:3]
	v_fma_f64 v[0:1], 0xc1f00000, v[2:3], v[0:1]
	v_cvt_u32_f64_e32 v0, v[0:1]
	global_store_byte v[4:5], v0, off
.LBB8_414:
	s_mov_b32 s19, -1
.LBB8_415:
	s_andn2_b32 vcc_lo, exec_lo, s19
	s_cbranch_vccnz .LBB8_417
; %bb.416:
	v_add_nc_u32_e32 v10, 0x80, v10
	s_mov_b32 s1, -1
	s_branch .LBB8_530
.LBB8_417:
	s_mov_b32 s1, 0
	s_branch .LBB8_529
.LBB8_418:
	s_mov_b32 s16, -1
                                        ; implicit-def: $vgpr2_vgpr3
.LBB8_419:
	s_mov_b32 s17, 0
.LBB8_420:
	s_and_b32 vcc_lo, exec_lo, s17
	s_cbranch_vccz .LBB8_424
; %bb.421:
	s_cmp_eq_u32 s0, 29
	s_cbranch_scc0 .LBB8_423
; %bb.422:
	global_load_dwordx2 v[2:3], v[0:1], off
	s_mov_b32 s1, -1
	s_mov_b32 s16, 0
	s_mov_b32 s17, 0
	s_waitcnt vmcnt(0)
	v_cvt_f64_u32_e32 v[3:4], v3
	v_cvt_f64_u32_e32 v[5:6], v2
	v_ldexp_f64 v[3:4], v[3:4], 32
	v_add_f64 v[2:3], v[3:4], v[5:6]
	s_branch .LBB8_425
.LBB8_423:
	s_mov_b32 s16, -1
                                        ; implicit-def: $vgpr2_vgpr3
.LBB8_424:
	s_mov_b32 s17, 0
.LBB8_425:
	s_and_b32 vcc_lo, exec_lo, s17
	s_cbranch_vccz .LBB8_445
; %bb.426:
	s_cmp_lt_i32 s0, 27
	s_cbranch_scc1 .LBB8_429
; %bb.427:
	s_cmp_gt_i32 s0, 27
	s_cbranch_scc0 .LBB8_430
; %bb.428:
	global_load_dword v2, v[0:1], off
	s_mov_b32 s1, 0
	s_waitcnt vmcnt(0)
	v_cvt_f64_u32_e32 v[2:3], v2
	s_branch .LBB8_431
.LBB8_429:
	s_mov_b32 s1, -1
                                        ; implicit-def: $vgpr2_vgpr3
	s_branch .LBB8_434
.LBB8_430:
	s_mov_b32 s1, -1
                                        ; implicit-def: $vgpr2_vgpr3
.LBB8_431:
	s_andn2_b32 vcc_lo, exec_lo, s1
	s_cbranch_vccnz .LBB8_433
; %bb.432:
	global_load_ushort v2, v[0:1], off
	s_waitcnt vmcnt(0)
	v_cvt_f64_u32_e32 v[2:3], v2
.LBB8_433:
	s_mov_b32 s1, 0
.LBB8_434:
	s_andn2_b32 vcc_lo, exec_lo, s1
	s_cbranch_vccnz .LBB8_444
; %bb.435:
	global_load_ubyte v4, v[0:1], off
	s_mov_b32 s1, 0
	s_mov_b32 s17, exec_lo
	s_waitcnt vmcnt(0)
	v_cmpx_lt_i16_e32 0x7f, v4
	s_xor_b32 s17, exec_lo, s17
	s_cbranch_execz .LBB8_439
; %bb.436:
	s_mov_b32 s1, -1
	s_mov_b32 s19, exec_lo
	v_cmpx_eq_u16_e32 0x80, v4
; %bb.437:
	s_xor_b32 s1, exec_lo, -1
; %bb.438:
	s_or_b32 exec_lo, exec_lo, s19
	s_and_b32 s1, s1, exec_lo
.LBB8_439:
	s_or_saveexec_b32 s17, s17
	v_bfrev_b32_e32 v2, 4
	v_mov_b32_e32 v3, 0x7ff80000
	s_xor_b32 exec_lo, exec_lo, s17
; %bb.440:
	v_cmp_ne_u16_e32 vcc_lo, 0, v4
	v_mov_b32_e32 v2, 0
	v_mov_b32_e32 v3, 0
	s_andn2_b32 s1, s1, exec_lo
	s_and_b32 s19, vcc_lo, exec_lo
	s_or_b32 s1, s1, s19
; %bb.441:
	s_or_b32 exec_lo, exec_lo, s17
	s_and_saveexec_b32 s17, s1
	s_cbranch_execz .LBB8_443
; %bb.442:
	v_and_b32_e32 v2, 0xffff, v4
	v_lshlrev_b32_e32 v4, 24, v4
	v_and_b32_e32 v3, 7, v2
	v_bfe_u32 v7, v2, 3, 4
	v_ffbh_u32_e32 v5, v3
	v_cmp_eq_u32_e32 vcc_lo, 0, v7
	v_min_u32_e32 v5, 32, v5
	v_subrev_nc_u32_e32 v6, 28, v5
	v_sub_nc_u32_e32 v5, 29, v5
	v_lshlrev_b32_e32 v2, v6, v2
	v_cndmask_b32_e32 v5, v7, v5, vcc_lo
	v_and_b32_e32 v2, 7, v2
	v_cndmask_b32_e32 v2, v3, v2, vcc_lo
	v_and_b32_e32 v3, 0x80000000, v4
	v_lshl_add_u32 v4, v5, 23, 0x3b800000
	v_lshlrev_b32_e32 v2, 20, v2
	v_or3_b32 v2, v3, v4, v2
	v_cvt_f64_f32_e32 v[2:3], v2
.LBB8_443:
	s_or_b32 exec_lo, exec_lo, s17
.LBB8_444:
	s_mov_b32 s1, -1
.LBB8_445:
	s_mov_b32 s17, 0
.LBB8_446:
	s_and_b32 vcc_lo, exec_lo, s17
	s_cbranch_vccz .LBB8_479
; %bb.447:
	s_cmp_gt_i32 s0, 22
	s_cbranch_scc0 .LBB8_459
; %bb.448:
	s_cmp_lt_i32 s0, 24
	s_cbranch_scc1 .LBB8_460
; %bb.449:
	s_cmp_gt_i32 s0, 24
	s_cbranch_scc0 .LBB8_461
; %bb.450:
	global_load_ubyte v4, v[0:1], off
	s_mov_b32 s1, 0
	s_mov_b32 s17, exec_lo
	s_waitcnt vmcnt(0)
	v_cmpx_lt_i16_e32 0x7f, v4
	s_xor_b32 s17, exec_lo, s17
	s_cbranch_execz .LBB8_454
; %bb.451:
	s_mov_b32 s1, -1
	s_mov_b32 s19, exec_lo
	v_cmpx_eq_u16_e32 0x80, v4
; %bb.452:
	s_xor_b32 s1, exec_lo, -1
; %bb.453:
	s_or_b32 exec_lo, exec_lo, s19
	s_and_b32 s1, s1, exec_lo
.LBB8_454:
	s_or_saveexec_b32 s17, s17
	v_bfrev_b32_e32 v2, 4
	v_mov_b32_e32 v3, 0x7ff80000
	s_xor_b32 exec_lo, exec_lo, s17
; %bb.455:
	v_cmp_ne_u16_e32 vcc_lo, 0, v4
	v_mov_b32_e32 v2, 0
	v_mov_b32_e32 v3, 0
	s_andn2_b32 s1, s1, exec_lo
	s_and_b32 s19, vcc_lo, exec_lo
	s_or_b32 s1, s1, s19
; %bb.456:
	s_or_b32 exec_lo, exec_lo, s17
	s_and_saveexec_b32 s17, s1
	s_cbranch_execz .LBB8_458
; %bb.457:
	v_and_b32_e32 v2, 0xffff, v4
	v_lshlrev_b32_e32 v4, 24, v4
	v_and_b32_e32 v3, 3, v2
	v_bfe_u32 v7, v2, 2, 5
	v_ffbh_u32_e32 v5, v3
	v_cmp_eq_u32_e32 vcc_lo, 0, v7
	v_min_u32_e32 v5, 32, v5
	v_subrev_nc_u32_e32 v6, 29, v5
	v_sub_nc_u32_e32 v5, 30, v5
	v_lshlrev_b32_e32 v2, v6, v2
	v_cndmask_b32_e32 v5, v7, v5, vcc_lo
	v_and_b32_e32 v2, 3, v2
	v_cndmask_b32_e32 v2, v3, v2, vcc_lo
	v_and_b32_e32 v3, 0x80000000, v4
	v_lshl_add_u32 v4, v5, 23, 0x37800000
	v_lshlrev_b32_e32 v2, 21, v2
	v_or3_b32 v2, v3, v4, v2
	v_cvt_f64_f32_e32 v[2:3], v2
.LBB8_458:
	s_or_b32 exec_lo, exec_lo, s17
	s_mov_b32 s1, 0
	s_branch .LBB8_462
.LBB8_459:
	s_mov_b32 s17, -1
                                        ; implicit-def: $vgpr2_vgpr3
	s_branch .LBB8_468
.LBB8_460:
	s_mov_b32 s1, -1
                                        ; implicit-def: $vgpr2_vgpr3
	s_branch .LBB8_465
.LBB8_461:
	s_mov_b32 s1, -1
                                        ; implicit-def: $vgpr2_vgpr3
.LBB8_462:
	s_and_b32 vcc_lo, exec_lo, s1
	s_cbranch_vccz .LBB8_464
; %bb.463:
	global_load_ubyte v2, v[0:1], off
	s_waitcnt vmcnt(0)
	v_lshlrev_b32_e32 v2, 24, v2
	v_and_b32_e32 v3, 0x7f000000, v2
	v_ffbh_u32_e32 v4, v3
	v_add_nc_u32_e32 v6, 0x1000000, v3
	v_cmp_ne_u32_e32 vcc_lo, 0, v3
	v_min_u32_e32 v4, 32, v4
	v_sub_nc_u32_e64 v4, v4, 4 clamp
	v_lshlrev_b32_e32 v5, v4, v3
	v_lshlrev_b32_e32 v4, 23, v4
	v_lshrrev_b32_e32 v5, 4, v5
	v_sub_nc_u32_e32 v4, v5, v4
	v_ashrrev_i32_e32 v5, 8, v6
	v_add_nc_u32_e32 v4, 0x3c000000, v4
	v_and_or_b32 v4, 0x7f800000, v5, v4
	v_cndmask_b32_e32 v3, 0, v4, vcc_lo
	v_and_or_b32 v2, 0x80000000, v2, v3
	v_cvt_f64_f32_e32 v[2:3], v2
.LBB8_464:
	s_mov_b32 s1, 0
.LBB8_465:
	s_andn2_b32 vcc_lo, exec_lo, s1
	s_cbranch_vccnz .LBB8_467
; %bb.466:
	global_load_ubyte v2, v[0:1], off
	s_waitcnt vmcnt(0)
	v_lshlrev_b32_e32 v3, 25, v2
	v_lshlrev_b16 v2, 8, v2
	v_lshrrev_b32_e32 v4, 4, v3
	v_and_or_b32 v5, 0x7f00, v2, 0.5
	v_cmp_gt_u32_e32 vcc_lo, 0x8000000, v3
	v_bfe_i32 v2, v2, 0, 16
	v_or_b32_e32 v4, 0x70000000, v4
	v_add_f32_e32 v5, -0.5, v5
	v_mul_f32_e32 v4, 0x7800000, v4
	v_cndmask_b32_e32 v3, v4, v5, vcc_lo
	v_and_or_b32 v2, 0x80000000, v2, v3
	v_cvt_f64_f32_e32 v[2:3], v2
.LBB8_467:
	s_mov_b32 s17, 0
	s_mov_b32 s1, -1
.LBB8_468:
	s_andn2_b32 vcc_lo, exec_lo, s17
	s_cbranch_vccnz .LBB8_479
; %bb.469:
	s_cmp_gt_i32 s0, 14
	s_cbranch_scc0 .LBB8_472
; %bb.470:
	s_cmp_eq_u32 s0, 15
	s_cbranch_scc0 .LBB8_473
; %bb.471:
	global_load_ushort v2, v[0:1], off
	s_mov_b32 s1, -1
	s_mov_b32 s16, 0
	s_waitcnt vmcnt(0)
	v_lshlrev_b32_e32 v2, 16, v2
	v_cvt_f64_f32_e32 v[2:3], v2
	s_branch .LBB8_474
.LBB8_472:
	s_mov_b32 s17, -1
                                        ; implicit-def: $vgpr2_vgpr3
	s_branch .LBB8_475
.LBB8_473:
	s_mov_b32 s16, -1
                                        ; implicit-def: $vgpr2_vgpr3
.LBB8_474:
	s_mov_b32 s17, 0
.LBB8_475:
	s_and_b32 vcc_lo, exec_lo, s17
	s_cbranch_vccz .LBB8_479
; %bb.476:
	s_cmp_eq_u32 s0, 11
	s_cbranch_scc0 .LBB8_478
; %bb.477:
	global_load_ubyte v2, v[0:1], off
	s_mov_b32 s16, 0
	s_mov_b32 s1, -1
	s_waitcnt vmcnt(0)
	v_cmp_ne_u16_e32 vcc_lo, 0, v2
	v_mov_b32_e32 v2, 0
	v_cndmask_b32_e64 v3, 0, 0x3ff00000, vcc_lo
	s_branch .LBB8_479
.LBB8_478:
	s_mov_b32 s16, -1
                                        ; implicit-def: $vgpr2_vgpr3
.LBB8_479:
	s_branch .LBB8_273
.LBB8_480:
	s_cmp_lt_i32 s0, 5
	s_cbranch_scc1 .LBB8_485
; %bb.481:
	s_cmp_lt_i32 s0, 8
	s_cbranch_scc1 .LBB8_486
; %bb.482:
	;; [unrolled: 3-line block ×3, first 2 shown]
	s_cmp_gt_i32 s0, 9
	s_cbranch_scc0 .LBB8_488
; %bb.484:
	global_load_dwordx2 v[2:3], v[0:1], off
	s_mov_b32 s1, 0
	s_branch .LBB8_489
.LBB8_485:
	s_mov_b32 s1, -1
                                        ; implicit-def: $vgpr2_vgpr3
	s_branch .LBB8_507
.LBB8_486:
	s_mov_b32 s1, -1
                                        ; implicit-def: $vgpr2_vgpr3
	s_branch .LBB8_495
.LBB8_487:
	s_mov_b32 s1, -1
                                        ; implicit-def: $vgpr2_vgpr3
	s_branch .LBB8_492
.LBB8_488:
	s_mov_b32 s1, -1
                                        ; implicit-def: $vgpr2_vgpr3
.LBB8_489:
	s_andn2_b32 vcc_lo, exec_lo, s1
	s_cbranch_vccnz .LBB8_491
; %bb.490:
	global_load_dword v2, v[0:1], off
	s_waitcnt vmcnt(0)
	v_cvt_f64_f32_e32 v[2:3], v2
.LBB8_491:
	s_mov_b32 s1, 0
.LBB8_492:
	s_andn2_b32 vcc_lo, exec_lo, s1
	s_cbranch_vccnz .LBB8_494
; %bb.493:
	global_load_dword v2, v[0:1], off
	s_waitcnt vmcnt(0)
	v_cvt_f32_f16_e32 v2, v2
	v_cvt_f64_f32_e32 v[2:3], v2
.LBB8_494:
	s_mov_b32 s1, 0
.LBB8_495:
	s_andn2_b32 vcc_lo, exec_lo, s1
	s_cbranch_vccnz .LBB8_506
; %bb.496:
	s_cmp_lt_i32 s0, 6
	s_cbranch_scc1 .LBB8_499
; %bb.497:
	s_cmp_gt_i32 s0, 6
	s_cbranch_scc0 .LBB8_500
; %bb.498:
	global_load_dwordx2 v[2:3], v[0:1], off
	s_mov_b32 s1, 0
	s_branch .LBB8_501
.LBB8_499:
	s_mov_b32 s1, -1
                                        ; implicit-def: $vgpr2_vgpr3
	s_branch .LBB8_504
.LBB8_500:
	s_mov_b32 s1, -1
                                        ; implicit-def: $vgpr2_vgpr3
.LBB8_501:
	s_andn2_b32 vcc_lo, exec_lo, s1
	s_cbranch_vccnz .LBB8_503
; %bb.502:
	global_load_dword v2, v[0:1], off
	s_waitcnt vmcnt(0)
	v_cvt_f64_f32_e32 v[2:3], v2
.LBB8_503:
	s_mov_b32 s1, 0
.LBB8_504:
	s_andn2_b32 vcc_lo, exec_lo, s1
	s_cbranch_vccnz .LBB8_506
; %bb.505:
	global_load_ushort v2, v[0:1], off
	s_waitcnt vmcnt(0)
	v_cvt_f32_f16_e32 v2, v2
	v_cvt_f64_f32_e32 v[2:3], v2
.LBB8_506:
	s_mov_b32 s1, 0
.LBB8_507:
	s_andn2_b32 vcc_lo, exec_lo, s1
	s_cbranch_vccnz .LBB8_527
; %bb.508:
	s_cmp_lt_i32 s0, 2
	s_cbranch_scc1 .LBB8_512
; %bb.509:
	s_cmp_lt_i32 s0, 3
	s_cbranch_scc1 .LBB8_513
; %bb.510:
	s_cmp_gt_i32 s0, 3
	s_cbranch_scc0 .LBB8_514
; %bb.511:
	global_load_dwordx2 v[2:3], v[0:1], off
	s_mov_b32 s1, 0
	s_waitcnt vmcnt(0)
	v_cvt_f64_i32_e32 v[3:4], v3
	v_cvt_f64_u32_e32 v[5:6], v2
	v_ldexp_f64 v[3:4], v[3:4], 32
	v_add_f64 v[2:3], v[3:4], v[5:6]
	s_branch .LBB8_515
.LBB8_512:
	s_mov_b32 s1, -1
                                        ; implicit-def: $vgpr2_vgpr3
	s_branch .LBB8_521
.LBB8_513:
	s_mov_b32 s1, -1
                                        ; implicit-def: $vgpr2_vgpr3
	s_branch .LBB8_518
.LBB8_514:
	s_mov_b32 s1, -1
                                        ; implicit-def: $vgpr2_vgpr3
.LBB8_515:
	s_andn2_b32 vcc_lo, exec_lo, s1
	s_cbranch_vccnz .LBB8_517
; %bb.516:
	global_load_dword v2, v[0:1], off
	s_waitcnt vmcnt(0)
	v_cvt_f64_i32_e32 v[2:3], v2
.LBB8_517:
	s_mov_b32 s1, 0
.LBB8_518:
	s_andn2_b32 vcc_lo, exec_lo, s1
	s_cbranch_vccnz .LBB8_520
; %bb.519:
	global_load_sshort v2, v[0:1], off
	s_waitcnt vmcnt(0)
	v_cvt_f64_i32_e32 v[2:3], v2
.LBB8_520:
	s_mov_b32 s1, 0
.LBB8_521:
	s_andn2_b32 vcc_lo, exec_lo, s1
	s_cbranch_vccnz .LBB8_527
; %bb.522:
	s_cmp_gt_i32 s0, 0
	s_mov_b32 s0, 0
	s_cbranch_scc0 .LBB8_524
; %bb.523:
	global_load_sbyte v2, v[0:1], off
	s_waitcnt vmcnt(0)
	v_cvt_f64_i32_e32 v[2:3], v2
	s_branch .LBB8_525
.LBB8_524:
	s_mov_b32 s0, -1
                                        ; implicit-def: $vgpr2_vgpr3
.LBB8_525:
	s_andn2_b32 vcc_lo, exec_lo, s0
	s_cbranch_vccnz .LBB8_527
; %bb.526:
	global_load_ubyte v0, v[0:1], off
	s_waitcnt vmcnt(0)
	v_cvt_f64_u32_e32 v[2:3], v0
.LBB8_527:
	s_branch .LBB8_274
.LBB8_528:
	s_mov_b32 s1, 0
	s_mov_b32 s0, s12
.LBB8_529:
                                        ; implicit-def: $vgpr10
.LBB8_530:
	s_andn2_b32 s17, s12, exec_lo
	s_and_b32 s0, s0, exec_lo
	s_andn2_b32 s19, s14, exec_lo
	s_and_b32 s16, s16, exec_lo
	s_or_b32 s17, s17, s0
	s_or_b32 s16, s19, s16
	s_orn2_b32 s0, s1, exec_lo
.LBB8_531:
	s_or_b32 exec_lo, exec_lo, s18
	s_mov_b32 s1, 0
	s_mov_b32 s19, 0
	;; [unrolled: 1-line block ×3, first 2 shown]
                                        ; implicit-def: $vgpr0_vgpr1
                                        ; implicit-def: $vgpr2_vgpr3
	s_and_saveexec_b32 s18, s0
	s_cbranch_execz .LBB8_886
; %bb.532:
	s_mov_b32 s20, -1
	s_mov_b32 s0, s16
	s_mov_b32 s1, s17
	s_mov_b32 s19, exec_lo
	v_cmpx_gt_i32_e64 s13, v10
	s_cbranch_execz .LBB8_800
; %bb.533:
	v_mul_lo_u32 v0, v10, s3
	s_and_b32 s0, 0xffff, s6
	s_cmp_lt_i32 s0, 11
	v_ashrrev_i32_e32 v1, 31, v0
	v_add_co_u32 v0, vcc_lo, s10, v0
	v_add_co_ci_u32_e64 v1, null, s11, v1, vcc_lo
	s_cbranch_scc1 .LBB8_540
; %bb.534:
	s_cmp_gt_i32 s0, 25
	s_cbranch_scc0 .LBB8_541
; %bb.535:
	s_cmp_gt_i32 s0, 28
	s_cbranch_scc0 .LBB8_542
	;; [unrolled: 3-line block ×4, first 2 shown]
; %bb.538:
	s_cmp_eq_u32 s0, 46
	s_mov_b32 s21, 0
	s_cbranch_scc0 .LBB8_549
; %bb.539:
	global_load_dword v2, v[0:1], off
	s_mov_b32 s1, -1
	s_mov_b32 s20, 0
	s_waitcnt vmcnt(0)
	v_lshlrev_b32_e32 v2, 16, v2
	v_cvt_f64_f32_e32 v[2:3], v2
	s_branch .LBB8_551
.LBB8_540:
	s_mov_b32 s21, -1
	s_mov_b32 s1, 0
	s_mov_b32 s20, s16
                                        ; implicit-def: $vgpr2_vgpr3
	s_branch .LBB8_616
.LBB8_541:
	s_mov_b32 s21, -1
	s_mov_b32 s1, 0
	s_mov_b32 s20, s16
                                        ; implicit-def: $vgpr2_vgpr3
	s_branch .LBB8_582
.LBB8_542:
	s_mov_b32 s21, -1
	s_mov_b32 s1, 0
	s_mov_b32 s20, s16
                                        ; implicit-def: $vgpr2_vgpr3
	s_branch .LBB8_561
.LBB8_543:
	s_mov_b32 s21, -1
	s_mov_b32 s1, 0
	s_mov_b32 s20, s16
                                        ; implicit-def: $vgpr2_vgpr3
	s_branch .LBB8_556
.LBB8_544:
	s_andn2_saveexec_b32 s21, s21
	s_cbranch_execz .LBB8_328
.LBB8_545:
	v_add_f32_e64 v3, 0x46000000, |v2|
	s_andn2_b32 s20, s20, exec_lo
	v_and_b32_e32 v3, 0xff, v3
	v_cmp_ne_u32_e32 vcc_lo, 0, v3
	s_and_b32 s22, vcc_lo, exec_lo
	s_or_b32 s20, s20, s22
	s_or_b32 exec_lo, exec_lo, s21
	v_mov_b32_e32 v6, 0
	s_and_saveexec_b32 s21, s20
	s_cbranch_execnz .LBB8_329
	s_branch .LBB8_330
.LBB8_546:
	s_mov_b32 s21, -1
	s_mov_b32 s1, 0
	s_mov_b32 s20, s16
	s_branch .LBB8_550
.LBB8_547:
	s_andn2_saveexec_b32 s21, s21
	s_cbranch_execz .LBB8_341
.LBB8_548:
	v_add_f32_e64 v3, 0x42800000, |v2|
	s_andn2_b32 s20, s20, exec_lo
	v_and_b32_e32 v3, 0xff, v3
	v_cmp_ne_u32_e32 vcc_lo, 0, v3
	s_and_b32 s22, vcc_lo, exec_lo
	s_or_b32 s20, s20, s22
	s_or_b32 exec_lo, exec_lo, s21
	v_mov_b32_e32 v6, 0
	s_and_saveexec_b32 s21, s20
	s_cbranch_execnz .LBB8_342
	s_branch .LBB8_343
.LBB8_549:
	s_mov_b32 s1, 0
.LBB8_550:
                                        ; implicit-def: $vgpr2_vgpr3
.LBB8_551:
	s_and_b32 vcc_lo, exec_lo, s21
	s_cbranch_vccz .LBB8_555
; %bb.552:
	s_cmp_eq_u32 s0, 44
	s_cbranch_scc0 .LBB8_554
; %bb.553:
	global_load_ubyte v4, v[0:1], off
	s_mov_b32 s20, 0
	s_mov_b32 s1, -1
	s_waitcnt vmcnt(0)
	v_lshlrev_b32_e32 v2, 23, v4
	v_cmp_ne_u32_e32 vcc_lo, 0xff, v4
	v_cvt_f64_f32_e32 v[2:3], v2
	v_cndmask_b32_e32 v2, 0x20000000, v2, vcc_lo
	v_cndmask_b32_e32 v3, 0x7ff80000, v3, vcc_lo
	v_cmp_ne_u32_e32 vcc_lo, 0, v4
	v_cndmask_b32_e32 v3, 0x38000000, v3, vcc_lo
	v_cndmask_b32_e32 v2, 0, v2, vcc_lo
	s_branch .LBB8_555
.LBB8_554:
	s_mov_b32 s20, -1
                                        ; implicit-def: $vgpr2_vgpr3
.LBB8_555:
	s_mov_b32 s21, 0
.LBB8_556:
	s_and_b32 vcc_lo, exec_lo, s21
	s_cbranch_vccz .LBB8_560
; %bb.557:
	s_cmp_eq_u32 s0, 29
	s_cbranch_scc0 .LBB8_559
; %bb.558:
	global_load_dwordx2 v[2:3], v[0:1], off
	s_mov_b32 s1, -1
	s_mov_b32 s20, 0
	s_mov_b32 s21, 0
	s_waitcnt vmcnt(0)
	v_cvt_f64_u32_e32 v[3:4], v3
	v_cvt_f64_u32_e32 v[5:6], v2
	v_ldexp_f64 v[3:4], v[3:4], 32
	v_add_f64 v[2:3], v[3:4], v[5:6]
	s_branch .LBB8_561
.LBB8_559:
	s_mov_b32 s20, -1
                                        ; implicit-def: $vgpr2_vgpr3
.LBB8_560:
	s_mov_b32 s21, 0
.LBB8_561:
	s_and_b32 vcc_lo, exec_lo, s21
	s_cbranch_vccz .LBB8_581
; %bb.562:
	s_cmp_lt_i32 s0, 27
	s_cbranch_scc1 .LBB8_565
; %bb.563:
	s_cmp_gt_i32 s0, 27
	s_cbranch_scc0 .LBB8_566
; %bb.564:
	global_load_dword v2, v[0:1], off
	s_mov_b32 s1, 0
	s_waitcnt vmcnt(0)
	v_cvt_f64_u32_e32 v[2:3], v2
	s_branch .LBB8_567
.LBB8_565:
	s_mov_b32 s1, -1
                                        ; implicit-def: $vgpr2_vgpr3
	s_branch .LBB8_570
.LBB8_566:
	s_mov_b32 s1, -1
                                        ; implicit-def: $vgpr2_vgpr3
.LBB8_567:
	s_andn2_b32 vcc_lo, exec_lo, s1
	s_cbranch_vccnz .LBB8_569
; %bb.568:
	global_load_ushort v2, v[0:1], off
	s_waitcnt vmcnt(0)
	v_cvt_f64_u32_e32 v[2:3], v2
.LBB8_569:
	s_mov_b32 s1, 0
.LBB8_570:
	s_andn2_b32 vcc_lo, exec_lo, s1
	s_cbranch_vccnz .LBB8_580
; %bb.571:
	global_load_ubyte v4, v[0:1], off
	s_mov_b32 s1, 0
	s_mov_b32 s21, exec_lo
	s_waitcnt vmcnt(0)
	v_cmpx_lt_i16_e32 0x7f, v4
	s_xor_b32 s21, exec_lo, s21
	s_cbranch_execz .LBB8_575
; %bb.572:
	s_mov_b32 s1, -1
	s_mov_b32 s22, exec_lo
	v_cmpx_eq_u16_e32 0x80, v4
; %bb.573:
	s_xor_b32 s1, exec_lo, -1
; %bb.574:
	s_or_b32 exec_lo, exec_lo, s22
	s_and_b32 s1, s1, exec_lo
.LBB8_575:
	s_or_saveexec_b32 s21, s21
	v_bfrev_b32_e32 v2, 4
	v_mov_b32_e32 v3, 0x7ff80000
	s_xor_b32 exec_lo, exec_lo, s21
; %bb.576:
	v_cmp_ne_u16_e32 vcc_lo, 0, v4
	v_mov_b32_e32 v2, 0
	v_mov_b32_e32 v3, 0
	s_andn2_b32 s1, s1, exec_lo
	s_and_b32 s22, vcc_lo, exec_lo
	s_or_b32 s1, s1, s22
; %bb.577:
	s_or_b32 exec_lo, exec_lo, s21
	s_and_saveexec_b32 s21, s1
	s_cbranch_execz .LBB8_579
; %bb.578:
	v_and_b32_e32 v2, 0xffff, v4
	v_lshlrev_b32_e32 v4, 24, v4
	v_and_b32_e32 v3, 7, v2
	v_bfe_u32 v7, v2, 3, 4
	v_ffbh_u32_e32 v5, v3
	v_cmp_eq_u32_e32 vcc_lo, 0, v7
	v_min_u32_e32 v5, 32, v5
	v_subrev_nc_u32_e32 v6, 28, v5
	v_sub_nc_u32_e32 v5, 29, v5
	v_lshlrev_b32_e32 v2, v6, v2
	v_cndmask_b32_e32 v5, v7, v5, vcc_lo
	v_and_b32_e32 v2, 7, v2
	v_cndmask_b32_e32 v2, v3, v2, vcc_lo
	v_and_b32_e32 v3, 0x80000000, v4
	v_lshl_add_u32 v4, v5, 23, 0x3b800000
	v_lshlrev_b32_e32 v2, 20, v2
	v_or3_b32 v2, v3, v4, v2
	v_cvt_f64_f32_e32 v[2:3], v2
.LBB8_579:
	s_or_b32 exec_lo, exec_lo, s21
.LBB8_580:
	s_mov_b32 s1, -1
.LBB8_581:
	s_mov_b32 s21, 0
.LBB8_582:
	s_and_b32 vcc_lo, exec_lo, s21
	s_cbranch_vccz .LBB8_615
; %bb.583:
	s_cmp_gt_i32 s0, 22
	s_cbranch_scc0 .LBB8_595
; %bb.584:
	s_cmp_lt_i32 s0, 24
	s_cbranch_scc1 .LBB8_596
; %bb.585:
	s_cmp_gt_i32 s0, 24
	s_cbranch_scc0 .LBB8_597
; %bb.586:
	global_load_ubyte v4, v[0:1], off
	s_mov_b32 s1, 0
	s_mov_b32 s21, exec_lo
	s_waitcnt vmcnt(0)
	v_cmpx_lt_i16_e32 0x7f, v4
	s_xor_b32 s21, exec_lo, s21
	s_cbranch_execz .LBB8_590
; %bb.587:
	s_mov_b32 s1, -1
	s_mov_b32 s22, exec_lo
	v_cmpx_eq_u16_e32 0x80, v4
; %bb.588:
	s_xor_b32 s1, exec_lo, -1
; %bb.589:
	s_or_b32 exec_lo, exec_lo, s22
	s_and_b32 s1, s1, exec_lo
.LBB8_590:
	s_or_saveexec_b32 s21, s21
	v_bfrev_b32_e32 v2, 4
	v_mov_b32_e32 v3, 0x7ff80000
	s_xor_b32 exec_lo, exec_lo, s21
; %bb.591:
	v_cmp_ne_u16_e32 vcc_lo, 0, v4
	v_mov_b32_e32 v2, 0
	v_mov_b32_e32 v3, 0
	s_andn2_b32 s1, s1, exec_lo
	s_and_b32 s22, vcc_lo, exec_lo
	s_or_b32 s1, s1, s22
; %bb.592:
	s_or_b32 exec_lo, exec_lo, s21
	s_and_saveexec_b32 s21, s1
	s_cbranch_execz .LBB8_594
; %bb.593:
	v_and_b32_e32 v2, 0xffff, v4
	v_lshlrev_b32_e32 v4, 24, v4
	v_and_b32_e32 v3, 3, v2
	v_bfe_u32 v7, v2, 2, 5
	v_ffbh_u32_e32 v5, v3
	v_cmp_eq_u32_e32 vcc_lo, 0, v7
	v_min_u32_e32 v5, 32, v5
	v_subrev_nc_u32_e32 v6, 29, v5
	v_sub_nc_u32_e32 v5, 30, v5
	v_lshlrev_b32_e32 v2, v6, v2
	v_cndmask_b32_e32 v5, v7, v5, vcc_lo
	v_and_b32_e32 v2, 3, v2
	v_cndmask_b32_e32 v2, v3, v2, vcc_lo
	v_and_b32_e32 v3, 0x80000000, v4
	v_lshl_add_u32 v4, v5, 23, 0x37800000
	v_lshlrev_b32_e32 v2, 21, v2
	v_or3_b32 v2, v3, v4, v2
	v_cvt_f64_f32_e32 v[2:3], v2
.LBB8_594:
	s_or_b32 exec_lo, exec_lo, s21
	s_mov_b32 s1, 0
	s_branch .LBB8_598
.LBB8_595:
	s_mov_b32 s21, -1
                                        ; implicit-def: $vgpr2_vgpr3
	s_branch .LBB8_604
.LBB8_596:
	s_mov_b32 s1, -1
                                        ; implicit-def: $vgpr2_vgpr3
	s_branch .LBB8_601
.LBB8_597:
	s_mov_b32 s1, -1
                                        ; implicit-def: $vgpr2_vgpr3
.LBB8_598:
	s_and_b32 vcc_lo, exec_lo, s1
	s_cbranch_vccz .LBB8_600
; %bb.599:
	global_load_ubyte v2, v[0:1], off
	s_waitcnt vmcnt(0)
	v_lshlrev_b32_e32 v2, 24, v2
	v_and_b32_e32 v3, 0x7f000000, v2
	v_ffbh_u32_e32 v4, v3
	v_add_nc_u32_e32 v6, 0x1000000, v3
	v_cmp_ne_u32_e32 vcc_lo, 0, v3
	v_min_u32_e32 v4, 32, v4
	v_sub_nc_u32_e64 v4, v4, 4 clamp
	v_lshlrev_b32_e32 v5, v4, v3
	v_lshlrev_b32_e32 v4, 23, v4
	v_lshrrev_b32_e32 v5, 4, v5
	v_sub_nc_u32_e32 v4, v5, v4
	v_ashrrev_i32_e32 v5, 8, v6
	v_add_nc_u32_e32 v4, 0x3c000000, v4
	v_and_or_b32 v4, 0x7f800000, v5, v4
	v_cndmask_b32_e32 v3, 0, v4, vcc_lo
	v_and_or_b32 v2, 0x80000000, v2, v3
	v_cvt_f64_f32_e32 v[2:3], v2
.LBB8_600:
	s_mov_b32 s1, 0
.LBB8_601:
	s_andn2_b32 vcc_lo, exec_lo, s1
	s_cbranch_vccnz .LBB8_603
; %bb.602:
	global_load_ubyte v2, v[0:1], off
	s_waitcnt vmcnt(0)
	v_lshlrev_b32_e32 v3, 25, v2
	v_lshlrev_b16 v2, 8, v2
	v_lshrrev_b32_e32 v4, 4, v3
	v_and_or_b32 v5, 0x7f00, v2, 0.5
	v_cmp_gt_u32_e32 vcc_lo, 0x8000000, v3
	v_bfe_i32 v2, v2, 0, 16
	v_or_b32_e32 v4, 0x70000000, v4
	v_add_f32_e32 v5, -0.5, v5
	v_mul_f32_e32 v4, 0x7800000, v4
	v_cndmask_b32_e32 v3, v4, v5, vcc_lo
	v_and_or_b32 v2, 0x80000000, v2, v3
	v_cvt_f64_f32_e32 v[2:3], v2
.LBB8_603:
	s_mov_b32 s21, 0
	s_mov_b32 s1, -1
.LBB8_604:
	s_andn2_b32 vcc_lo, exec_lo, s21
	s_cbranch_vccnz .LBB8_615
; %bb.605:
	s_cmp_gt_i32 s0, 14
	s_cbranch_scc0 .LBB8_608
; %bb.606:
	s_cmp_eq_u32 s0, 15
	s_cbranch_scc0 .LBB8_609
; %bb.607:
	global_load_ushort v2, v[0:1], off
	s_mov_b32 s1, -1
	s_mov_b32 s20, 0
	s_waitcnt vmcnt(0)
	v_lshlrev_b32_e32 v2, 16, v2
	v_cvt_f64_f32_e32 v[2:3], v2
	s_branch .LBB8_610
.LBB8_608:
	s_mov_b32 s21, -1
                                        ; implicit-def: $vgpr2_vgpr3
	s_branch .LBB8_611
.LBB8_609:
	s_mov_b32 s20, -1
                                        ; implicit-def: $vgpr2_vgpr3
.LBB8_610:
	s_mov_b32 s21, 0
.LBB8_611:
	s_and_b32 vcc_lo, exec_lo, s21
	s_cbranch_vccz .LBB8_615
; %bb.612:
	s_cmp_eq_u32 s0, 11
	s_cbranch_scc0 .LBB8_614
; %bb.613:
	global_load_ubyte v2, v[0:1], off
	s_mov_b32 s20, 0
	s_mov_b32 s1, -1
	s_waitcnt vmcnt(0)
	v_cmp_ne_u16_e32 vcc_lo, 0, v2
	v_mov_b32_e32 v2, 0
	v_cndmask_b32_e64 v3, 0, 0x3ff00000, vcc_lo
	s_branch .LBB8_615
.LBB8_614:
	s_mov_b32 s20, -1
                                        ; implicit-def: $vgpr2_vgpr3
.LBB8_615:
	s_mov_b32 s21, 0
.LBB8_616:
	s_and_b32 vcc_lo, exec_lo, s21
	s_cbranch_vccz .LBB8_665
; %bb.617:
	s_cmp_lt_i32 s0, 5
	s_cbranch_scc1 .LBB8_622
; %bb.618:
	s_cmp_lt_i32 s0, 8
	s_cbranch_scc1 .LBB8_623
	;; [unrolled: 3-line block ×3, first 2 shown]
; %bb.620:
	s_cmp_gt_i32 s0, 9
	s_cbranch_scc0 .LBB8_625
; %bb.621:
	global_load_dwordx2 v[2:3], v[0:1], off
	s_mov_b32 s1, 0
	s_branch .LBB8_626
.LBB8_622:
	s_mov_b32 s1, -1
                                        ; implicit-def: $vgpr2_vgpr3
	s_branch .LBB8_644
.LBB8_623:
	s_mov_b32 s1, -1
                                        ; implicit-def: $vgpr2_vgpr3
	s_branch .LBB8_632
.LBB8_624:
	s_mov_b32 s1, -1
                                        ; implicit-def: $vgpr2_vgpr3
	s_branch .LBB8_629
.LBB8_625:
	s_mov_b32 s1, -1
                                        ; implicit-def: $vgpr2_vgpr3
.LBB8_626:
	s_andn2_b32 vcc_lo, exec_lo, s1
	s_cbranch_vccnz .LBB8_628
; %bb.627:
	global_load_dword v2, v[0:1], off
	s_waitcnt vmcnt(0)
	v_cvt_f64_f32_e32 v[2:3], v2
.LBB8_628:
	s_mov_b32 s1, 0
.LBB8_629:
	s_andn2_b32 vcc_lo, exec_lo, s1
	s_cbranch_vccnz .LBB8_631
; %bb.630:
	global_load_dword v2, v[0:1], off
	s_waitcnt vmcnt(0)
	v_cvt_f32_f16_e32 v2, v2
	v_cvt_f64_f32_e32 v[2:3], v2
.LBB8_631:
	s_mov_b32 s1, 0
.LBB8_632:
	s_andn2_b32 vcc_lo, exec_lo, s1
	s_cbranch_vccnz .LBB8_643
; %bb.633:
	s_cmp_lt_i32 s0, 6
	s_cbranch_scc1 .LBB8_636
; %bb.634:
	s_cmp_gt_i32 s0, 6
	s_cbranch_scc0 .LBB8_637
; %bb.635:
	global_load_dwordx2 v[2:3], v[0:1], off
	s_mov_b32 s1, 0
	s_branch .LBB8_638
.LBB8_636:
	s_mov_b32 s1, -1
                                        ; implicit-def: $vgpr2_vgpr3
	s_branch .LBB8_641
.LBB8_637:
	s_mov_b32 s1, -1
                                        ; implicit-def: $vgpr2_vgpr3
.LBB8_638:
	s_andn2_b32 vcc_lo, exec_lo, s1
	s_cbranch_vccnz .LBB8_640
; %bb.639:
	global_load_dword v2, v[0:1], off
	s_waitcnt vmcnt(0)
	v_cvt_f64_f32_e32 v[2:3], v2
.LBB8_640:
	s_mov_b32 s1, 0
.LBB8_641:
	s_andn2_b32 vcc_lo, exec_lo, s1
	s_cbranch_vccnz .LBB8_643
; %bb.642:
	global_load_ushort v2, v[0:1], off
	s_waitcnt vmcnt(0)
	v_cvt_f32_f16_e32 v2, v2
	v_cvt_f64_f32_e32 v[2:3], v2
.LBB8_643:
	s_mov_b32 s1, 0
.LBB8_644:
	s_andn2_b32 vcc_lo, exec_lo, s1
	s_cbranch_vccnz .LBB8_664
; %bb.645:
	s_cmp_lt_i32 s0, 2
	s_cbranch_scc1 .LBB8_649
; %bb.646:
	s_cmp_lt_i32 s0, 3
	s_cbranch_scc1 .LBB8_650
; %bb.647:
	s_cmp_gt_i32 s0, 3
	s_cbranch_scc0 .LBB8_651
; %bb.648:
	global_load_dwordx2 v[2:3], v[0:1], off
	s_mov_b32 s1, 0
	s_waitcnt vmcnt(0)
	v_cvt_f64_i32_e32 v[3:4], v3
	v_cvt_f64_u32_e32 v[5:6], v2
	v_ldexp_f64 v[3:4], v[3:4], 32
	v_add_f64 v[2:3], v[3:4], v[5:6]
	s_branch .LBB8_652
.LBB8_649:
	s_mov_b32 s1, -1
                                        ; implicit-def: $vgpr2_vgpr3
	s_branch .LBB8_658
.LBB8_650:
	s_mov_b32 s1, -1
                                        ; implicit-def: $vgpr2_vgpr3
	s_branch .LBB8_655
.LBB8_651:
	s_mov_b32 s1, -1
                                        ; implicit-def: $vgpr2_vgpr3
.LBB8_652:
	s_andn2_b32 vcc_lo, exec_lo, s1
	s_cbranch_vccnz .LBB8_654
; %bb.653:
	global_load_dword v2, v[0:1], off
	s_waitcnt vmcnt(0)
	v_cvt_f64_i32_e32 v[2:3], v2
.LBB8_654:
	s_mov_b32 s1, 0
.LBB8_655:
	s_andn2_b32 vcc_lo, exec_lo, s1
	s_cbranch_vccnz .LBB8_657
; %bb.656:
	global_load_sshort v2, v[0:1], off
	s_waitcnt vmcnt(0)
	v_cvt_f64_i32_e32 v[2:3], v2
.LBB8_657:
	s_mov_b32 s1, 0
.LBB8_658:
	s_andn2_b32 vcc_lo, exec_lo, s1
	s_cbranch_vccnz .LBB8_664
; %bb.659:
	s_cmp_gt_i32 s0, 0
	s_mov_b32 s0, 0
	s_cbranch_scc0 .LBB8_661
; %bb.660:
	global_load_sbyte v2, v[0:1], off
	s_waitcnt vmcnt(0)
	v_cvt_f64_i32_e32 v[2:3], v2
	s_branch .LBB8_662
.LBB8_661:
	s_mov_b32 s0, -1
                                        ; implicit-def: $vgpr2_vgpr3
.LBB8_662:
	s_andn2_b32 vcc_lo, exec_lo, s0
	s_cbranch_vccnz .LBB8_664
; %bb.663:
	global_load_ubyte v0, v[0:1], off
	s_waitcnt vmcnt(0)
	v_cvt_f64_u32_e32 v[2:3], v0
.LBB8_664:
	s_mov_b32 s1, -1
.LBB8_665:
	s_andn2_b32 vcc_lo, exec_lo, s1
	s_cbranch_vccnz .LBB8_681
; %bb.666:
	v_mov_b32_e32 v0, 0
	v_mov_b32_e32 v1, 0x7ff00000
	s_mov_b32 s21, exec_lo
	s_waitcnt vmcnt(0)
	v_cmpx_neq_f64_e32 0, v[2:3]
	s_cbranch_execz .LBB8_674
; %bb.667:
	v_mov_b32_e32 v0, 0
	v_mov_b32_e32 v1, 0x7ff80000
	s_mov_b32 s22, exec_lo
	v_cmpx_ngt_f64_e32 0, v[2:3]
	s_cbranch_execz .LBB8_673
; %bb.668:
                                        ; implicit-def: $vgpr0_vgpr1
	s_mov_b32 s0, exec_lo
	v_cmpx_ge_f64_e32 2.0, v[2:3]
	s_xor_b32 s23, exec_lo, s0
	s_cbranch_execz .LBB8_670
; %bb.669:
	v_fma_f64 v[0:1], v[2:3], 0.5, -2.0
	s_mov_b32 s0, 0xc38a0576
	s_mov_b32 s1, 0xbc7857d0
	s_mov_b32 s25, 0x3c499f2a
	s_mov_b32 s24, 0xc3c4014
	v_mul_f64 v[8:9], v[2:3], 0.5
	v_fma_f64 v[25:26], v[2:3], v[2:3], -2.0
	s_mov_b32 s27, 0xbc603228
	s_mov_b32 s26, 0x3d3cda56
	;; [unrolled: 1-line block ×4, first 2 shown]
	v_fma_f64 v[4:5], v[0:1], s[24:25], s[0:1]
	s_mov_b32 s25, 0xbc499f2a
	s_mov_b32 s0, 0xe593bfac
	;; [unrolled: 1-line block ×3, first 2 shown]
	v_frexp_mant_f64_e32 v[11:12], v[8:9]
	v_frexp_exp_i32_f64_e32 v29, v[8:9]
	v_fma_f64 v[6:7], v[0:1], v[4:5], s[24:25]
	s_mov_b32 s24, 0x97eb07de
	s_mov_b32 s25, 0xbdd25103
	v_add_f64 v[6:7], v[6:7], s[0:1]
	s_mov_b32 s0, 0x7e0d1573
	s_mov_b32 s1, 0xbcd3eaaa
	v_fma_f64 v[4:5], v[0:1], v[6:7], -v[4:5]
	v_add_f64 v[4:5], v[4:5], s[0:1]
	s_mov_b32 s0, 0x615290c
	s_mov_b32 s1, 0x3d011d7f
	v_fma_f64 v[6:7], v[0:1], v[4:5], -v[6:7]
	;; [unrolled: 4-line block ×6, first 2 shown]
	v_add_f64 v[6:7], v[6:7], s[0:1]
	s_mov_b32 s1, 0x3fe55555
	s_mov_b32 s0, 0x55555555
	v_cmp_gt_f64_e32 vcc_lo, s[0:1], v[11:12]
	s_mov_b32 s0, 0x55555780
	v_fma_f64 v[4:5], v[0:1], v[6:7], -v[4:5]
	v_cndmask_b32_e64 v13, 0, 1, vcc_lo
	v_ldexp_f64 v[11:12], v[11:12], v13
	v_add_f64 v[4:5], v[4:5], s[24:25]
	s_mov_b32 s24, 0xb43fdf6c
	s_mov_b32 s25, 0x3df8ea34
	v_add_f64 v[13:14], v[11:12], 1.0
	v_add_f64 v[19:20], v[11:12], -1.0
	v_fma_f64 v[6:7], v[0:1], v[4:5], -v[6:7]
	v_rcp_f64_e32 v[15:16], v[13:14]
	v_add_f64 v[21:22], v[13:14], -1.0
	v_add_f64 v[6:7], v[6:7], s[24:25]
	s_mov_b32 s24, 0x28ea67e6
	s_mov_b32 s25, 0xbe20361b
	v_add_f64 v[11:12], v[11:12], -v[21:22]
	v_fma_f64 v[17:18], -v[13:14], v[15:16], 1.0
	v_fma_f64 v[4:5], v[0:1], v[6:7], -v[4:5]
	v_fma_f64 v[15:16], v[17:18], v[15:16], v[15:16]
	v_add_f64 v[4:5], v[4:5], s[24:25]
	s_mov_b32 s24, 0x2395010
	s_mov_b32 s25, 0x3e44258e
	v_fma_f64 v[17:18], -v[13:14], v[15:16], 1.0
	v_fma_f64 v[6:7], v[0:1], v[4:5], -v[6:7]
	v_fma_f64 v[15:16], v[17:18], v[15:16], v[15:16]
	v_add_f64 v[6:7], v[6:7], s[24:25]
	s_mov_b32 s24, 0x24b8c3e8
	s_mov_b32 s25, 0xbe67dd3e
	v_mul_f64 v[17:18], v[19:20], v[15:16]
	v_fma_f64 v[4:5], v[0:1], v[6:7], -v[4:5]
	v_mul_f64 v[23:24], v[13:14], v[17:18]
	v_add_f64 v[4:5], v[4:5], s[24:25]
	s_mov_b32 s24, 0xb347d108
	s_mov_b32 s25, 0x3e8ae344
	v_fma_f64 v[13:14], v[17:18], v[13:14], -v[23:24]
	v_fma_f64 v[6:7], v[0:1], v[4:5], -v[6:7]
	v_fma_f64 v[11:12], v[17:18], v[11:12], v[13:14]
	v_add_f64 v[6:7], v[6:7], s[24:25]
	s_mov_b32 s24, 0x7a0399e0
	s_mov_b32 s25, 0xbce5dd51
	v_fma_f64 v[27:28], v[25:26], s[26:27], s[24:25]
	s_mov_b32 s27, 0x3c603228
	s_mov_b32 s24, 0xddd0e045
	s_mov_b32 s25, 0xbd677502
	v_add_f64 v[13:14], v[23:24], v[11:12]
	v_fma_f64 v[4:5], v[0:1], v[6:7], -v[4:5]
	v_add_f64 v[21:22], v[19:20], -v[13:14]
	v_add_f64 v[23:24], v[13:14], -v[23:24]
	v_add_f64 v[4:5], v[4:5], s[28:29]
	s_mov_b32 s28, 0xd3d694fe
	s_mov_b32 s29, 0xbf2533ca
	v_add_f64 v[19:20], v[19:20], -v[21:22]
	v_add_f64 v[11:12], v[23:24], -v[11:12]
	v_fma_f64 v[6:7], v[0:1], v[4:5], -v[6:7]
	v_add_f64 v[13:14], v[19:20], -v[13:14]
	v_fma_f64 v[19:20], v[25:26], v[27:28], s[26:27]
	s_mov_b32 s26, 0xd511afc5
	s_mov_b32 s27, 0x3ecd1c4e
	v_add_f64 v[6:7], v[6:7], s[26:27]
	s_mov_b32 s26, 0xb8debbcf
	s_mov_b32 s27, 0xbeebd5f9
	v_add_f64 v[11:12], v[11:12], v[13:14]
	v_add_f64 v[13:14], v[19:20], s[24:25]
	s_mov_b32 s24, 0xb84626ca
	s_mov_b32 s25, 0xbde3663b
	v_fma_f64 v[4:5], v[0:1], v[6:7], -v[4:5]
	v_add_f64 v[11:12], v[21:22], v[11:12]
	v_fma_f64 v[19:20], v[25:26], v[13:14], -v[27:28]
	v_add_f64 v[4:5], v[4:5], s[26:27]
	s_mov_b32 s26, 0x42c70d0b
	s_mov_b32 s27, 0x3f0911b5
	v_mul_f64 v[11:12], v[15:16], v[11:12]
	v_add_f64 v[15:16], v[19:20], s[24:25]
	s_mov_b32 s24, 0x145c31d0
	s_mov_b32 s25, 0xbe57c41d
	v_fma_f64 v[6:7], v[0:1], v[4:5], -v[6:7]
	v_add_f64 v[19:20], v[17:18], v[11:12]
	v_fma_f64 v[13:14], v[25:26], v[15:16], -v[13:14]
	v_add_f64 v[6:7], v[6:7], s[26:27]
	s_mov_b32 s26, 0xbf559e2b
	s_mov_b32 s27, 0x3fc3ab76
	v_mul_f64 v[21:22], v[19:20], v[19:20]
	v_add_f64 v[13:14], v[13:14], s[24:25]
	s_mov_b32 s24, 0x6b47b09a
	s_mov_b32 s25, 0x3fc38538
	v_add_f64 v[17:18], v[19:20], -v[17:18]
	v_fma_f64 v[4:5], v[0:1], v[6:7], -v[4:5]
	v_fma_f64 v[23:24], v[21:22], s[26:27], s[24:25]
	v_fma_f64 v[15:16], v[25:26], v[13:14], -v[15:16]
	s_mov_b32 s24, 0x2c832e3a
	s_mov_b32 s25, 0xbec469b3
	;; [unrolled: 1-line block ×4, first 2 shown]
	v_mul_f64 v[27:28], v[19:20], v[21:22]
	v_add_f64 v[11:12], v[11:12], -v[17:18]
	v_add_f64 v[4:5], v[4:5], s[28:29]
	s_mov_b32 s28, 0xb6c6df7d
	s_mov_b32 s29, 0x3f40c95d
	v_fma_f64 v[23:24], v[21:22], v[23:24], s[26:27]
	v_add_f64 v[15:16], v[15:16], s[24:25]
	s_mov_b32 s24, 0x16291751
	s_mov_b32 s25, 0x3fcc71c0
	;; [unrolled: 1-line block ×4, first 2 shown]
	v_ldexp_f64 v[11:12], v[11:12], 1
	v_fma_f64 v[6:7], v[0:1], v[4:5], -v[6:7]
	v_fma_f64 v[23:24], v[21:22], v[23:24], s[24:25]
	v_fma_f64 v[13:14], v[25:26], v[15:16], -v[13:14]
	s_mov_b32 s24, 0xe5a3bd02
	s_mov_b32 s25, 0xbf26ade2
	v_add_f64 v[6:7], v[6:7], s[28:29]
	s_mov_b32 s28, 0xe7bb2349
	s_mov_b32 s29, 0x3f9951e3
	v_fma_f64 v[23:24], v[21:22], v[23:24], s[26:27]
	v_add_f64 v[13:14], v[13:14], s[24:25]
	s_mov_b32 s24, 0x998ef7b6
	s_mov_b32 s25, 0x3fd99999
	;; [unrolled: 1-line block ×4, first 2 shown]
	v_fma_f64 v[4:5], v[0:1], v[6:7], -v[4:5]
	v_fma_f64 v[23:24], v[21:22], v[23:24], s[24:25]
	v_fma_f64 v[15:16], v[25:26], v[13:14], -v[15:16]
	s_mov_b32 s24, 0x9d7d4192
	s_mov_b32 s25, 0xbf7c9293
	v_add_f64 v[4:5], v[4:5], s[26:27]
	s_mov_b32 s26, 0x49d3a1b4
	s_mov_b32 s27, 0x3f710653
	v_fma_f64 v[21:22], v[21:22], v[23:24], s[0:1]
	v_add_f64 v[15:16], v[15:16], s[24:25]
	v_ldexp_f64 v[23:24], v[19:20], 1
	s_mov_b32 s0, 0x43c1db74
	s_mov_b32 s1, 0xbfbf6372
	;; [unrolled: 1-line block ×4, first 2 shown]
	v_fma_f64 v[6:7], v[0:1], v[4:5], -v[6:7]
	v_mul_f64 v[21:22], v[27:28], v[21:22]
	v_fma_f64 v[13:14], v[25:26], v[15:16], -v[13:14]
	v_subrev_co_ci_u32_e64 v27, null, 0, v29, vcc_lo
	v_mul_f64 v[29:30], v[2:3], s[24:25]
	s_mov_b32 s24, 0x757b0dd4
	s_mov_b32 s25, 0xbfd69a1b
	v_cvt_f64_i32_e32 v[27:28], v27
	v_add_f64 v[6:7], v[6:7], s[26:27]
	s_mov_b32 s26, 0x7913a26a
	s_mov_b32 s27, 0xbf85a29f
	v_add_f64 v[19:20], v[23:24], v[21:22]
	v_add_f64 v[13:14], v[13:14], s[0:1]
	s_mov_b32 s1, 0x3fe62e42
	s_mov_b32 s0, 0xfefa39ef
	v_mul_f64 v[31:32], v[27:28], s[0:1]
	v_fma_f64 v[4:5], v[0:1], v[6:7], -v[4:5]
	v_add_f64 v[17:18], v[19:20], -v[23:24]
	v_fma_f64 v[15:16], v[25:26], v[13:14], -v[15:16]
	v_rndne_f64_e32 v[23:24], v[29:30]
	v_fma_f64 v[29:30], v[27:28], s[0:1], -v[31:32]
	s_mov_b32 s1, 0xbfe62e42
	v_add_f64 v[4:5], v[4:5], s[26:27]
	s_mov_b32 s26, 0x6a5dcb37
	s_mov_b32 s27, 0x3e5ade15
	v_add_f64 v[17:18], v[21:22], -v[17:18]
	v_add_f64 v[15:16], v[15:16], s[24:25]
	v_fma_f64 v[21:22], v[23:24], s[0:1], v[2:3]
	s_mov_b32 s1, 0x3c7abc9e
	s_mov_b32 s0, 0x3b39803f
	;; [unrolled: 1-line block ×4, first 2 shown]
	v_fma_f64 v[27:28], v[27:28], s[0:1], v[29:30]
	s_mov_b32 s1, 0xbc7abc9e
	v_fma_f64 v[6:7], v[0:1], v[4:5], -v[6:7]
	v_add_f64 v[11:12], v[11:12], v[17:18]
	v_fma_f64 v[15:16], v[25:26], v[15:16], -v[13:14]
	v_fma_f64 v[17:18], v[23:24], s[0:1], v[21:22]
	s_mov_b32 s0, 0x361008ca
	s_mov_b32 s1, 0x3ff867a1
	v_add_f64 v[21:22], v[31:32], v[27:28]
	v_add_f64 v[6:7], v[6:7], s[28:29]
	;; [unrolled: 1-line block ×4, first 2 shown]
	v_fma_f64 v[29:30], v[17:18], s[26:27], s[24:25]
	s_mov_b32 s0, 0x623fde64
	s_mov_b32 s1, 0x3ec71dee
	;; [unrolled: 1-line block ×4, first 2 shown]
	v_add_f64 v[31:32], v[21:22], -v[31:32]
	v_fma_f64 v[4:5], v[0:1], v[6:7], -v[4:5]
	v_add_f64 v[33:34], v[21:22], v[25:26]
	v_add_f64 v[13:14], v[15:16], -v[13:14]
	v_fma_f64 v[29:30], v[17:18], v[29:30], s[0:1]
	s_mov_b32 s0, 0x7c89e6b0
	s_mov_b32 s1, 0x3efa0199
	v_add_f64 v[19:20], v[25:26], -v[19:20]
	v_add_f64 v[27:28], v[27:28], -v[31:32]
	v_add_f64 v[4:5], v[4:5], s[24:25]
	s_mov_b32 s24, 0xd536f53c
	s_mov_b32 s25, 0x3fba46da
	v_add_f64 v[15:16], v[33:34], -v[21:22]
	v_mul_f64 v[13:14], v[13:14], 0.5
	v_fma_f64 v[29:30], v[17:18], v[29:30], s[0:1]
	s_mov_b32 s0, 0x14761f6e
	s_mov_b32 s1, 0x3f2a01a0
	v_add_f64 v[11:12], v[11:12], -v[19:20]
	v_fma_f64 v[6:7], v[0:1], v[4:5], -v[6:7]
	v_add_f64 v[35:36], v[33:34], -v[15:16]
	v_div_scale_f64 v[37:38], null, v[2:3], v[2:3], v[13:14]
	v_fma_f64 v[29:30], v[17:18], v[29:30], s[0:1]
	s_mov_b32 s0, 0x1852b7b0
	s_mov_b32 s1, 0x3f56c16c
	v_add_f64 v[15:16], v[25:26], -v[15:16]
	v_add_f64 v[6:7], v[6:7], s[24:25]
	s_mov_b32 s24, 0x469192e
	s_mov_b32 s25, 0xbfc694d1
	v_add_f64 v[19:20], v[21:22], -v[35:36]
	v_rcp_f64_e32 v[25:26], v[37:38]
	v_fma_f64 v[21:22], v[17:18], v[29:30], s[0:1]
	s_mov_b32 s0, 0x11122322
	s_mov_b32 s1, 0x3f811111
	v_add_f64 v[29:30], v[27:28], v[11:12]
	v_fma_f64 v[4:5], v[0:1], v[6:7], -v[4:5]
	v_add_f64 v[15:16], v[15:16], v[19:20]
	v_fma_f64 v[19:20], v[17:18], v[21:22], s[0:1]
	v_fma_f64 v[21:22], -v[37:38], v[25:26], 1.0
	s_mov_b32 s0, 0x555502a1
	s_mov_b32 s1, 0x3fa55555
	v_add_f64 v[31:32], v[29:30], -v[27:28]
	v_add_f64 v[4:5], v[4:5], s[24:25]
	s_mov_b32 s24, 0x724a7ffa
	s_mov_b32 s25, 0x3fd02a63
	v_add_f64 v[15:16], v[29:30], v[15:16]
	v_fma_f64 v[19:20], v[17:18], v[19:20], s[0:1]
	v_fma_f64 v[21:22], v[25:26], v[21:22], v[25:26]
	s_mov_b32 s0, 0x55555511
	s_mov_b32 s1, 0x3fc55555
	v_add_f64 v[25:26], v[29:30], -v[31:32]
	v_add_f64 v[11:12], v[11:12], -v[31:32]
	v_div_scale_f64 v[31:32], vcc_lo, v[13:14], v[2:3], v[13:14]
	v_fma_f64 v[0:1], v[0:1], v[4:5], -v[6:7]
	v_add_f64 v[29:30], v[33:34], v[15:16]
	v_fma_f64 v[19:20], v[17:18], v[19:20], s[0:1]
	v_fma_f64 v[4:5], -v[37:38], v[21:22], 1.0
	s_mov_b32 s0, 11
	s_mov_b32 s1, 0x3fe00000
	v_add_f64 v[25:26], v[27:28], -v[25:26]
	v_add_f64 v[0:1], v[0:1], s[24:25]
	v_add_f64 v[27:28], v[29:30], -v[33:34]
	v_fma_f64 v[19:20], v[17:18], v[19:20], s[0:1]
	v_fma_f64 v[4:5], v[21:22], v[4:5], v[21:22]
	v_cvt_i32_f64_e32 v21, v[23:24]
	v_cmp_neq_f64_e64 s0, 0, v[8:9]
	v_add_f64 v[11:12], v[11:12], v[25:26]
	v_add_f64 v[0:1], v[0:1], -v[6:7]
	v_add_f64 v[15:16], v[15:16], -v[27:28]
	v_fma_f64 v[19:20], v[17:18], v[19:20], 1.0
	v_mul_f64 v[6:7], v[31:32], v[4:5]
	v_mul_f64 v[0:1], v[0:1], 0.5
	v_add_f64 v[11:12], v[11:12], v[15:16]
	v_fma_f64 v[15:16], v[17:18], v[19:20], 1.0
	v_fma_f64 v[17:18], -v[37:38], v[6:7], v[31:32]
	v_mul_f64 v[0:1], v[2:3], v[0:1]
	v_add_f64 v[11:12], v[29:30], v[11:12]
	v_ldexp_f64 v[15:16], v[15:16], v21
	v_div_fmas_f64 v[4:5], v[17:18], v[4:5], v[6:7]
	v_cmp_neq_f64_e32 vcc_lo, 0x7ff00000, v[8:9]
	v_mul_f64 v[0:1], v[15:16], v[0:1]
	v_div_fixup_f64 v[2:3], v[4:5], v[2:3], v[13:14]
	v_cndmask_b32_e32 v6, 0x7ff00000, v12, vcc_lo
	s_and_b32 vcc_lo, s0, vcc_lo
	v_cndmask_b32_e32 v4, 0, v11, vcc_lo
	v_cndmask_b32_e64 v5, 0xfff00000, v6, s0
	v_fma_f64 v[0:1], v[4:5], v[0:1], v[2:3]
                                        ; implicit-def: $vgpr2_vgpr3
.LBB8_670:
	s_andn2_saveexec_b32 s1, s23
	s_cbranch_execz .LBB8_672
; %bb.671:
	v_div_scale_f64 v[0:1], null, v[2:3], v[2:3], 0x40200000
	v_div_scale_f64 v[8:9], vcc_lo, 0x40200000, v[2:3], 0x40200000
	s_mov_b32 s24, 0x838f5ed3
	s_mov_b32 s25, 0x3c74af1a
	;; [unrolled: 1-line block ×4, first 2 shown]
	v_cmp_nlt_f64_e64 s0, 0x4090cc00, v[2:3]
	v_rcp_f64_e32 v[4:5], v[0:1]
	v_fma_f64 v[6:7], -v[0:1], v[4:5], 1.0
	v_fma_f64 v[4:5], v[4:5], v[6:7], v[4:5]
	v_fma_f64 v[6:7], -v[0:1], v[4:5], 1.0
	v_fma_f64 v[4:5], v[4:5], v[6:7], v[4:5]
	v_mul_f64 v[6:7], v[8:9], v[4:5]
	v_fma_f64 v[0:1], -v[0:1], v[6:7], v[8:9]
	v_div_fmas_f64 v[0:1], v[0:1], v[4:5], v[6:7]
	v_cmp_gt_f64_e32 vcc_lo, 0x10000000, v[2:3]
	v_div_fixup_f64 v[0:1], v[0:1], v[2:3], 0x40200000
	v_cndmask_b32_e64 v15, 0, 0x100, vcc_lo
	v_ldexp_f64 v[15:16], v[2:3], v15
	v_add_f64 v[0:1], v[0:1], -2.0
	v_rsq_f64_e32 v[17:18], v[15:16]
	v_fma_f64 v[4:5], v[0:1], s[26:27], s[24:25]
	s_mov_b32 s27, 0x3c5a8c5d
	s_mov_b32 s24, 0x17771d52
	;; [unrolled: 1-line block ×3, first 2 shown]
	v_mul_f64 v[19:20], v[15:16], v[17:18]
	v_mul_f64 v[17:18], v[17:18], 0.5
	v_fma_f64 v[6:7], v[0:1], v[4:5], s[26:27]
	s_mov_b32 s26, 0x6a5dcb37
	s_mov_b32 s27, 0x3e5ade15
	v_fma_f64 v[21:22], -v[17:18], v[19:20], 0.5
	v_add_f64 v[6:7], v[6:7], s[24:25]
	s_mov_b32 s24, 0x44ee2c0b
	s_mov_b32 s25, 0x3caa7d5e
	v_fma_f64 v[19:20], v[19:20], v[21:22], v[19:20]
	v_fma_f64 v[17:18], v[17:18], v[21:22], v[17:18]
	v_fma_f64 v[4:5], v[0:1], v[6:7], -v[4:5]
	v_fma_f64 v[21:22], -v[19:20], v[19:20], v[15:16]
	v_add_f64 v[4:5], v[4:5], s[24:25]
	s_mov_b32 s24, 0xd8758ef2
	s_mov_b32 s25, 0xbcc5d2a3
	v_fma_f64 v[6:7], v[0:1], v[4:5], -v[6:7]
	v_add_f64 v[6:7], v[6:7], s[24:25]
	s_mov_b32 s24, 0xefee81bd
	s_mov_b32 s25, 0x3ce25ced
	v_fma_f64 v[4:5], v[0:1], v[6:7], -v[4:5]
	;; [unrolled: 4-line block ×14, first 2 shown]
	v_add_f64 v[4:5], v[4:5], s[24:25]
	s_mov_b32 s24, 0x652b82fe
	s_mov_b32 s25, 0xbff71547
	v_mul_f64 v[8:9], v[2:3], s[24:25]
	s_mov_b32 s24, 0x8fada5c6
	s_mov_b32 s25, 0xbe978052
	v_fma_f64 v[6:7], v[0:1], v[4:5], -v[6:7]
	v_rndne_f64_e32 v[8:9], v[8:9]
	v_add_f64 v[6:7], v[6:7], s[24:25]
	s_mov_b32 s24, 0xfefa39ef
	s_mov_b32 s25, 0xbfe62e42
	v_fma_f64 v[11:12], v[8:9], s[24:25], -v[2:3]
	s_mov_b32 s24, 0x3b39803f
	s_mov_b32 s25, 0xbc7abc9e
	v_cndmask_b32_e64 v2, 0, 0xffffff80, vcc_lo
	v_cmp_class_f64_e64 vcc_lo, v[15:16], 0x260
	v_fma_f64 v[4:5], v[0:1], v[6:7], -v[4:5]
	v_fma_f64 v[11:12], v[8:9], s[24:25], v[11:12]
	s_mov_b32 s24, 0x1752d1b6
	s_mov_b32 s25, 0x3ec42fe3
	v_add_f64 v[4:5], v[4:5], s[24:25]
	s_mov_b32 s24, 0xfca7ab0c
	s_mov_b32 s25, 0x3e928af3
	v_fma_f64 v[13:14], v[11:12], s[26:27], s[24:25]
	s_mov_b32 s24, 0x623fde64
	s_mov_b32 s25, 0x3ec71dee
	v_fma_f64 v[6:7], v[0:1], v[4:5], -v[6:7]
	v_fma_f64 v[13:14], v[11:12], v[13:14], s[24:25]
	s_mov_b32 s24, 0x1dcdb2e5
	s_mov_b32 s25, 0xbef44d71
	v_add_f64 v[6:7], v[6:7], s[24:25]
	s_mov_b32 s24, 0x7c89e6b0
	s_mov_b32 s25, 0x3efa0199
	v_fma_f64 v[13:14], v[11:12], v[13:14], s[24:25]
	s_mov_b32 s24, 0x14761f6e
	s_mov_b32 s25, 0x3f2a01a0
	;; [unrolled: 10-line block ×5, first 2 shown]
	v_fma_f64 v[0:1], v[0:1], v[4:5], -v[6:7]
	v_fma_f64 v[4:5], v[21:22], v[17:18], v[19:20]
	v_cvt_i32_f64_e32 v21, v[8:9]
	v_fma_f64 v[13:14], v[11:12], v[13:14], 1.0
	v_add_f64 v[0:1], v[0:1], s[24:25]
	v_fma_f64 v[19:20], -v[4:5], v[4:5], v[15:16]
	v_fma_f64 v[8:9], v[11:12], v[13:14], 1.0
	v_add_f64 v[0:1], v[0:1], -v[6:7]
	v_fma_f64 v[4:5], v[19:20], v[17:18], v[4:5]
	v_ldexp_f64 v[6:7], v[8:9], v21
	v_mul_f64 v[0:1], v[0:1], 0.5
	v_ldexp_f64 v[2:3], v[4:5], v2
	v_cndmask_b32_e64 v5, 0, v7, s0
	v_cndmask_b32_e64 v4, 0, v6, s0
	v_mul_f64 v[0:1], v[4:5], v[0:1]
	v_cndmask_b32_e32 v3, v3, v16, vcc_lo
	v_cndmask_b32_e32 v2, v2, v15, vcc_lo
	v_div_scale_f64 v[4:5], null, v[2:3], v[2:3], v[0:1]
	v_rcp_f64_e32 v[6:7], v[4:5]
	v_fma_f64 v[8:9], -v[4:5], v[6:7], 1.0
	v_fma_f64 v[6:7], v[6:7], v[8:9], v[6:7]
	v_fma_f64 v[8:9], -v[4:5], v[6:7], 1.0
	v_fma_f64 v[6:7], v[6:7], v[8:9], v[6:7]
	v_div_scale_f64 v[8:9], vcc_lo, v[0:1], v[2:3], v[0:1]
	v_mul_f64 v[11:12], v[8:9], v[6:7]
	v_fma_f64 v[4:5], -v[4:5], v[11:12], v[8:9]
	v_div_fmas_f64 v[4:5], v[4:5], v[6:7], v[11:12]
	v_div_fixup_f64 v[0:1], v[4:5], v[2:3], v[0:1]
.LBB8_672:
	s_or_b32 exec_lo, exec_lo, s1
.LBB8_673:
	s_or_b32 exec_lo, exec_lo, s22
.LBB8_674:
	s_or_b32 exec_lo, exec_lo, s21
	v_mul_lo_u32 v2, v10, s2
	s_and_b32 s1, s4, 0xff
	s_cmp_lt_i32 s1, 11
	v_ashrrev_i32_e32 v3, 31, v2
	v_add_co_u32 v4, vcc_lo, s8, v2
	v_add_co_ci_u32_e64 v5, null, s9, v3, vcc_lo
	s_cbranch_scc1 .LBB8_682
; %bb.675:
	s_and_b32 s21, 0xffff, s1
	s_cmp_gt_i32 s21, 25
	s_cbranch_scc0 .LBB8_683
; %bb.676:
	s_cmp_gt_i32 s21, 28
	s_cbranch_scc0 .LBB8_684
; %bb.677:
	;; [unrolled: 3-line block ×4, first 2 shown]
	s_mov_b32 s23, 0
	s_mov_b32 s0, -1
	s_cmp_eq_u32 s21, 46
	s_mov_b32 s22, 0
	s_cbranch_scc0 .LBB8_687
; %bb.680:
	v_cvt_f32_f64_e32 v2, v[0:1]
	s_mov_b32 s22, -1
	s_mov_b32 s0, 0
	v_bfe_u32 v3, v2, 16, 1
	v_cmp_o_f32_e32 vcc_lo, v2, v2
	v_add3_u32 v2, v2, v3, 0x7fff
	v_mov_b32_e32 v3, 0x7fc0
	v_cndmask_b32_sdwa v2, v3, v2, vcc_lo dst_sel:DWORD dst_unused:UNUSED_PAD src0_sel:DWORD src1_sel:WORD_1
	global_store_dword v[4:5], v2, off
	s_branch .LBB8_687
.LBB8_681:
	s_mov_b32 s21, 0
	s_mov_b32 s0, s17
	s_branch .LBB8_798
.LBB8_682:
	s_mov_b32 s21, -1
	s_mov_b32 s22, 0
	s_mov_b32 s0, s17
	s_branch .LBB8_756
.LBB8_683:
	s_mov_b32 s23, -1
	s_mov_b32 s22, 0
	s_mov_b32 s0, s17
	s_branch .LBB8_714
.LBB8_684:
	s_mov_b32 s23, -1
	s_mov_b32 s22, 0
	s_mov_b32 s0, s17
	s_branch .LBB8_697
.LBB8_685:
	s_mov_b32 s23, -1
	s_mov_b32 s22, 0
	s_mov_b32 s0, s17
	s_branch .LBB8_693
.LBB8_686:
	s_mov_b32 s23, -1
	s_mov_b32 s22, 0
	s_mov_b32 s0, s17
.LBB8_687:
	s_and_b32 vcc_lo, exec_lo, s23
	s_cbranch_vccz .LBB8_692
; %bb.688:
	s_cmp_eq_u32 s21, 44
	s_mov_b32 s0, -1
	s_cbranch_scc0 .LBB8_692
; %bb.689:
	v_cvt_f32_f64_e32 v2, v[0:1]
	v_mov_b32_e32 v3, 0xff
	s_mov_b32 s22, exec_lo
	v_bfe_u32 v6, v2, 23, 8
	v_cmpx_ne_u32_e32 0xff, v6
	s_cbranch_execz .LBB8_691
; %bb.690:
	v_and_b32_e32 v3, 0x400000, v2
	v_and_or_b32 v6, 0x3fffff, v2, v6
	v_lshrrev_b32_e32 v2, 23, v2
	v_cmp_ne_u32_e32 vcc_lo, 0, v3
	v_cmp_ne_u32_e64 s0, 0, v6
	s_and_b32 s0, vcc_lo, s0
	v_cndmask_b32_e64 v3, 0, 1, s0
	v_add_nc_u32_e32 v3, v2, v3
.LBB8_691:
	s_or_b32 exec_lo, exec_lo, s22
	s_mov_b32 s22, -1
	s_mov_b32 s0, 0
	global_store_byte v[4:5], v3, off
.LBB8_692:
	s_mov_b32 s23, 0
.LBB8_693:
	s_and_b32 vcc_lo, exec_lo, s23
	s_cbranch_vccz .LBB8_696
; %bb.694:
	s_cmp_eq_u32 s21, 29
	s_mov_b32 s0, -1
	s_cbranch_scc0 .LBB8_696
; %bb.695:
	v_trunc_f64_e32 v[2:3], v[0:1]
	s_mov_b32 s22, -1
	s_mov_b32 s0, 0
	s_mov_b32 s23, 0
	v_ldexp_f64 v[6:7], v[2:3], 0xffffffe0
	v_floor_f64_e32 v[6:7], v[6:7]
	v_fma_f64 v[2:3], 0xc1f00000, v[6:7], v[2:3]
	v_cvt_u32_f64_e32 v7, v[6:7]
	v_cvt_u32_f64_e32 v6, v[2:3]
	global_store_dwordx2 v[4:5], v[6:7], off
	s_branch .LBB8_697
.LBB8_696:
	s_mov_b32 s23, 0
.LBB8_697:
	s_and_b32 vcc_lo, exec_lo, s23
	s_cbranch_vccz .LBB8_713
; %bb.698:
	s_cmp_lt_i32 s21, 27
	s_mov_b32 s22, -1
	s_cbranch_scc1 .LBB8_704
; %bb.699:
	v_cvt_u32_f64_e32 v2, v[0:1]
	s_cmp_gt_i32 s21, 27
	s_cbranch_scc0 .LBB8_701
; %bb.700:
	s_mov_b32 s22, 0
	global_store_dword v[4:5], v2, off
.LBB8_701:
	s_andn2_b32 vcc_lo, exec_lo, s22
	s_cbranch_vccnz .LBB8_703
; %bb.702:
	global_store_short v[4:5], v2, off
.LBB8_703:
	s_mov_b32 s22, 0
.LBB8_704:
	s_andn2_b32 vcc_lo, exec_lo, s22
	s_cbranch_vccnz .LBB8_712
; %bb.705:
	v_cvt_f32_f64_e32 v2, v[0:1]
	v_mov_b32_e32 v6, 0x80
	s_mov_b32 s22, exec_lo
	v_and_b32_e32 v3, 0x7fffffff, v2
	v_cmpx_gt_u32_e32 0x43800000, v3
	s_cbranch_execz .LBB8_711
; %bb.706:
	v_cmp_lt_u32_e32 vcc_lo, 0x3bffffff, v3
	s_mov_b32 s23, 0
                                        ; implicit-def: $vgpr3
	s_and_saveexec_b32 s24, vcc_lo
	s_xor_b32 s24, exec_lo, s24
	s_cbranch_execz .LBB8_813
; %bb.707:
	v_bfe_u32 v3, v2, 20, 1
	s_mov_b32 s23, exec_lo
	v_add3_u32 v3, v2, v3, 0x487ffff
	v_lshrrev_b32_e32 v3, 20, v3
	s_andn2_saveexec_b32 s24, s24
	s_cbranch_execnz .LBB8_814
.LBB8_708:
	s_or_b32 exec_lo, exec_lo, s24
	v_mov_b32_e32 v6, 0
	s_and_saveexec_b32 s24, s23
.LBB8_709:
	v_lshrrev_b32_e32 v2, 24, v2
	v_and_or_b32 v6, 0x80, v2, v3
.LBB8_710:
	s_or_b32 exec_lo, exec_lo, s24
.LBB8_711:
	s_or_b32 exec_lo, exec_lo, s22
	global_store_byte v[4:5], v6, off
.LBB8_712:
	s_mov_b32 s22, -1
.LBB8_713:
	s_mov_b32 s23, 0
.LBB8_714:
	s_and_b32 vcc_lo, exec_lo, s23
	s_cbranch_vccz .LBB8_755
; %bb.715:
	s_cmp_gt_i32 s21, 22
	s_mov_b32 s23, -1
	s_cbranch_scc0 .LBB8_747
; %bb.716:
	s_cmp_lt_i32 s21, 24
	s_mov_b32 s22, -1
	s_cbranch_scc1 .LBB8_736
; %bb.717:
	s_cmp_gt_i32 s21, 24
	s_cbranch_scc0 .LBB8_725
; %bb.718:
	v_cvt_f32_f64_e32 v2, v[0:1]
	v_mov_b32_e32 v6, 0x80
	s_mov_b32 s22, exec_lo
	v_and_b32_e32 v3, 0x7fffffff, v2
	v_cmpx_gt_u32_e32 0x47800000, v3
	s_cbranch_execz .LBB8_724
; %bb.719:
	v_cmp_lt_u32_e32 vcc_lo, 0x37ffffff, v3
	s_mov_b32 s23, 0
                                        ; implicit-def: $vgpr3
	s_and_saveexec_b32 s24, vcc_lo
	s_xor_b32 s24, exec_lo, s24
	s_cbranch_execz .LBB8_816
; %bb.720:
	v_bfe_u32 v3, v2, 21, 1
	s_mov_b32 s23, exec_lo
	v_add3_u32 v3, v2, v3, 0x88fffff
	v_lshrrev_b32_e32 v3, 21, v3
	s_andn2_saveexec_b32 s24, s24
	s_cbranch_execnz .LBB8_817
.LBB8_721:
	s_or_b32 exec_lo, exec_lo, s24
	v_mov_b32_e32 v6, 0
	s_and_saveexec_b32 s24, s23
.LBB8_722:
	v_lshrrev_b32_e32 v2, 24, v2
	v_and_or_b32 v6, 0x80, v2, v3
.LBB8_723:
	s_or_b32 exec_lo, exec_lo, s24
.LBB8_724:
	s_or_b32 exec_lo, exec_lo, s22
	s_mov_b32 s22, 0
	global_store_byte v[4:5], v6, off
.LBB8_725:
	s_and_b32 vcc_lo, exec_lo, s22
	s_cbranch_vccz .LBB8_735
; %bb.726:
	v_cvt_f32_f64_e32 v2, v[0:1]
	s_mov_b32 s22, exec_lo
                                        ; implicit-def: $vgpr3
	v_and_b32_e32 v6, 0x7fffffff, v2
	v_cmpx_gt_u32_e32 0x43f00000, v6
	s_xor_b32 s22, exec_lo, s22
	s_cbranch_execz .LBB8_732
; %bb.727:
	s_mov_b32 s23, exec_lo
                                        ; implicit-def: $vgpr3
	v_cmpx_lt_u32_e32 0x3c7fffff, v6
	s_xor_b32 s23, exec_lo, s23
; %bb.728:
	v_bfe_u32 v3, v2, 20, 1
	v_add3_u32 v3, v2, v3, 0x407ffff
	v_and_b32_e32 v6, 0xff00000, v3
	v_lshrrev_b32_e32 v3, 20, v3
	v_cmp_ne_u32_e32 vcc_lo, 0x7f00000, v6
	v_cndmask_b32_e32 v3, 0x7e, v3, vcc_lo
; %bb.729:
	s_andn2_saveexec_b32 s23, s23
; %bb.730:
	v_add_f32_e64 v3, 0x46800000, |v2|
; %bb.731:
	s_or_b32 exec_lo, exec_lo, s23
                                        ; implicit-def: $vgpr6
.LBB8_732:
	s_andn2_saveexec_b32 s22, s22
; %bb.733:
	v_mov_b32_e32 v3, 0x7f
	v_cmp_lt_u32_e32 vcc_lo, 0x7f800000, v6
	v_cndmask_b32_e32 v3, 0x7e, v3, vcc_lo
; %bb.734:
	s_or_b32 exec_lo, exec_lo, s22
	v_lshrrev_b32_e32 v2, 24, v2
	v_and_or_b32 v2, 0x80, v2, v3
	global_store_byte v[4:5], v2, off
.LBB8_735:
	s_mov_b32 s22, 0
.LBB8_736:
	s_andn2_b32 vcc_lo, exec_lo, s22
	s_cbranch_vccnz .LBB8_746
; %bb.737:
	v_cvt_f32_f64_e32 v2, v[0:1]
	s_mov_b32 s22, exec_lo
                                        ; implicit-def: $vgpr3
	v_and_b32_e32 v6, 0x7fffffff, v2
	v_cmpx_gt_u32_e32 0x47800000, v6
	s_xor_b32 s22, exec_lo, s22
	s_cbranch_execz .LBB8_743
; %bb.738:
	s_mov_b32 s23, exec_lo
                                        ; implicit-def: $vgpr3
	v_cmpx_lt_u32_e32 0x387fffff, v6
	s_xor_b32 s23, exec_lo, s23
; %bb.739:
	v_bfe_u32 v3, v2, 21, 1
	v_add3_u32 v3, v2, v3, 0x80fffff
	v_lshrrev_b32_e32 v3, 21, v3
; %bb.740:
	s_andn2_saveexec_b32 s23, s23
; %bb.741:
	v_add_f32_e64 v3, 0x43000000, |v2|
; %bb.742:
	s_or_b32 exec_lo, exec_lo, s23
                                        ; implicit-def: $vgpr6
.LBB8_743:
	s_andn2_saveexec_b32 s22, s22
; %bb.744:
	v_mov_b32_e32 v3, 0x7f
	v_cmp_lt_u32_e32 vcc_lo, 0x7f800000, v6
	v_cndmask_b32_e32 v3, 0x7c, v3, vcc_lo
; %bb.745:
	s_or_b32 exec_lo, exec_lo, s22
	v_lshrrev_b32_e32 v2, 24, v2
	v_and_or_b32 v2, 0x80, v2, v3
	global_store_byte v[4:5], v2, off
.LBB8_746:
	s_mov_b32 s23, 0
	s_mov_b32 s22, -1
.LBB8_747:
	s_andn2_b32 vcc_lo, exec_lo, s23
	s_cbranch_vccnz .LBB8_755
; %bb.748:
	s_cmp_gt_i32 s21, 14
	s_mov_b32 s23, -1
	s_cbranch_scc0 .LBB8_752
; %bb.749:
	s_cmp_eq_u32 s21, 15
	s_mov_b32 s0, -1
	s_cbranch_scc0 .LBB8_751
; %bb.750:
	v_cvt_f32_f64_e32 v2, v[0:1]
	s_mov_b32 s22, -1
	s_mov_b32 s0, 0
	v_bfe_u32 v3, v2, 16, 1
	v_cmp_o_f32_e32 vcc_lo, v2, v2
	v_add3_u32 v2, v2, v3, 0x7fff
	v_mov_b32_e32 v3, 0x7fc0
	v_cndmask_b32_sdwa v2, v3, v2, vcc_lo dst_sel:DWORD dst_unused:UNUSED_PAD src0_sel:DWORD src1_sel:WORD_1
	global_store_short v[4:5], v2, off
.LBB8_751:
	s_mov_b32 s23, 0
.LBB8_752:
	s_and_b32 vcc_lo, exec_lo, s23
	s_cbranch_vccz .LBB8_755
; %bb.753:
	s_cmp_eq_u32 s21, 11
	s_mov_b32 s0, -1
	s_cbranch_scc0 .LBB8_755
; %bb.754:
	v_cmp_neq_f64_e32 vcc_lo, 0, v[0:1]
	s_mov_b32 s22, -1
	s_mov_b32 s0, 0
	v_cndmask_b32_e64 v2, 0, 1, vcc_lo
	global_store_byte v[4:5], v2, off
.LBB8_755:
	s_mov_b32 s21, 0
.LBB8_756:
	s_and_b32 vcc_lo, exec_lo, s21
	s_cbranch_vccz .LBB8_795
; %bb.757:
	s_and_b32 s1, 0xffff, s1
	s_mov_b32 s21, -1
	s_cmp_lt_i32 s1, 5
	s_cbranch_scc1 .LBB8_778
; %bb.758:
	s_cmp_lt_i32 s1, 8
	s_cbranch_scc1 .LBB8_768
; %bb.759:
	;; [unrolled: 3-line block ×3, first 2 shown]
	s_cmp_gt_i32 s1, 9
	s_cbranch_scc0 .LBB8_762
; %bb.761:
	v_mov_b32_e32 v2, 0
	s_mov_b32 s21, 0
	v_mov_b32_e32 v3, v2
	global_store_dwordx4 v[4:5], v[0:3], off
.LBB8_762:
	s_andn2_b32 vcc_lo, exec_lo, s21
	s_cbranch_vccnz .LBB8_764
; %bb.763:
	v_cvt_f32_f64_e32 v2, v[0:1]
	v_mov_b32_e32 v3, 0
	global_store_dwordx2 v[4:5], v[2:3], off
.LBB8_764:
	s_mov_b32 s21, 0
.LBB8_765:
	s_andn2_b32 vcc_lo, exec_lo, s21
	s_cbranch_vccnz .LBB8_767
; %bb.766:
	v_and_or_b32 v2, 0x1ff, v1, v0
	v_lshrrev_b32_e32 v3, 8, v1
	v_bfe_u32 v6, v1, 20, 11
	v_cmp_ne_u32_e32 vcc_lo, 0, v2
	v_sub_nc_u32_e32 v7, 0x3f1, v6
	v_add_nc_u32_e32 v6, 0xfffffc10, v6
	v_cndmask_b32_e64 v2, 0, 1, vcc_lo
	v_and_or_b32 v2, 0xffe, v3, v2
	v_med3_i32 v3, v7, 0, 13
	v_or_b32_e32 v7, 0x1000, v2
	v_lshrrev_b32_e32 v8, v3, v7
	v_lshlrev_b32_e32 v3, v3, v8
	v_cmp_ne_u32_e32 vcc_lo, v3, v7
	v_lshl_or_b32 v7, v6, 12, v2
	v_cndmask_b32_e64 v3, 0, 1, vcc_lo
	v_cmp_gt_i32_e32 vcc_lo, 1, v6
	v_or_b32_e32 v3, v8, v3
	v_cndmask_b32_e32 v3, v7, v3, vcc_lo
	v_and_b32_e32 v7, 7, v3
	v_lshrrev_b32_e32 v3, 2, v3
	v_cmp_lt_i32_e32 vcc_lo, 5, v7
	v_cndmask_b32_e64 v8, 0, 1, vcc_lo
	v_cmp_eq_u32_e32 vcc_lo, 3, v7
	v_cndmask_b32_e64 v7, 0, 1, vcc_lo
	v_cmp_ne_u32_e32 vcc_lo, 0, v2
	v_or_b32_e32 v7, v7, v8
	v_mov_b32_e32 v8, 0x7e00
	v_add_nc_u32_e32 v3, v3, v7
	v_cndmask_b32_e32 v2, 0x7c00, v8, vcc_lo
	v_cmp_gt_i32_e32 vcc_lo, 31, v6
	v_cndmask_b32_e32 v3, 0x7c00, v3, vcc_lo
	v_cmp_eq_u32_e32 vcc_lo, 0x40f, v6
	v_cndmask_b32_e32 v2, v3, v2, vcc_lo
	v_lshrrev_b32_e32 v3, 16, v1
	v_and_or_b32 v2, 0x8000, v3, v2
	v_and_b32_e32 v2, 0xffff, v2
	global_store_dword v[4:5], v2, off
.LBB8_767:
	s_mov_b32 s21, 0
.LBB8_768:
	s_andn2_b32 vcc_lo, exec_lo, s21
	s_cbranch_vccnz .LBB8_777
; %bb.769:
	s_cmp_lt_i32 s1, 6
	s_mov_b32 s21, -1
	s_cbranch_scc1 .LBB8_775
; %bb.770:
	s_cmp_gt_i32 s1, 6
	s_cbranch_scc0 .LBB8_772
; %bb.771:
	s_mov_b32 s21, 0
	global_store_dwordx2 v[4:5], v[0:1], off
.LBB8_772:
	s_andn2_b32 vcc_lo, exec_lo, s21
	s_cbranch_vccnz .LBB8_774
; %bb.773:
	v_cvt_f32_f64_e32 v2, v[0:1]
	global_store_dword v[4:5], v2, off
.LBB8_774:
	s_mov_b32 s21, 0
.LBB8_775:
	s_andn2_b32 vcc_lo, exec_lo, s21
	s_cbranch_vccnz .LBB8_777
; %bb.776:
	v_and_or_b32 v2, 0x1ff, v1, v0
	v_lshrrev_b32_e32 v3, 8, v1
	v_bfe_u32 v6, v1, 20, 11
	v_cmp_ne_u32_e32 vcc_lo, 0, v2
	v_sub_nc_u32_e32 v7, 0x3f1, v6
	v_add_nc_u32_e32 v6, 0xfffffc10, v6
	v_cndmask_b32_e64 v2, 0, 1, vcc_lo
	v_and_or_b32 v2, 0xffe, v3, v2
	v_med3_i32 v3, v7, 0, 13
	v_or_b32_e32 v7, 0x1000, v2
	v_lshrrev_b32_e32 v8, v3, v7
	v_lshlrev_b32_e32 v3, v3, v8
	v_cmp_ne_u32_e32 vcc_lo, v3, v7
	v_lshl_or_b32 v7, v6, 12, v2
	v_cndmask_b32_e64 v3, 0, 1, vcc_lo
	v_cmp_gt_i32_e32 vcc_lo, 1, v6
	v_or_b32_e32 v3, v8, v3
	v_cndmask_b32_e32 v3, v7, v3, vcc_lo
	v_and_b32_e32 v7, 7, v3
	v_lshrrev_b32_e32 v3, 2, v3
	v_cmp_lt_i32_e32 vcc_lo, 5, v7
	v_cndmask_b32_e64 v8, 0, 1, vcc_lo
	v_cmp_eq_u32_e32 vcc_lo, 3, v7
	v_cndmask_b32_e64 v7, 0, 1, vcc_lo
	v_cmp_ne_u32_e32 vcc_lo, 0, v2
	v_or_b32_e32 v7, v7, v8
	v_mov_b32_e32 v8, 0x7e00
	v_add_nc_u32_e32 v3, v3, v7
	v_cndmask_b32_e32 v2, 0x7c00, v8, vcc_lo
	v_cmp_gt_i32_e32 vcc_lo, 31, v6
	v_cndmask_b32_e32 v3, 0x7c00, v3, vcc_lo
	v_cmp_eq_u32_e32 vcc_lo, 0x40f, v6
	v_cndmask_b32_e32 v2, v3, v2, vcc_lo
	v_lshrrev_b32_e32 v3, 16, v1
	v_and_or_b32 v2, 0x8000, v3, v2
	global_store_short v[4:5], v2, off
.LBB8_777:
	s_mov_b32 s21, 0
.LBB8_778:
	s_andn2_b32 vcc_lo, exec_lo, s21
	s_cbranch_vccnz .LBB8_794
; %bb.779:
	s_cmp_lt_i32 s1, 2
	s_mov_b32 s21, -1
	s_cbranch_scc1 .LBB8_789
; %bb.780:
	s_cmp_lt_i32 s1, 3
	s_cbranch_scc1 .LBB8_786
; %bb.781:
	s_cmp_gt_i32 s1, 3
	s_cbranch_scc0 .LBB8_783
; %bb.782:
	v_trunc_f64_e32 v[2:3], v[0:1]
	s_mov_b32 s21, 0
	v_ldexp_f64 v[6:7], v[2:3], 0xffffffe0
	v_floor_f64_e32 v[6:7], v[6:7]
	v_fma_f64 v[2:3], 0xc1f00000, v[6:7], v[2:3]
	v_cvt_i32_f64_e32 v7, v[6:7]
	v_cvt_u32_f64_e32 v6, v[2:3]
	global_store_dwordx2 v[4:5], v[6:7], off
.LBB8_783:
	s_andn2_b32 vcc_lo, exec_lo, s21
	s_cbranch_vccnz .LBB8_785
; %bb.784:
	v_cvt_i32_f64_e32 v2, v[0:1]
	global_store_dword v[4:5], v2, off
.LBB8_785:
	s_mov_b32 s21, 0
.LBB8_786:
	s_andn2_b32 vcc_lo, exec_lo, s21
	s_cbranch_vccnz .LBB8_788
; %bb.787:
	v_cvt_i32_f64_e32 v2, v[0:1]
	global_store_short v[4:5], v2, off
.LBB8_788:
	s_mov_b32 s21, 0
.LBB8_789:
	s_andn2_b32 vcc_lo, exec_lo, s21
	s_cbranch_vccnz .LBB8_794
; %bb.790:
	s_cmp_gt_i32 s1, 0
	s_mov_b32 s1, -1
	s_cbranch_scc0 .LBB8_792
; %bb.791:
	v_cvt_i32_f64_e32 v2, v[0:1]
	s_mov_b32 s1, 0
	global_store_byte v[4:5], v2, off
.LBB8_792:
	s_andn2_b32 vcc_lo, exec_lo, s1
	s_cbranch_vccnz .LBB8_794
; %bb.793:
	v_trunc_f64_e32 v[0:1], v[0:1]
	v_ldexp_f64 v[2:3], v[0:1], 0xffffffe0
	v_floor_f64_e32 v[2:3], v[2:3]
	v_fma_f64 v[0:1], 0xc1f00000, v[2:3], v[0:1]
	v_cvt_u32_f64_e32 v0, v[0:1]
	global_store_byte v[4:5], v0, off
.LBB8_794:
	s_mov_b32 s22, -1
.LBB8_795:
	s_andn2_b32 vcc_lo, exec_lo, s22
	s_cbranch_vccnz .LBB8_797
; %bb.796:
	v_add_nc_u32_e32 v10, 0x80, v10
	s_mov_b32 s21, -1
	s_branch .LBB8_799
.LBB8_797:
	s_mov_b32 s21, 0
.LBB8_798:
                                        ; implicit-def: $vgpr10
.LBB8_799:
	s_andn2_b32 s1, s17, exec_lo
	s_and_b32 s0, s0, exec_lo
	s_andn2_b32 s22, s16, exec_lo
	s_and_b32 s20, s20, exec_lo
	s_or_b32 s1, s1, s0
	s_or_b32 s0, s22, s20
	s_orn2_b32 s20, s21, exec_lo
.LBB8_800:
	s_or_b32 exec_lo, exec_lo, s19
	s_mov_b32 s21, 0
	s_mov_b32 s22, 0
	;; [unrolled: 1-line block ×3, first 2 shown]
                                        ; implicit-def: $vgpr0_vgpr1
                                        ; implicit-def: $vgpr2_vgpr3
	s_and_saveexec_b32 s19, s20
	s_cbranch_execz .LBB8_885
; %bb.801:
	v_cmp_gt_i32_e32 vcc_lo, s13, v10
	s_mov_b32 s20, 0
	s_mov_b32 s21, s0
	;; [unrolled: 1-line block ×3, first 2 shown]
                                        ; implicit-def: $vgpr0_vgpr1
                                        ; implicit-def: $vgpr2_vgpr3
	s_and_saveexec_b32 s13, vcc_lo
	s_cbranch_execz .LBB8_884
; %bb.802:
	v_mul_lo_u32 v0, v10, s3
	s_and_b32 s20, 0xffff, s6
	s_cmp_lt_i32 s20, 11
	v_ashrrev_i32_e32 v1, 31, v0
	v_add_co_u32 v0, vcc_lo, s10, v0
	v_add_co_ci_u32_e64 v1, null, s11, v1, vcc_lo
	s_cbranch_scc1 .LBB8_809
; %bb.803:
	s_cmp_gt_i32 s20, 25
	s_cbranch_scc0 .LBB8_810
; %bb.804:
	s_cmp_gt_i32 s20, 28
	s_cbranch_scc0 .LBB8_811
	;; [unrolled: 3-line block ×4, first 2 shown]
; %bb.807:
	s_cmp_eq_u32 s20, 46
	s_cbranch_scc0 .LBB8_818
; %bb.808:
	global_load_dword v2, v[0:1], off
	s_mov_b32 s21, 0
	s_mov_b32 s23, -1
	s_waitcnt vmcnt(0)
	v_lshlrev_b32_e32 v2, 16, v2
	v_cvt_f64_f32_e32 v[2:3], v2
	s_branch .LBB8_820
.LBB8_809:
	s_mov_b32 s20, -1
	s_mov_b32 s21, s0
                                        ; implicit-def: $vgpr2_vgpr3
	s_branch .LBB8_883
.LBB8_810:
	s_mov_b32 s24, -1
	s_mov_b32 s21, s0
                                        ; implicit-def: $vgpr2_vgpr3
	s_branch .LBB8_851
.LBB8_811:
	s_mov_b32 s24, -1
	s_mov_b32 s21, s0
                                        ; implicit-def: $vgpr2_vgpr3
	s_branch .LBB8_830
.LBB8_812:
	s_mov_b32 s24, -1
	s_mov_b32 s21, s0
                                        ; implicit-def: $vgpr2_vgpr3
	s_branch .LBB8_825
.LBB8_813:
	s_andn2_saveexec_b32 s24, s24
	s_cbranch_execz .LBB8_708
.LBB8_814:
	v_add_f32_e64 v3, 0x46000000, |v2|
	s_andn2_b32 s23, s23, exec_lo
	v_and_b32_e32 v3, 0xff, v3
	v_cmp_ne_u32_e32 vcc_lo, 0, v3
	s_and_b32 s25, vcc_lo, exec_lo
	s_or_b32 s23, s23, s25
	s_or_b32 exec_lo, exec_lo, s24
	v_mov_b32_e32 v6, 0
	s_and_saveexec_b32 s24, s23
	s_cbranch_execnz .LBB8_709
	s_branch .LBB8_710
.LBB8_815:
	s_mov_b32 s24, -1
	s_mov_b32 s21, s0
	s_branch .LBB8_819
.LBB8_816:
	s_andn2_saveexec_b32 s24, s24
	s_cbranch_execz .LBB8_721
.LBB8_817:
	v_add_f32_e64 v3, 0x42800000, |v2|
	s_andn2_b32 s23, s23, exec_lo
	v_and_b32_e32 v3, 0xff, v3
	v_cmp_ne_u32_e32 vcc_lo, 0, v3
	s_and_b32 s25, vcc_lo, exec_lo
	s_or_b32 s23, s23, s25
	s_or_b32 exec_lo, exec_lo, s24
	v_mov_b32_e32 v6, 0
	s_and_saveexec_b32 s24, s23
	s_cbranch_execnz .LBB8_722
	s_branch .LBB8_723
.LBB8_818:
	s_mov_b32 s21, -1
.LBB8_819:
                                        ; implicit-def: $vgpr2_vgpr3
.LBB8_820:
	s_and_b32 vcc_lo, exec_lo, s24
	s_cbranch_vccz .LBB8_824
; %bb.821:
	s_cmp_eq_u32 s20, 44
	s_cbranch_scc0 .LBB8_823
; %bb.822:
	global_load_ubyte v4, v[0:1], off
	s_mov_b32 s21, 0
	s_mov_b32 s23, -1
	s_waitcnt vmcnt(0)
	v_lshlrev_b32_e32 v2, 23, v4
	v_cmp_ne_u32_e32 vcc_lo, 0xff, v4
	v_cvt_f64_f32_e32 v[2:3], v2
	v_cndmask_b32_e32 v2, 0x20000000, v2, vcc_lo
	v_cndmask_b32_e32 v3, 0x7ff80000, v3, vcc_lo
	v_cmp_ne_u32_e32 vcc_lo, 0, v4
	v_cndmask_b32_e32 v3, 0x38000000, v3, vcc_lo
	v_cndmask_b32_e32 v2, 0, v2, vcc_lo
	s_branch .LBB8_824
.LBB8_823:
	s_mov_b32 s21, -1
                                        ; implicit-def: $vgpr2_vgpr3
.LBB8_824:
	s_mov_b32 s24, 0
.LBB8_825:
	s_and_b32 vcc_lo, exec_lo, s24
	s_cbranch_vccz .LBB8_829
; %bb.826:
	s_cmp_eq_u32 s20, 29
	s_cbranch_scc0 .LBB8_828
; %bb.827:
	global_load_dwordx2 v[2:3], v[0:1], off
	s_mov_b32 s21, 0
	s_mov_b32 s23, -1
	s_mov_b32 s24, 0
	s_waitcnt vmcnt(0)
	v_cvt_f64_u32_e32 v[3:4], v3
	v_cvt_f64_u32_e32 v[5:6], v2
	v_ldexp_f64 v[3:4], v[3:4], 32
	v_add_f64 v[2:3], v[3:4], v[5:6]
	s_branch .LBB8_830
.LBB8_828:
	s_mov_b32 s21, -1
                                        ; implicit-def: $vgpr2_vgpr3
.LBB8_829:
	s_mov_b32 s24, 0
.LBB8_830:
	s_and_b32 vcc_lo, exec_lo, s24
	s_cbranch_vccz .LBB8_850
; %bb.831:
	s_cmp_lt_i32 s20, 27
	s_cbranch_scc1 .LBB8_834
; %bb.832:
	s_cmp_gt_i32 s20, 27
	s_cbranch_scc0 .LBB8_835
; %bb.833:
	global_load_dword v2, v[0:1], off
	s_mov_b32 s23, 0
	s_waitcnt vmcnt(0)
	v_cvt_f64_u32_e32 v[2:3], v2
	s_branch .LBB8_836
.LBB8_834:
	s_mov_b32 s23, -1
                                        ; implicit-def: $vgpr2_vgpr3
	s_branch .LBB8_839
.LBB8_835:
	s_mov_b32 s23, -1
                                        ; implicit-def: $vgpr2_vgpr3
.LBB8_836:
	s_andn2_b32 vcc_lo, exec_lo, s23
	s_cbranch_vccnz .LBB8_838
; %bb.837:
	global_load_ushort v2, v[0:1], off
	s_waitcnt vmcnt(0)
	v_cvt_f64_u32_e32 v[2:3], v2
.LBB8_838:
	s_mov_b32 s23, 0
.LBB8_839:
	s_andn2_b32 vcc_lo, exec_lo, s23
	s_cbranch_vccnz .LBB8_849
; %bb.840:
	global_load_ubyte v4, v[0:1], off
	s_mov_b32 s23, 0
	s_mov_b32 s24, exec_lo
	s_waitcnt vmcnt(0)
	v_cmpx_lt_i16_e32 0x7f, v4
	s_xor_b32 s24, exec_lo, s24
	s_cbranch_execz .LBB8_844
; %bb.841:
	s_mov_b32 s23, -1
	s_mov_b32 s25, exec_lo
	v_cmpx_eq_u16_e32 0x80, v4
; %bb.842:
	s_xor_b32 s23, exec_lo, -1
; %bb.843:
	s_or_b32 exec_lo, exec_lo, s25
	s_and_b32 s23, s23, exec_lo
.LBB8_844:
	s_or_saveexec_b32 s24, s24
	v_bfrev_b32_e32 v2, 4
	v_mov_b32_e32 v3, 0x7ff80000
	s_xor_b32 exec_lo, exec_lo, s24
; %bb.845:
	v_cmp_ne_u16_e32 vcc_lo, 0, v4
	v_mov_b32_e32 v2, 0
	v_mov_b32_e32 v3, 0
	s_andn2_b32 s23, s23, exec_lo
	s_and_b32 s25, vcc_lo, exec_lo
	s_or_b32 s23, s23, s25
; %bb.846:
	s_or_b32 exec_lo, exec_lo, s24
	s_and_saveexec_b32 s24, s23
	s_cbranch_execz .LBB8_848
; %bb.847:
	v_and_b32_e32 v2, 0xffff, v4
	v_lshlrev_b32_e32 v4, 24, v4
	v_and_b32_e32 v3, 7, v2
	v_bfe_u32 v7, v2, 3, 4
	v_ffbh_u32_e32 v5, v3
	v_cmp_eq_u32_e32 vcc_lo, 0, v7
	v_min_u32_e32 v5, 32, v5
	v_subrev_nc_u32_e32 v6, 28, v5
	v_sub_nc_u32_e32 v5, 29, v5
	v_lshlrev_b32_e32 v2, v6, v2
	v_cndmask_b32_e32 v5, v7, v5, vcc_lo
	v_and_b32_e32 v2, 7, v2
	v_cndmask_b32_e32 v2, v3, v2, vcc_lo
	v_and_b32_e32 v3, 0x80000000, v4
	v_lshl_add_u32 v4, v5, 23, 0x3b800000
	v_lshlrev_b32_e32 v2, 20, v2
	v_or3_b32 v2, v3, v4, v2
	v_cvt_f64_f32_e32 v[2:3], v2
.LBB8_848:
	s_or_b32 exec_lo, exec_lo, s24
.LBB8_849:
	s_mov_b32 s23, -1
.LBB8_850:
	s_mov_b32 s24, 0
.LBB8_851:
	s_and_b32 vcc_lo, exec_lo, s24
	s_cbranch_vccz .LBB8_882
; %bb.852:
	s_cmp_gt_i32 s20, 22
	s_cbranch_scc0 .LBB8_864
; %bb.853:
	s_cmp_lt_i32 s20, 24
	s_cbranch_scc1 .LBB8_865
; %bb.854:
	s_cmp_gt_i32 s20, 24
	s_cbranch_scc0 .LBB8_866
; %bb.855:
	global_load_ubyte v4, v[0:1], off
	s_mov_b32 s23, exec_lo
	s_waitcnt vmcnt(0)
	v_cmpx_lt_i16_e32 0x7f, v4
	s_xor_b32 s23, exec_lo, s23
	s_cbranch_execz .LBB8_859
; %bb.856:
	s_mov_b32 s22, -1
	s_mov_b32 s24, exec_lo
	v_cmpx_eq_u16_e32 0x80, v4
; %bb.857:
	s_xor_b32 s22, exec_lo, -1
; %bb.858:
	s_or_b32 exec_lo, exec_lo, s24
	s_and_b32 s22, s22, exec_lo
.LBB8_859:
	s_or_saveexec_b32 s23, s23
	v_bfrev_b32_e32 v2, 4
	v_mov_b32_e32 v3, 0x7ff80000
	s_xor_b32 exec_lo, exec_lo, s23
; %bb.860:
	v_cmp_ne_u16_e32 vcc_lo, 0, v4
	v_mov_b32_e32 v2, 0
	v_mov_b32_e32 v3, 0
	s_andn2_b32 s22, s22, exec_lo
	s_and_b32 s24, vcc_lo, exec_lo
	s_or_b32 s22, s22, s24
; %bb.861:
	s_or_b32 exec_lo, exec_lo, s23
	s_and_saveexec_b32 s23, s22
	s_cbranch_execz .LBB8_863
; %bb.862:
	v_and_b32_e32 v2, 0xffff, v4
	v_lshlrev_b32_e32 v4, 24, v4
	v_and_b32_e32 v3, 3, v2
	v_bfe_u32 v7, v2, 2, 5
	v_ffbh_u32_e32 v5, v3
	v_cmp_eq_u32_e32 vcc_lo, 0, v7
	v_min_u32_e32 v5, 32, v5
	v_subrev_nc_u32_e32 v6, 29, v5
	v_sub_nc_u32_e32 v5, 30, v5
	v_lshlrev_b32_e32 v2, v6, v2
	v_cndmask_b32_e32 v5, v7, v5, vcc_lo
	v_and_b32_e32 v2, 3, v2
	v_cndmask_b32_e32 v2, v3, v2, vcc_lo
	v_and_b32_e32 v3, 0x80000000, v4
	v_lshl_add_u32 v4, v5, 23, 0x37800000
	v_lshlrev_b32_e32 v2, 21, v2
	v_or3_b32 v2, v3, v4, v2
	v_cvt_f64_f32_e32 v[2:3], v2
.LBB8_863:
	s_or_b32 exec_lo, exec_lo, s23
	s_mov_b32 s22, 0
	s_branch .LBB8_867
.LBB8_864:
	s_mov_b32 s22, -1
                                        ; implicit-def: $vgpr2_vgpr3
	s_branch .LBB8_873
.LBB8_865:
	s_mov_b32 s22, -1
                                        ; implicit-def: $vgpr2_vgpr3
	s_branch .LBB8_870
.LBB8_866:
	s_mov_b32 s22, -1
                                        ; implicit-def: $vgpr2_vgpr3
.LBB8_867:
	s_and_b32 vcc_lo, exec_lo, s22
	s_cbranch_vccz .LBB8_869
; %bb.868:
	global_load_ubyte v2, v[0:1], off
	s_waitcnt vmcnt(0)
	v_lshlrev_b32_e32 v2, 24, v2
	v_and_b32_e32 v3, 0x7f000000, v2
	v_ffbh_u32_e32 v4, v3
	v_add_nc_u32_e32 v6, 0x1000000, v3
	v_cmp_ne_u32_e32 vcc_lo, 0, v3
	v_min_u32_e32 v4, 32, v4
	v_sub_nc_u32_e64 v4, v4, 4 clamp
	v_lshlrev_b32_e32 v5, v4, v3
	v_lshlrev_b32_e32 v4, 23, v4
	v_lshrrev_b32_e32 v5, 4, v5
	v_sub_nc_u32_e32 v4, v5, v4
	v_ashrrev_i32_e32 v5, 8, v6
	v_add_nc_u32_e32 v4, 0x3c000000, v4
	v_and_or_b32 v4, 0x7f800000, v5, v4
	v_cndmask_b32_e32 v3, 0, v4, vcc_lo
	v_and_or_b32 v2, 0x80000000, v2, v3
	v_cvt_f64_f32_e32 v[2:3], v2
.LBB8_869:
	s_mov_b32 s22, 0
.LBB8_870:
	s_andn2_b32 vcc_lo, exec_lo, s22
	s_cbranch_vccnz .LBB8_872
; %bb.871:
	global_load_ubyte v2, v[0:1], off
	s_waitcnt vmcnt(0)
	v_lshlrev_b32_e32 v3, 25, v2
	v_lshlrev_b16 v2, 8, v2
	v_lshrrev_b32_e32 v4, 4, v3
	v_and_or_b32 v5, 0x7f00, v2, 0.5
	v_cmp_gt_u32_e32 vcc_lo, 0x8000000, v3
	v_bfe_i32 v2, v2, 0, 16
	v_or_b32_e32 v4, 0x70000000, v4
	v_add_f32_e32 v5, -0.5, v5
	v_mul_f32_e32 v4, 0x7800000, v4
	v_cndmask_b32_e32 v3, v4, v5, vcc_lo
	v_and_or_b32 v2, 0x80000000, v2, v3
	v_cvt_f64_f32_e32 v[2:3], v2
.LBB8_872:
	s_mov_b32 s22, 0
	s_mov_b32 s23, -1
.LBB8_873:
	s_andn2_b32 vcc_lo, exec_lo, s22
	s_mov_b32 s22, 0
	s_cbranch_vccnz .LBB8_882
; %bb.874:
	s_cmp_gt_i32 s20, 14
	s_cbranch_scc0 .LBB8_877
; %bb.875:
	s_cmp_eq_u32 s20, 15
	s_cbranch_scc0 .LBB8_878
; %bb.876:
	global_load_ushort v2, v[0:1], off
	s_mov_b32 s21, 0
	s_mov_b32 s23, -1
	s_waitcnt vmcnt(0)
	v_lshlrev_b32_e32 v2, 16, v2
	v_cvt_f64_f32_e32 v[2:3], v2
	s_branch .LBB8_880
.LBB8_877:
	s_mov_b32 s22, -1
	s_branch .LBB8_879
.LBB8_878:
	s_mov_b32 s21, -1
.LBB8_879:
                                        ; implicit-def: $vgpr2_vgpr3
.LBB8_880:
	s_and_b32 vcc_lo, exec_lo, s22
	s_mov_b32 s22, 0
	s_cbranch_vccz .LBB8_882
; %bb.881:
	s_cmp_lg_u32 s20, 11
	s_mov_b32 s22, -1
	s_cselect_b32 s20, -1, 0
	s_andn2_b32 s21, s21, exec_lo
	s_and_b32 s20, s20, exec_lo
	s_or_b32 s21, s21, s20
.LBB8_882:
	s_mov_b32 s20, 0
.LBB8_883:
	s_andn2_b32 s25, s0, exec_lo
	s_and_b32 s21, s21, exec_lo
	s_and_b32 s23, s23, exec_lo
	;; [unrolled: 1-line block ×4, first 2 shown]
	s_or_b32 s21, s25, s21
.LBB8_884:
	s_or_b32 exec_lo, exec_lo, s13
	s_andn2_b32 s0, s0, exec_lo
	s_and_b32 s13, s21, exec_lo
	s_and_b32 s23, s23, exec_lo
	;; [unrolled: 1-line block ×4, first 2 shown]
	s_or_b32 s0, s0, s13
.LBB8_885:
	s_or_b32 exec_lo, exec_lo, s19
	s_andn2_b32 s13, s17, exec_lo
	s_and_b32 s1, s1, exec_lo
	s_and_b32 s0, s0, exec_lo
	s_or_b32 s17, s13, s1
	s_andn2_b32 s13, s16, exec_lo
	s_and_b32 s20, s23, exec_lo
	s_and_b32 s19, s22, exec_lo
	;; [unrolled: 1-line block ×3, first 2 shown]
	s_or_b32 s16, s13, s0
.LBB8_886:
	s_or_b32 exec_lo, exec_lo, s18
	s_andn2_b32 s0, s12, exec_lo
	s_and_b32 s12, s17, exec_lo
	s_andn2_b32 s13, s14, exec_lo
	s_and_b32 s14, s16, exec_lo
	s_or_b32 s12, s0, s12
	s_and_b32 s0, s20, exec_lo
	s_and_b32 s17, s19, exec_lo
	s_and_b32 s16, s1, exec_lo
	s_or_b32 s14, s13, s14
	s_or_b32 exec_lo, exec_lo, s15
	s_mov_b32 s13, 0
	s_and_saveexec_b32 s1, s14
	s_cbranch_execz .LBB8_270
.LBB8_887:
	s_mov_b32 s13, exec_lo
	s_andn2_b32 s16, s16, exec_lo
	s_trap 2
	s_or_b32 exec_lo, exec_lo, s1
	s_and_saveexec_b32 s1, s16
	s_xor_b32 s1, exec_lo, s1
	s_cbranch_execnz .LBB8_271
.LBB8_888:
	s_or_b32 exec_lo, exec_lo, s1
	s_and_saveexec_b32 s1, s17
	s_cbranch_execz .LBB8_934
.LBB8_889:
	s_sext_i32_i16 s14, s6
	s_cmp_lt_i32 s14, 5
	s_cbranch_scc1 .LBB8_894
; %bb.890:
	s_cmp_lt_i32 s14, 8
	s_cbranch_scc1 .LBB8_895
; %bb.891:
	;; [unrolled: 3-line block ×3, first 2 shown]
	s_cmp_gt_i32 s14, 9
	s_cbranch_scc0 .LBB8_897
; %bb.893:
	global_load_dwordx2 v[2:3], v[0:1], off
	s_mov_b32 s14, 0
	s_branch .LBB8_898
.LBB8_894:
                                        ; implicit-def: $vgpr2_vgpr3
	s_branch .LBB8_915
.LBB8_895:
                                        ; implicit-def: $vgpr2_vgpr3
	s_branch .LBB8_904
.LBB8_896:
	s_mov_b32 s14, -1
                                        ; implicit-def: $vgpr2_vgpr3
	s_branch .LBB8_901
.LBB8_897:
	s_mov_b32 s14, -1
                                        ; implicit-def: $vgpr2_vgpr3
.LBB8_898:
	s_andn2_b32 vcc_lo, exec_lo, s14
	s_cbranch_vccnz .LBB8_900
; %bb.899:
	global_load_dword v2, v[0:1], off
	s_waitcnt vmcnt(0)
	v_cvt_f64_f32_e32 v[2:3], v2
.LBB8_900:
	s_mov_b32 s14, 0
.LBB8_901:
	s_andn2_b32 vcc_lo, exec_lo, s14
	s_cbranch_vccnz .LBB8_903
; %bb.902:
	global_load_dword v2, v[0:1], off
	s_waitcnt vmcnt(0)
	v_cvt_f32_f16_e32 v2, v2
	v_cvt_f64_f32_e32 v[2:3], v2
.LBB8_903:
	s_cbranch_execnz .LBB8_914
.LBB8_904:
	s_sext_i32_i16 s14, s6
	s_cmp_lt_i32 s14, 6
	s_cbranch_scc1 .LBB8_907
; %bb.905:
	s_cmp_gt_i32 s14, 6
	s_cbranch_scc0 .LBB8_908
; %bb.906:
	global_load_dwordx2 v[2:3], v[0:1], off
	s_mov_b32 s14, 0
	s_branch .LBB8_909
.LBB8_907:
	s_mov_b32 s14, -1
                                        ; implicit-def: $vgpr2_vgpr3
	s_branch .LBB8_912
.LBB8_908:
	s_mov_b32 s14, -1
                                        ; implicit-def: $vgpr2_vgpr3
.LBB8_909:
	s_andn2_b32 vcc_lo, exec_lo, s14
	s_cbranch_vccnz .LBB8_911
; %bb.910:
	global_load_dword v2, v[0:1], off
	s_waitcnt vmcnt(0)
	v_cvt_f64_f32_e32 v[2:3], v2
.LBB8_911:
	s_mov_b32 s14, 0
.LBB8_912:
	s_andn2_b32 vcc_lo, exec_lo, s14
	s_cbranch_vccnz .LBB8_914
; %bb.913:
	global_load_ushort v2, v[0:1], off
	s_waitcnt vmcnt(0)
	v_cvt_f32_f16_e32 v2, v2
	v_cvt_f64_f32_e32 v[2:3], v2
.LBB8_914:
	s_cbranch_execnz .LBB8_933
.LBB8_915:
	s_sext_i32_i16 s14, s6
	s_cmp_lt_i32 s14, 2
	s_cbranch_scc1 .LBB8_919
; %bb.916:
	s_cmp_lt_i32 s14, 3
	s_cbranch_scc1 .LBB8_920
; %bb.917:
	s_cmp_gt_i32 s14, 3
	s_cbranch_scc0 .LBB8_921
; %bb.918:
	global_load_dwordx2 v[2:3], v[0:1], off
	s_mov_b32 s14, 0
	s_waitcnt vmcnt(0)
	v_cvt_f64_i32_e32 v[3:4], v3
	v_cvt_f64_u32_e32 v[5:6], v2
	v_ldexp_f64 v[3:4], v[3:4], 32
	v_add_f64 v[2:3], v[3:4], v[5:6]
	s_branch .LBB8_922
.LBB8_919:
                                        ; implicit-def: $vgpr2_vgpr3
	s_branch .LBB8_928
.LBB8_920:
	s_mov_b32 s14, -1
                                        ; implicit-def: $vgpr2_vgpr3
	s_branch .LBB8_925
.LBB8_921:
	s_mov_b32 s14, -1
                                        ; implicit-def: $vgpr2_vgpr3
.LBB8_922:
	s_andn2_b32 vcc_lo, exec_lo, s14
	s_cbranch_vccnz .LBB8_924
; %bb.923:
	global_load_dword v2, v[0:1], off
	s_waitcnt vmcnt(0)
	v_cvt_f64_i32_e32 v[2:3], v2
.LBB8_924:
	s_mov_b32 s14, 0
.LBB8_925:
	s_andn2_b32 vcc_lo, exec_lo, s14
	s_cbranch_vccnz .LBB8_927
; %bb.926:
	global_load_sshort v2, v[0:1], off
	s_waitcnt vmcnt(0)
	v_cvt_f64_i32_e32 v[2:3], v2
.LBB8_927:
	s_cbranch_execnz .LBB8_933
.LBB8_928:
	s_sext_i32_i16 s14, s6
	s_cmp_gt_i32 s14, 0
	s_mov_b32 s14, 0
	s_cbranch_scc0 .LBB8_930
; %bb.929:
	global_load_sbyte v2, v[0:1], off
	s_waitcnt vmcnt(0)
	v_cvt_f64_i32_e32 v[2:3], v2
	s_branch .LBB8_931
.LBB8_930:
	s_mov_b32 s14, -1
                                        ; implicit-def: $vgpr2_vgpr3
.LBB8_931:
	s_andn2_b32 vcc_lo, exec_lo, s14
	s_cbranch_vccnz .LBB8_933
; %bb.932:
	global_load_ubyte v0, v[0:1], off
	s_waitcnt vmcnt(0)
	v_cvt_f64_u32_e32 v[2:3], v0
.LBB8_933:
	s_or_b32 s0, s0, exec_lo
.LBB8_934:
	s_or_b32 exec_lo, exec_lo, s1
	s_mov_b32 s16, 0
	s_mov_b32 s15, 0
                                        ; implicit-def: $sgpr1
                                        ; implicit-def: $vgpr4_vgpr5
                                        ; implicit-def: $vgpr0_vgpr1
	s_and_saveexec_b32 s14, s0
	s_cbranch_execz .LBB8_950
; %bb.935:
	v_mov_b32_e32 v0, 0
	v_mov_b32_e32 v1, 0x7ff00000
	s_mov_b32 s15, exec_lo
	s_waitcnt vmcnt(0)
	v_cmpx_neq_f64_e32 0, v[2:3]
	s_cbranch_execz .LBB8_943
; %bb.936:
	v_mov_b32_e32 v0, 0
	v_mov_b32_e32 v1, 0x7ff80000
	s_mov_b32 s16, exec_lo
	v_cmpx_ngt_f64_e32 0, v[2:3]
	s_cbranch_execz .LBB8_942
; %bb.937:
                                        ; implicit-def: $vgpr0_vgpr1
	s_mov_b32 s0, exec_lo
	v_cmpx_ge_f64_e32 2.0, v[2:3]
	s_xor_b32 s17, exec_lo, s0
	s_cbranch_execz .LBB8_939
; %bb.938:
	v_fma_f64 v[0:1], v[2:3], 0.5, -2.0
	s_mov_b32 s0, 0xc38a0576
	s_mov_b32 s1, 0xbc7857d0
	s_mov_b32 s19, 0x3c499f2a
	s_mov_b32 s18, 0xc3c4014
	v_mul_f64 v[8:9], v[2:3], 0.5
	v_fma_f64 v[25:26], v[2:3], v[2:3], -2.0
	s_mov_b32 s21, 0xbc603228
	s_mov_b32 s20, 0x3d3cda56
	;; [unrolled: 1-line block ×4, first 2 shown]
	v_fma_f64 v[4:5], v[0:1], s[18:19], s[0:1]
	s_mov_b32 s19, 0xbc499f2a
	s_mov_b32 s0, 0xe593bfac
	s_mov_b32 s1, 0x3ca663e3
	v_frexp_mant_f64_e32 v[11:12], v[8:9]
	v_frexp_exp_i32_f64_e32 v29, v[8:9]
	v_fma_f64 v[6:7], v[0:1], v[4:5], s[18:19]
	s_mov_b32 s18, 0x97eb07de
	s_mov_b32 s19, 0xbdd25103
	v_add_f64 v[6:7], v[6:7], s[0:1]
	s_mov_b32 s0, 0x7e0d1573
	s_mov_b32 s1, 0xbcd3eaaa
	v_fma_f64 v[4:5], v[0:1], v[6:7], -v[4:5]
	v_add_f64 v[4:5], v[4:5], s[0:1]
	s_mov_b32 s0, 0x615290c
	s_mov_b32 s1, 0x3d011d7f
	v_fma_f64 v[6:7], v[0:1], v[4:5], -v[6:7]
	;; [unrolled: 4-line block ×6, first 2 shown]
	v_add_f64 v[6:7], v[6:7], s[0:1]
	s_mov_b32 s1, 0x3fe55555
	s_mov_b32 s0, 0x55555555
	v_cmp_gt_f64_e32 vcc_lo, s[0:1], v[11:12]
	s_mov_b32 s0, 0x55555780
	v_fma_f64 v[4:5], v[0:1], v[6:7], -v[4:5]
	v_cndmask_b32_e64 v13, 0, 1, vcc_lo
	v_ldexp_f64 v[11:12], v[11:12], v13
	v_add_f64 v[4:5], v[4:5], s[18:19]
	s_mov_b32 s18, 0xb43fdf6c
	s_mov_b32 s19, 0x3df8ea34
	v_add_f64 v[13:14], v[11:12], 1.0
	v_add_f64 v[19:20], v[11:12], -1.0
	v_fma_f64 v[6:7], v[0:1], v[4:5], -v[6:7]
	v_rcp_f64_e32 v[15:16], v[13:14]
	v_add_f64 v[21:22], v[13:14], -1.0
	v_add_f64 v[6:7], v[6:7], s[18:19]
	s_mov_b32 s18, 0x28ea67e6
	s_mov_b32 s19, 0xbe20361b
	v_add_f64 v[11:12], v[11:12], -v[21:22]
	v_fma_f64 v[17:18], -v[13:14], v[15:16], 1.0
	v_fma_f64 v[4:5], v[0:1], v[6:7], -v[4:5]
	v_fma_f64 v[15:16], v[17:18], v[15:16], v[15:16]
	v_add_f64 v[4:5], v[4:5], s[18:19]
	s_mov_b32 s18, 0x2395010
	s_mov_b32 s19, 0x3e44258e
	v_fma_f64 v[17:18], -v[13:14], v[15:16], 1.0
	v_fma_f64 v[6:7], v[0:1], v[4:5], -v[6:7]
	v_fma_f64 v[15:16], v[17:18], v[15:16], v[15:16]
	v_add_f64 v[6:7], v[6:7], s[18:19]
	s_mov_b32 s18, 0x24b8c3e8
	s_mov_b32 s19, 0xbe67dd3e
	v_mul_f64 v[17:18], v[19:20], v[15:16]
	v_fma_f64 v[4:5], v[0:1], v[6:7], -v[4:5]
	v_mul_f64 v[23:24], v[13:14], v[17:18]
	v_add_f64 v[4:5], v[4:5], s[18:19]
	s_mov_b32 s18, 0xb347d108
	s_mov_b32 s19, 0x3e8ae344
	v_fma_f64 v[13:14], v[17:18], v[13:14], -v[23:24]
	v_fma_f64 v[6:7], v[0:1], v[4:5], -v[6:7]
	v_fma_f64 v[11:12], v[17:18], v[11:12], v[13:14]
	v_add_f64 v[6:7], v[6:7], s[18:19]
	s_mov_b32 s18, 0x7a0399e0
	s_mov_b32 s19, 0xbce5dd51
	v_fma_f64 v[27:28], v[25:26], s[20:21], s[18:19]
	s_mov_b32 s21, 0x3c603228
	s_mov_b32 s18, 0xddd0e045
	;; [unrolled: 1-line block ×3, first 2 shown]
	v_add_f64 v[13:14], v[23:24], v[11:12]
	v_fma_f64 v[4:5], v[0:1], v[6:7], -v[4:5]
	v_add_f64 v[21:22], v[19:20], -v[13:14]
	v_add_f64 v[23:24], v[13:14], -v[23:24]
	v_add_f64 v[4:5], v[4:5], s[22:23]
	s_mov_b32 s22, 0xd3d694fe
	s_mov_b32 s23, 0xbf2533ca
	v_add_f64 v[19:20], v[19:20], -v[21:22]
	v_add_f64 v[11:12], v[23:24], -v[11:12]
	v_fma_f64 v[6:7], v[0:1], v[4:5], -v[6:7]
	v_add_f64 v[13:14], v[19:20], -v[13:14]
	v_fma_f64 v[19:20], v[25:26], v[27:28], s[20:21]
	s_mov_b32 s20, 0xd511afc5
	s_mov_b32 s21, 0x3ecd1c4e
	v_add_f64 v[6:7], v[6:7], s[20:21]
	s_mov_b32 s20, 0xb8debbcf
	s_mov_b32 s21, 0xbeebd5f9
	v_add_f64 v[11:12], v[11:12], v[13:14]
	v_add_f64 v[13:14], v[19:20], s[18:19]
	s_mov_b32 s18, 0xb84626ca
	s_mov_b32 s19, 0xbde3663b
	v_fma_f64 v[4:5], v[0:1], v[6:7], -v[4:5]
	v_add_f64 v[11:12], v[21:22], v[11:12]
	v_fma_f64 v[19:20], v[25:26], v[13:14], -v[27:28]
	v_add_f64 v[4:5], v[4:5], s[20:21]
	s_mov_b32 s20, 0x42c70d0b
	s_mov_b32 s21, 0x3f0911b5
	v_mul_f64 v[11:12], v[15:16], v[11:12]
	v_add_f64 v[15:16], v[19:20], s[18:19]
	s_mov_b32 s18, 0x145c31d0
	s_mov_b32 s19, 0xbe57c41d
	v_fma_f64 v[6:7], v[0:1], v[4:5], -v[6:7]
	v_add_f64 v[19:20], v[17:18], v[11:12]
	v_fma_f64 v[13:14], v[25:26], v[15:16], -v[13:14]
	v_add_f64 v[6:7], v[6:7], s[20:21]
	s_mov_b32 s20, 0xbf559e2b
	s_mov_b32 s21, 0x3fc3ab76
	v_mul_f64 v[21:22], v[19:20], v[19:20]
	v_add_f64 v[13:14], v[13:14], s[18:19]
	s_mov_b32 s18, 0x6b47b09a
	s_mov_b32 s19, 0x3fc38538
	v_add_f64 v[17:18], v[19:20], -v[17:18]
	v_fma_f64 v[4:5], v[0:1], v[6:7], -v[4:5]
	v_fma_f64 v[23:24], v[21:22], s[20:21], s[18:19]
	v_fma_f64 v[15:16], v[25:26], v[13:14], -v[15:16]
	s_mov_b32 s18, 0x2c832e3a
	s_mov_b32 s19, 0xbec469b3
	;; [unrolled: 1-line block ×4, first 2 shown]
	v_mul_f64 v[27:28], v[19:20], v[21:22]
	v_add_f64 v[11:12], v[11:12], -v[17:18]
	v_add_f64 v[4:5], v[4:5], s[22:23]
	s_mov_b32 s22, 0xb6c6df7d
	s_mov_b32 s23, 0x3f40c95d
	v_fma_f64 v[23:24], v[21:22], v[23:24], s[20:21]
	v_add_f64 v[15:16], v[15:16], s[18:19]
	s_mov_b32 s18, 0x16291751
	s_mov_b32 s19, 0x3fcc71c0
	;; [unrolled: 1-line block ×4, first 2 shown]
	v_ldexp_f64 v[11:12], v[11:12], 1
	v_fma_f64 v[6:7], v[0:1], v[4:5], -v[6:7]
	v_fma_f64 v[23:24], v[21:22], v[23:24], s[18:19]
	v_fma_f64 v[13:14], v[25:26], v[15:16], -v[13:14]
	s_mov_b32 s18, 0xe5a3bd02
	s_mov_b32 s19, 0xbf26ade2
	v_add_f64 v[6:7], v[6:7], s[22:23]
	s_mov_b32 s22, 0xe7bb2349
	s_mov_b32 s23, 0x3f9951e3
	v_fma_f64 v[23:24], v[21:22], v[23:24], s[20:21]
	v_add_f64 v[13:14], v[13:14], s[18:19]
	s_mov_b32 s18, 0x998ef7b6
	s_mov_b32 s19, 0x3fd99999
	;; [unrolled: 1-line block ×4, first 2 shown]
	v_fma_f64 v[4:5], v[0:1], v[6:7], -v[4:5]
	v_fma_f64 v[23:24], v[21:22], v[23:24], s[18:19]
	v_fma_f64 v[15:16], v[25:26], v[13:14], -v[15:16]
	s_mov_b32 s18, 0x9d7d4192
	s_mov_b32 s19, 0xbf7c9293
	v_add_f64 v[4:5], v[4:5], s[20:21]
	s_mov_b32 s20, 0x49d3a1b4
	s_mov_b32 s21, 0x3f710653
	v_fma_f64 v[21:22], v[21:22], v[23:24], s[0:1]
	v_add_f64 v[15:16], v[15:16], s[18:19]
	v_ldexp_f64 v[23:24], v[19:20], 1
	s_mov_b32 s0, 0x43c1db74
	s_mov_b32 s1, 0xbfbf6372
	;; [unrolled: 1-line block ×4, first 2 shown]
	v_fma_f64 v[6:7], v[0:1], v[4:5], -v[6:7]
	v_mul_f64 v[21:22], v[27:28], v[21:22]
	v_fma_f64 v[13:14], v[25:26], v[15:16], -v[13:14]
	v_subrev_co_ci_u32_e64 v27, null, 0, v29, vcc_lo
	v_mul_f64 v[29:30], v[2:3], s[18:19]
	s_mov_b32 s18, 0x757b0dd4
	s_mov_b32 s19, 0xbfd69a1b
	v_cvt_f64_i32_e32 v[27:28], v27
	v_add_f64 v[6:7], v[6:7], s[20:21]
	s_mov_b32 s20, 0x7913a26a
	s_mov_b32 s21, 0xbf85a29f
	v_add_f64 v[19:20], v[23:24], v[21:22]
	v_add_f64 v[13:14], v[13:14], s[0:1]
	s_mov_b32 s1, 0x3fe62e42
	s_mov_b32 s0, 0xfefa39ef
	v_mul_f64 v[31:32], v[27:28], s[0:1]
	v_fma_f64 v[4:5], v[0:1], v[6:7], -v[4:5]
	v_add_f64 v[17:18], v[19:20], -v[23:24]
	v_fma_f64 v[15:16], v[25:26], v[13:14], -v[15:16]
	v_rndne_f64_e32 v[23:24], v[29:30]
	v_fma_f64 v[29:30], v[27:28], s[0:1], -v[31:32]
	s_mov_b32 s1, 0xbfe62e42
	v_add_f64 v[4:5], v[4:5], s[20:21]
	s_mov_b32 s20, 0x6a5dcb37
	s_mov_b32 s21, 0x3e5ade15
	v_add_f64 v[17:18], v[21:22], -v[17:18]
	v_add_f64 v[15:16], v[15:16], s[18:19]
	v_fma_f64 v[21:22], v[23:24], s[0:1], v[2:3]
	s_mov_b32 s1, 0x3c7abc9e
	s_mov_b32 s0, 0x3b39803f
	;; [unrolled: 1-line block ×4, first 2 shown]
	v_fma_f64 v[27:28], v[27:28], s[0:1], v[29:30]
	s_mov_b32 s1, 0xbc7abc9e
	v_fma_f64 v[6:7], v[0:1], v[4:5], -v[6:7]
	v_add_f64 v[11:12], v[11:12], v[17:18]
	v_fma_f64 v[15:16], v[25:26], v[15:16], -v[13:14]
	v_fma_f64 v[17:18], v[23:24], s[0:1], v[21:22]
	s_mov_b32 s0, 0x361008ca
	s_mov_b32 s1, 0x3ff867a1
	v_add_f64 v[21:22], v[31:32], v[27:28]
	v_add_f64 v[6:7], v[6:7], s[22:23]
	;; [unrolled: 1-line block ×4, first 2 shown]
	v_fma_f64 v[29:30], v[17:18], s[20:21], s[18:19]
	s_mov_b32 s0, 0x623fde64
	s_mov_b32 s1, 0x3ec71dee
	s_mov_b32 s18, 0x537c9ebc
	s_mov_b32 s19, 0xbfab1bbc
	v_add_f64 v[31:32], v[21:22], -v[31:32]
	v_fma_f64 v[4:5], v[0:1], v[6:7], -v[4:5]
	v_add_f64 v[33:34], v[21:22], v[25:26]
	v_add_f64 v[13:14], v[15:16], -v[13:14]
	v_fma_f64 v[29:30], v[17:18], v[29:30], s[0:1]
	s_mov_b32 s0, 0x7c89e6b0
	s_mov_b32 s1, 0x3efa0199
	v_add_f64 v[19:20], v[25:26], -v[19:20]
	v_add_f64 v[27:28], v[27:28], -v[31:32]
	v_add_f64 v[4:5], v[4:5], s[18:19]
	s_mov_b32 s18, 0xd536f53c
	s_mov_b32 s19, 0x3fba46da
	v_add_f64 v[15:16], v[33:34], -v[21:22]
	v_mul_f64 v[13:14], v[13:14], 0.5
	v_fma_f64 v[29:30], v[17:18], v[29:30], s[0:1]
	s_mov_b32 s0, 0x14761f6e
	s_mov_b32 s1, 0x3f2a01a0
	v_add_f64 v[11:12], v[11:12], -v[19:20]
	v_fma_f64 v[6:7], v[0:1], v[4:5], -v[6:7]
	v_add_f64 v[35:36], v[33:34], -v[15:16]
	v_div_scale_f64 v[37:38], null, v[2:3], v[2:3], v[13:14]
	v_fma_f64 v[29:30], v[17:18], v[29:30], s[0:1]
	s_mov_b32 s0, 0x1852b7b0
	s_mov_b32 s1, 0x3f56c16c
	v_add_f64 v[15:16], v[25:26], -v[15:16]
	v_add_f64 v[6:7], v[6:7], s[18:19]
	s_mov_b32 s18, 0x469192e
	s_mov_b32 s19, 0xbfc694d1
	v_add_f64 v[19:20], v[21:22], -v[35:36]
	v_rcp_f64_e32 v[25:26], v[37:38]
	v_fma_f64 v[21:22], v[17:18], v[29:30], s[0:1]
	s_mov_b32 s0, 0x11122322
	s_mov_b32 s1, 0x3f811111
	v_add_f64 v[29:30], v[27:28], v[11:12]
	v_fma_f64 v[4:5], v[0:1], v[6:7], -v[4:5]
	v_add_f64 v[15:16], v[15:16], v[19:20]
	v_fma_f64 v[19:20], v[17:18], v[21:22], s[0:1]
	v_fma_f64 v[21:22], -v[37:38], v[25:26], 1.0
	s_mov_b32 s0, 0x555502a1
	s_mov_b32 s1, 0x3fa55555
	v_add_f64 v[31:32], v[29:30], -v[27:28]
	v_add_f64 v[4:5], v[4:5], s[18:19]
	s_mov_b32 s18, 0x724a7ffa
	s_mov_b32 s19, 0x3fd02a63
	v_add_f64 v[15:16], v[29:30], v[15:16]
	v_fma_f64 v[19:20], v[17:18], v[19:20], s[0:1]
	v_fma_f64 v[21:22], v[25:26], v[21:22], v[25:26]
	s_mov_b32 s0, 0x55555511
	s_mov_b32 s1, 0x3fc55555
	v_add_f64 v[25:26], v[29:30], -v[31:32]
	v_add_f64 v[11:12], v[11:12], -v[31:32]
	v_div_scale_f64 v[31:32], vcc_lo, v[13:14], v[2:3], v[13:14]
	v_fma_f64 v[0:1], v[0:1], v[4:5], -v[6:7]
	v_add_f64 v[29:30], v[33:34], v[15:16]
	v_fma_f64 v[19:20], v[17:18], v[19:20], s[0:1]
	v_fma_f64 v[4:5], -v[37:38], v[21:22], 1.0
	s_mov_b32 s0, 11
	s_mov_b32 s1, 0x3fe00000
	v_add_f64 v[25:26], v[27:28], -v[25:26]
	v_add_f64 v[0:1], v[0:1], s[18:19]
	v_add_f64 v[27:28], v[29:30], -v[33:34]
	v_fma_f64 v[19:20], v[17:18], v[19:20], s[0:1]
	v_fma_f64 v[4:5], v[21:22], v[4:5], v[21:22]
	v_cvt_i32_f64_e32 v21, v[23:24]
	v_cmp_neq_f64_e64 s0, 0, v[8:9]
	v_add_f64 v[11:12], v[11:12], v[25:26]
	v_add_f64 v[0:1], v[0:1], -v[6:7]
	v_add_f64 v[15:16], v[15:16], -v[27:28]
	v_fma_f64 v[19:20], v[17:18], v[19:20], 1.0
	v_mul_f64 v[6:7], v[31:32], v[4:5]
	v_mul_f64 v[0:1], v[0:1], 0.5
	v_add_f64 v[11:12], v[11:12], v[15:16]
	v_fma_f64 v[15:16], v[17:18], v[19:20], 1.0
	v_fma_f64 v[17:18], -v[37:38], v[6:7], v[31:32]
	v_mul_f64 v[0:1], v[2:3], v[0:1]
	v_add_f64 v[11:12], v[29:30], v[11:12]
	v_ldexp_f64 v[15:16], v[15:16], v21
	v_div_fmas_f64 v[4:5], v[17:18], v[4:5], v[6:7]
	v_cmp_neq_f64_e32 vcc_lo, 0x7ff00000, v[8:9]
	v_mul_f64 v[0:1], v[15:16], v[0:1]
	v_div_fixup_f64 v[2:3], v[4:5], v[2:3], v[13:14]
	v_cndmask_b32_e32 v6, 0x7ff00000, v12, vcc_lo
	s_and_b32 vcc_lo, s0, vcc_lo
	v_cndmask_b32_e32 v4, 0, v11, vcc_lo
	v_cndmask_b32_e64 v5, 0xfff00000, v6, s0
	v_fma_f64 v[0:1], v[4:5], v[0:1], v[2:3]
                                        ; implicit-def: $vgpr2_vgpr3
.LBB8_939:
	s_andn2_saveexec_b32 s1, s17
	s_cbranch_execz .LBB8_941
; %bb.940:
	v_div_scale_f64 v[0:1], null, v[2:3], v[2:3], 0x40200000
	v_div_scale_f64 v[8:9], vcc_lo, 0x40200000, v[2:3], 0x40200000
	s_mov_b32 s18, 0x838f5ed3
	s_mov_b32 s19, 0x3c74af1a
	;; [unrolled: 1-line block ×4, first 2 shown]
	v_cmp_nlt_f64_e64 s0, 0x4090cc00, v[2:3]
	v_rcp_f64_e32 v[4:5], v[0:1]
	v_fma_f64 v[6:7], -v[0:1], v[4:5], 1.0
	v_fma_f64 v[4:5], v[4:5], v[6:7], v[4:5]
	v_fma_f64 v[6:7], -v[0:1], v[4:5], 1.0
	v_fma_f64 v[4:5], v[4:5], v[6:7], v[4:5]
	v_mul_f64 v[6:7], v[8:9], v[4:5]
	v_fma_f64 v[0:1], -v[0:1], v[6:7], v[8:9]
	v_div_fmas_f64 v[0:1], v[0:1], v[4:5], v[6:7]
	v_cmp_gt_f64_e32 vcc_lo, 0x10000000, v[2:3]
	v_div_fixup_f64 v[0:1], v[0:1], v[2:3], 0x40200000
	v_cndmask_b32_e64 v15, 0, 0x100, vcc_lo
	v_ldexp_f64 v[15:16], v[2:3], v15
	v_add_f64 v[0:1], v[0:1], -2.0
	v_rsq_f64_e32 v[17:18], v[15:16]
	v_fma_f64 v[4:5], v[0:1], s[20:21], s[18:19]
	s_mov_b32 s21, 0x3c5a8c5d
	s_mov_b32 s18, 0x17771d52
	;; [unrolled: 1-line block ×3, first 2 shown]
	v_mul_f64 v[19:20], v[15:16], v[17:18]
	v_mul_f64 v[17:18], v[17:18], 0.5
	v_fma_f64 v[6:7], v[0:1], v[4:5], s[20:21]
	s_mov_b32 s20, 0x6a5dcb37
	s_mov_b32 s21, 0x3e5ade15
	v_fma_f64 v[21:22], -v[17:18], v[19:20], 0.5
	v_add_f64 v[6:7], v[6:7], s[18:19]
	s_mov_b32 s18, 0x44ee2c0b
	s_mov_b32 s19, 0x3caa7d5e
	v_fma_f64 v[19:20], v[19:20], v[21:22], v[19:20]
	v_fma_f64 v[17:18], v[17:18], v[21:22], v[17:18]
	v_fma_f64 v[4:5], v[0:1], v[6:7], -v[4:5]
	v_fma_f64 v[21:22], -v[19:20], v[19:20], v[15:16]
	v_add_f64 v[4:5], v[4:5], s[18:19]
	s_mov_b32 s18, 0xd8758ef2
	s_mov_b32 s19, 0xbcc5d2a3
	v_fma_f64 v[6:7], v[0:1], v[4:5], -v[6:7]
	v_add_f64 v[6:7], v[6:7], s[18:19]
	s_mov_b32 s18, 0xefee81bd
	s_mov_b32 s19, 0x3ce25ced
	v_fma_f64 v[4:5], v[0:1], v[6:7], -v[4:5]
	;; [unrolled: 4-line block ×14, first 2 shown]
	v_add_f64 v[4:5], v[4:5], s[18:19]
	s_mov_b32 s18, 0x652b82fe
	s_mov_b32 s19, 0xbff71547
	v_mul_f64 v[8:9], v[2:3], s[18:19]
	s_mov_b32 s18, 0x8fada5c6
	s_mov_b32 s19, 0xbe978052
	v_fma_f64 v[6:7], v[0:1], v[4:5], -v[6:7]
	v_rndne_f64_e32 v[8:9], v[8:9]
	v_add_f64 v[6:7], v[6:7], s[18:19]
	s_mov_b32 s18, 0xfefa39ef
	s_mov_b32 s19, 0xbfe62e42
	v_fma_f64 v[11:12], v[8:9], s[18:19], -v[2:3]
	s_mov_b32 s18, 0x3b39803f
	s_mov_b32 s19, 0xbc7abc9e
	v_cndmask_b32_e64 v2, 0, 0xffffff80, vcc_lo
	v_cmp_class_f64_e64 vcc_lo, v[15:16], 0x260
	v_fma_f64 v[4:5], v[0:1], v[6:7], -v[4:5]
	v_fma_f64 v[11:12], v[8:9], s[18:19], v[11:12]
	s_mov_b32 s18, 0x1752d1b6
	s_mov_b32 s19, 0x3ec42fe3
	v_add_f64 v[4:5], v[4:5], s[18:19]
	s_mov_b32 s18, 0xfca7ab0c
	s_mov_b32 s19, 0x3e928af3
	v_fma_f64 v[13:14], v[11:12], s[20:21], s[18:19]
	s_mov_b32 s18, 0x623fde64
	s_mov_b32 s19, 0x3ec71dee
	v_fma_f64 v[6:7], v[0:1], v[4:5], -v[6:7]
	v_fma_f64 v[13:14], v[11:12], v[13:14], s[18:19]
	s_mov_b32 s18, 0x1dcdb2e5
	s_mov_b32 s19, 0xbef44d71
	v_add_f64 v[6:7], v[6:7], s[18:19]
	s_mov_b32 s18, 0x7c89e6b0
	s_mov_b32 s19, 0x3efa0199
	v_fma_f64 v[13:14], v[11:12], v[13:14], s[18:19]
	s_mov_b32 s18, 0x14761f6e
	s_mov_b32 s19, 0x3f2a01a0
	;; [unrolled: 10-line block ×5, first 2 shown]
	v_fma_f64 v[0:1], v[0:1], v[4:5], -v[6:7]
	v_fma_f64 v[4:5], v[21:22], v[17:18], v[19:20]
	v_cvt_i32_f64_e32 v21, v[8:9]
	v_fma_f64 v[13:14], v[11:12], v[13:14], 1.0
	v_add_f64 v[0:1], v[0:1], s[18:19]
	v_fma_f64 v[19:20], -v[4:5], v[4:5], v[15:16]
	v_fma_f64 v[8:9], v[11:12], v[13:14], 1.0
	v_add_f64 v[0:1], v[0:1], -v[6:7]
	v_fma_f64 v[4:5], v[19:20], v[17:18], v[4:5]
	v_ldexp_f64 v[6:7], v[8:9], v21
	v_mul_f64 v[0:1], v[0:1], 0.5
	v_ldexp_f64 v[2:3], v[4:5], v2
	v_cndmask_b32_e64 v5, 0, v7, s0
	v_cndmask_b32_e64 v4, 0, v6, s0
	v_mul_f64 v[0:1], v[4:5], v[0:1]
	v_cndmask_b32_e32 v3, v3, v16, vcc_lo
	v_cndmask_b32_e32 v2, v2, v15, vcc_lo
	v_div_scale_f64 v[4:5], null, v[2:3], v[2:3], v[0:1]
	v_rcp_f64_e32 v[6:7], v[4:5]
	v_fma_f64 v[8:9], -v[4:5], v[6:7], 1.0
	v_fma_f64 v[6:7], v[6:7], v[8:9], v[6:7]
	v_fma_f64 v[8:9], -v[4:5], v[6:7], 1.0
	v_fma_f64 v[6:7], v[6:7], v[8:9], v[6:7]
	v_div_scale_f64 v[8:9], vcc_lo, v[0:1], v[2:3], v[0:1]
	v_mul_f64 v[11:12], v[8:9], v[6:7]
	v_fma_f64 v[4:5], -v[4:5], v[11:12], v[8:9]
	v_div_fmas_f64 v[4:5], v[4:5], v[6:7], v[11:12]
	v_div_fixup_f64 v[0:1], v[4:5], v[2:3], v[0:1]
.LBB8_941:
	s_or_b32 exec_lo, exec_lo, s1
.LBB8_942:
	s_or_b32 exec_lo, exec_lo, s16
.LBB8_943:
	s_or_b32 exec_lo, exec_lo, s15
	v_mul_lo_u32 v2, v10, s2
	s_and_b32 s1, s4, 0xff
	s_cmp_lt_i32 s1, 11
	v_ashrrev_i32_e32 v3, 31, v2
	v_add_co_u32 v4, vcc_lo, s8, v2
	v_add_co_ci_u32_e64 v5, null, s9, v3, vcc_lo
	s_cbranch_scc1 .LBB8_953
; %bb.944:
	s_and_b32 s15, 0xffff, s1
	s_mov_b32 s16, -1
	s_cmp_gt_i32 s15, 25
	s_mov_b32 s0, s12
	s_cbranch_scc0 .LBB8_981
; %bb.945:
	s_cmp_gt_i32 s15, 28
	s_mov_b32 s0, s12
	s_cbranch_scc0 .LBB8_965
; %bb.946:
	;; [unrolled: 4-line block ×4, first 2 shown]
	s_cmp_eq_u32 s15, 46
	s_mov_b32 s0, -1
	s_cbranch_scc0 .LBB8_954
; %bb.949:
	v_cvt_f32_f64_e32 v2, v[0:1]
	s_mov_b32 s0, 0
	s_mov_b32 s16, 0
	v_bfe_u32 v3, v2, 16, 1
	v_cmp_o_f32_e32 vcc_lo, v2, v2
	v_add3_u32 v2, v2, v3, 0x7fff
	v_mov_b32_e32 v3, 0x7fc0
	v_cndmask_b32_sdwa v2, v3, v2, vcc_lo dst_sel:DWORD dst_unused:UNUSED_PAD src0_sel:DWORD src1_sel:WORD_1
	global_store_dword v[4:5], v2, off
	s_branch .LBB8_955
.LBB8_950:
	s_or_b32 exec_lo, exec_lo, s14
	s_and_saveexec_b32 s0, s12
	s_cbranch_execnz .LBB8_1023
.LBB8_951:
	s_or_b32 exec_lo, exec_lo, s0
	s_and_saveexec_b32 s0, s16
	s_xor_b32 s0, exec_lo, s0
	s_cbranch_execz .LBB8_1024
.LBB8_952:
	v_cmp_neq_f64_e32 vcc_lo, 0, v[0:1]
	s_waitcnt vmcnt(0)
	v_cndmask_b32_e64 v2, 0, 1, vcc_lo
	global_store_byte v[4:5], v2, off
	s_or_b32 exec_lo, exec_lo, s0
	s_and_saveexec_b32 s0, s15
	s_xor_b32 s0, exec_lo, s0
	s_cbranch_execz .LBB8_1062
	s_branch .LBB8_1025
.LBB8_953:
	s_mov_b32 s17, 0
	s_mov_b32 s16, -1
	s_mov_b32 s0, s12
	s_branch .LBB8_1022
.LBB8_954:
	s_mov_b32 s16, 0
.LBB8_955:
	s_and_b32 vcc_lo, exec_lo, s16
	s_cbranch_vccz .LBB8_960
; %bb.956:
	s_cmp_eq_u32 s15, 44
	s_mov_b32 s0, -1
	s_cbranch_scc0 .LBB8_960
; %bb.957:
	v_cvt_f32_f64_e32 v2, v[0:1]
	v_mov_b32_e32 v3, 0xff
	s_mov_b32 s16, exec_lo
	v_bfe_u32 v6, v2, 23, 8
	v_cmpx_ne_u32_e32 0xff, v6
	s_cbranch_execz .LBB8_959
; %bb.958:
	v_and_b32_e32 v3, 0x400000, v2
	v_and_or_b32 v6, 0x3fffff, v2, v6
	v_lshrrev_b32_e32 v2, 23, v2
	v_cmp_ne_u32_e32 vcc_lo, 0, v3
	v_cmp_ne_u32_e64 s0, 0, v6
	s_and_b32 s0, vcc_lo, s0
	v_cndmask_b32_e64 v3, 0, 1, s0
	v_add_nc_u32_e32 v3, v2, v3
.LBB8_959:
	s_or_b32 exec_lo, exec_lo, s16
	s_mov_b32 s0, 0
	global_store_byte v[4:5], v3, off
.LBB8_960:
	s_mov_b32 s16, 0
.LBB8_961:
	s_and_b32 vcc_lo, exec_lo, s16
	s_cbranch_vccz .LBB8_964
; %bb.962:
	s_cmp_eq_u32 s15, 29
	s_mov_b32 s0, -1
	s_cbranch_scc0 .LBB8_964
; %bb.963:
	v_trunc_f64_e32 v[2:3], v[0:1]
	s_mov_b32 s0, 0
	s_mov_b32 s16, 0
	v_ldexp_f64 v[6:7], v[2:3], 0xffffffe0
	v_floor_f64_e32 v[6:7], v[6:7]
	v_fma_f64 v[2:3], 0xc1f00000, v[6:7], v[2:3]
	v_cvt_u32_f64_e32 v7, v[6:7]
	v_cvt_u32_f64_e32 v6, v[2:3]
	global_store_dwordx2 v[4:5], v[6:7], off
	s_branch .LBB8_965
.LBB8_964:
	s_mov_b32 s16, 0
.LBB8_965:
	s_and_b32 vcc_lo, exec_lo, s16
	s_cbranch_vccz .LBB8_980
; %bb.966:
	s_cmp_lt_i32 s15, 27
	s_mov_b32 s16, -1
	s_cbranch_scc1 .LBB8_972
; %bb.967:
	v_cvt_u32_f64_e32 v2, v[0:1]
	s_cmp_gt_i32 s15, 27
	s_cbranch_scc0 .LBB8_969
; %bb.968:
	s_mov_b32 s16, 0
	global_store_dword v[4:5], v2, off
.LBB8_969:
	s_andn2_b32 vcc_lo, exec_lo, s16
	s_cbranch_vccnz .LBB8_971
; %bb.970:
	global_store_short v[4:5], v2, off
.LBB8_971:
	s_mov_b32 s16, 0
.LBB8_972:
	s_andn2_b32 vcc_lo, exec_lo, s16
	s_cbranch_vccnz .LBB8_980
; %bb.973:
	v_cvt_f32_f64_e32 v2, v[0:1]
	v_mov_b32_e32 v6, 0x80
	s_mov_b32 s16, exec_lo
	v_and_b32_e32 v3, 0x7fffffff, v2
	v_cmpx_gt_u32_e32 0x43800000, v3
	s_cbranch_execz .LBB8_979
; %bb.974:
	v_cmp_lt_u32_e32 vcc_lo, 0x3bffffff, v3
	s_mov_b32 s17, 0
                                        ; implicit-def: $vgpr3
	s_and_saveexec_b32 s18, vcc_lo
	s_xor_b32 s18, exec_lo, s18
	s_cbranch_execz .LBB8_1077
; %bb.975:
	v_bfe_u32 v3, v2, 20, 1
	s_mov_b32 s17, exec_lo
	v_add3_u32 v3, v2, v3, 0x487ffff
	v_lshrrev_b32_e32 v3, 20, v3
	s_andn2_saveexec_b32 s18, s18
	s_cbranch_execnz .LBB8_1078
.LBB8_976:
	s_or_b32 exec_lo, exec_lo, s18
	v_mov_b32_e32 v6, 0
	s_and_saveexec_b32 s18, s17
.LBB8_977:
	v_lshrrev_b32_e32 v2, 24, v2
	v_and_or_b32 v6, 0x80, v2, v3
.LBB8_978:
	s_or_b32 exec_lo, exec_lo, s18
.LBB8_979:
	s_or_b32 exec_lo, exec_lo, s16
	global_store_byte v[4:5], v6, off
.LBB8_980:
	s_mov_b32 s16, 0
.LBB8_981:
	s_and_b32 vcc_lo, exec_lo, s16
	s_mov_b32 s16, 0
	s_cbranch_vccz .LBB8_1021
; %bb.982:
	s_cmp_gt_i32 s15, 22
	s_mov_b32 s17, -1
	s_cbranch_scc0 .LBB8_1014
; %bb.983:
	s_cmp_lt_i32 s15, 24
	s_cbranch_scc1 .LBB8_1003
; %bb.984:
	s_cmp_gt_i32 s15, 24
	s_cbranch_scc0 .LBB8_992
; %bb.985:
	v_cvt_f32_f64_e32 v2, v[0:1]
	v_mov_b32_e32 v6, 0x80
	s_mov_b32 s17, exec_lo
	v_and_b32_e32 v3, 0x7fffffff, v2
	v_cmpx_gt_u32_e32 0x47800000, v3
	s_cbranch_execz .LBB8_991
; %bb.986:
	v_cmp_lt_u32_e32 vcc_lo, 0x37ffffff, v3
	s_mov_b32 s18, 0
                                        ; implicit-def: $vgpr3
	s_and_saveexec_b32 s19, vcc_lo
	s_xor_b32 s19, exec_lo, s19
	s_cbranch_execz .LBB8_1211
; %bb.987:
	v_bfe_u32 v3, v2, 21, 1
	s_mov_b32 s18, exec_lo
	v_add3_u32 v3, v2, v3, 0x88fffff
	v_lshrrev_b32_e32 v3, 21, v3
	s_andn2_saveexec_b32 s19, s19
	s_cbranch_execnz .LBB8_1212
.LBB8_988:
	s_or_b32 exec_lo, exec_lo, s19
	v_mov_b32_e32 v6, 0
	s_and_saveexec_b32 s19, s18
.LBB8_989:
	v_lshrrev_b32_e32 v2, 24, v2
	v_and_or_b32 v6, 0x80, v2, v3
.LBB8_990:
	s_or_b32 exec_lo, exec_lo, s19
.LBB8_991:
	s_or_b32 exec_lo, exec_lo, s17
	s_mov_b32 s17, 0
	global_store_byte v[4:5], v6, off
.LBB8_992:
	s_and_b32 vcc_lo, exec_lo, s17
	s_cbranch_vccz .LBB8_1002
; %bb.993:
	v_cvt_f32_f64_e32 v2, v[0:1]
	s_mov_b32 s17, exec_lo
                                        ; implicit-def: $vgpr3
	v_and_b32_e32 v6, 0x7fffffff, v2
	v_cmpx_gt_u32_e32 0x43f00000, v6
	s_xor_b32 s17, exec_lo, s17
	s_cbranch_execz .LBB8_999
; %bb.994:
	s_mov_b32 s18, exec_lo
                                        ; implicit-def: $vgpr3
	v_cmpx_lt_u32_e32 0x3c7fffff, v6
	s_xor_b32 s18, exec_lo, s18
; %bb.995:
	v_bfe_u32 v3, v2, 20, 1
	v_add3_u32 v3, v2, v3, 0x407ffff
	v_and_b32_e32 v6, 0xff00000, v3
	v_lshrrev_b32_e32 v3, 20, v3
	v_cmp_ne_u32_e32 vcc_lo, 0x7f00000, v6
	v_cndmask_b32_e32 v3, 0x7e, v3, vcc_lo
; %bb.996:
	s_andn2_saveexec_b32 s18, s18
; %bb.997:
	v_add_f32_e64 v3, 0x46800000, |v2|
; %bb.998:
	s_or_b32 exec_lo, exec_lo, s18
                                        ; implicit-def: $vgpr6
.LBB8_999:
	s_andn2_saveexec_b32 s17, s17
; %bb.1000:
	v_mov_b32_e32 v3, 0x7f
	v_cmp_lt_u32_e32 vcc_lo, 0x7f800000, v6
	v_cndmask_b32_e32 v3, 0x7e, v3, vcc_lo
; %bb.1001:
	s_or_b32 exec_lo, exec_lo, s17
	v_lshrrev_b32_e32 v2, 24, v2
	v_and_or_b32 v2, 0x80, v2, v3
	global_store_byte v[4:5], v2, off
.LBB8_1002:
	s_mov_b32 s17, 0
.LBB8_1003:
	s_andn2_b32 vcc_lo, exec_lo, s17
	s_cbranch_vccnz .LBB8_1013
; %bb.1004:
	v_cvt_f32_f64_e32 v2, v[0:1]
	s_mov_b32 s17, exec_lo
                                        ; implicit-def: $vgpr3
	v_and_b32_e32 v6, 0x7fffffff, v2
	v_cmpx_gt_u32_e32 0x47800000, v6
	s_xor_b32 s17, exec_lo, s17
	s_cbranch_execz .LBB8_1010
; %bb.1005:
	s_mov_b32 s18, exec_lo
                                        ; implicit-def: $vgpr3
	v_cmpx_lt_u32_e32 0x387fffff, v6
	s_xor_b32 s18, exec_lo, s18
; %bb.1006:
	v_bfe_u32 v3, v2, 21, 1
	v_add3_u32 v3, v2, v3, 0x80fffff
	v_lshrrev_b32_e32 v3, 21, v3
; %bb.1007:
	s_andn2_saveexec_b32 s18, s18
; %bb.1008:
	v_add_f32_e64 v3, 0x43000000, |v2|
; %bb.1009:
	s_or_b32 exec_lo, exec_lo, s18
                                        ; implicit-def: $vgpr6
.LBB8_1010:
	s_andn2_saveexec_b32 s17, s17
; %bb.1011:
	v_mov_b32_e32 v3, 0x7f
	v_cmp_lt_u32_e32 vcc_lo, 0x7f800000, v6
	v_cndmask_b32_e32 v3, 0x7c, v3, vcc_lo
; %bb.1012:
	s_or_b32 exec_lo, exec_lo, s17
	v_lshrrev_b32_e32 v2, 24, v2
	v_and_or_b32 v2, 0x80, v2, v3
	global_store_byte v[4:5], v2, off
.LBB8_1013:
	s_mov_b32 s17, 0
.LBB8_1014:
	s_andn2_b32 vcc_lo, exec_lo, s17
	s_mov_b32 s17, 0
	s_cbranch_vccnz .LBB8_1022
; %bb.1015:
	s_cmp_gt_i32 s15, 14
	s_mov_b32 s17, -1
	s_cbranch_scc0 .LBB8_1019
; %bb.1016:
	s_cmp_eq_u32 s15, 15
	s_mov_b32 s0, -1
	s_cbranch_scc0 .LBB8_1018
; %bb.1017:
	v_cvt_f32_f64_e32 v2, v[0:1]
	s_mov_b32 s0, 0
	v_bfe_u32 v3, v2, 16, 1
	v_cmp_o_f32_e32 vcc_lo, v2, v2
	v_add3_u32 v2, v2, v3, 0x7fff
	v_mov_b32_e32 v3, 0x7fc0
	v_cndmask_b32_sdwa v2, v3, v2, vcc_lo dst_sel:DWORD dst_unused:UNUSED_PAD src0_sel:DWORD src1_sel:WORD_1
	global_store_short v[4:5], v2, off
.LBB8_1018:
	s_mov_b32 s17, 0
.LBB8_1019:
	s_and_b32 vcc_lo, exec_lo, s17
	s_mov_b32 s17, 0
	s_cbranch_vccz .LBB8_1022
; %bb.1020:
	s_cmp_lg_u32 s15, 11
	s_mov_b32 s17, -1
	s_cselect_b32 s15, -1, 0
	s_andn2_b32 s0, s0, exec_lo
	s_and_b32 s15, s15, exec_lo
	s_or_b32 s0, s0, s15
	s_branch .LBB8_1022
.LBB8_1021:
	s_mov_b32 s17, 0
.LBB8_1022:
	s_andn2_b32 s12, s12, exec_lo
	s_and_b32 s0, s0, exec_lo
	s_and_b32 s15, s16, exec_lo
	;; [unrolled: 1-line block ×3, first 2 shown]
	s_or_b32 s12, s12, s0
	s_or_b32 exec_lo, exec_lo, s14
	s_and_saveexec_b32 s0, s12
	s_cbranch_execz .LBB8_951
.LBB8_1023:
	s_or_b32 s13, s13, exec_lo
	s_andn2_b32 s16, s16, exec_lo
	s_trap 2
	s_or_b32 exec_lo, exec_lo, s0
	s_and_saveexec_b32 s0, s16
	s_xor_b32 s0, exec_lo, s0
	s_cbranch_execnz .LBB8_952
.LBB8_1024:
	s_or_b32 exec_lo, exec_lo, s0
	s_and_saveexec_b32 s0, s15
	s_xor_b32 s0, exec_lo, s0
	s_cbranch_execz .LBB8_1062
.LBB8_1025:
	s_sext_i32_i16 s14, s1
	s_mov_b32 s12, -1
	s_cmp_lt_i32 s14, 5
	s_cbranch_scc1 .LBB8_1046
; %bb.1026:
	s_cmp_lt_i32 s14, 8
	s_cbranch_scc1 .LBB8_1036
; %bb.1027:
	;; [unrolled: 3-line block ×3, first 2 shown]
	s_cmp_gt_i32 s14, 9
	s_cbranch_scc0 .LBB8_1030
; %bb.1029:
	s_waitcnt vmcnt(0)
	v_mov_b32_e32 v2, 0
	s_mov_b32 s12, 0
	v_mov_b32_e32 v3, v2
	global_store_dwordx4 v[4:5], v[0:3], off
.LBB8_1030:
	s_andn2_b32 vcc_lo, exec_lo, s12
	s_cbranch_vccnz .LBB8_1032
; %bb.1031:
	s_waitcnt vmcnt(0)
	v_cvt_f32_f64_e32 v2, v[0:1]
	v_mov_b32_e32 v3, 0
	global_store_dwordx2 v[4:5], v[2:3], off
.LBB8_1032:
	s_mov_b32 s12, 0
.LBB8_1033:
	s_andn2_b32 vcc_lo, exec_lo, s12
	s_cbranch_vccnz .LBB8_1035
; %bb.1034:
	s_waitcnt vmcnt(0)
	v_and_or_b32 v2, 0x1ff, v1, v0
	v_lshrrev_b32_e32 v3, 8, v1
	v_bfe_u32 v6, v1, 20, 11
	v_cmp_ne_u32_e32 vcc_lo, 0, v2
	v_sub_nc_u32_e32 v7, 0x3f1, v6
	v_add_nc_u32_e32 v6, 0xfffffc10, v6
	v_cndmask_b32_e64 v2, 0, 1, vcc_lo
	v_and_or_b32 v2, 0xffe, v3, v2
	v_med3_i32 v3, v7, 0, 13
	v_or_b32_e32 v7, 0x1000, v2
	v_lshrrev_b32_e32 v8, v3, v7
	v_lshlrev_b32_e32 v3, v3, v8
	v_cmp_ne_u32_e32 vcc_lo, v3, v7
	v_lshl_or_b32 v7, v6, 12, v2
	v_cndmask_b32_e64 v3, 0, 1, vcc_lo
	v_cmp_gt_i32_e32 vcc_lo, 1, v6
	v_or_b32_e32 v3, v8, v3
	v_cndmask_b32_e32 v3, v7, v3, vcc_lo
	v_and_b32_e32 v7, 7, v3
	v_lshrrev_b32_e32 v3, 2, v3
	v_cmp_lt_i32_e32 vcc_lo, 5, v7
	v_cndmask_b32_e64 v8, 0, 1, vcc_lo
	v_cmp_eq_u32_e32 vcc_lo, 3, v7
	v_cndmask_b32_e64 v7, 0, 1, vcc_lo
	v_cmp_ne_u32_e32 vcc_lo, 0, v2
	v_or_b32_e32 v7, v7, v8
	v_mov_b32_e32 v8, 0x7e00
	v_add_nc_u32_e32 v3, v3, v7
	v_cndmask_b32_e32 v2, 0x7c00, v8, vcc_lo
	v_cmp_gt_i32_e32 vcc_lo, 31, v6
	v_cndmask_b32_e32 v3, 0x7c00, v3, vcc_lo
	v_cmp_eq_u32_e32 vcc_lo, 0x40f, v6
	v_cndmask_b32_e32 v2, v3, v2, vcc_lo
	v_lshrrev_b32_e32 v3, 16, v1
	v_and_or_b32 v2, 0x8000, v3, v2
	v_and_b32_e32 v2, 0xffff, v2
	global_store_dword v[4:5], v2, off
.LBB8_1035:
	s_mov_b32 s12, 0
.LBB8_1036:
	s_andn2_b32 vcc_lo, exec_lo, s12
	s_cbranch_vccnz .LBB8_1045
; %bb.1037:
	s_sext_i32_i16 s14, s1
	s_mov_b32 s12, -1
	s_cmp_lt_i32 s14, 6
	s_cbranch_scc1 .LBB8_1043
; %bb.1038:
	s_cmp_gt_i32 s14, 6
	s_cbranch_scc0 .LBB8_1040
; %bb.1039:
	s_mov_b32 s12, 0
	global_store_dwordx2 v[4:5], v[0:1], off
.LBB8_1040:
	s_andn2_b32 vcc_lo, exec_lo, s12
	s_cbranch_vccnz .LBB8_1042
; %bb.1041:
	s_waitcnt vmcnt(0)
	v_cvt_f32_f64_e32 v2, v[0:1]
	global_store_dword v[4:5], v2, off
.LBB8_1042:
	s_mov_b32 s12, 0
.LBB8_1043:
	s_andn2_b32 vcc_lo, exec_lo, s12
	s_cbranch_vccnz .LBB8_1045
; %bb.1044:
	s_waitcnt vmcnt(0)
	v_and_or_b32 v2, 0x1ff, v1, v0
	v_lshrrev_b32_e32 v3, 8, v1
	v_bfe_u32 v6, v1, 20, 11
	v_cmp_ne_u32_e32 vcc_lo, 0, v2
	v_sub_nc_u32_e32 v7, 0x3f1, v6
	v_add_nc_u32_e32 v6, 0xfffffc10, v6
	v_cndmask_b32_e64 v2, 0, 1, vcc_lo
	v_and_or_b32 v2, 0xffe, v3, v2
	v_med3_i32 v3, v7, 0, 13
	v_or_b32_e32 v7, 0x1000, v2
	v_lshrrev_b32_e32 v8, v3, v7
	v_lshlrev_b32_e32 v3, v3, v8
	v_cmp_ne_u32_e32 vcc_lo, v3, v7
	v_lshl_or_b32 v7, v6, 12, v2
	v_cndmask_b32_e64 v3, 0, 1, vcc_lo
	v_cmp_gt_i32_e32 vcc_lo, 1, v6
	v_or_b32_e32 v3, v8, v3
	v_cndmask_b32_e32 v3, v7, v3, vcc_lo
	v_and_b32_e32 v7, 7, v3
	v_lshrrev_b32_e32 v3, 2, v3
	v_cmp_lt_i32_e32 vcc_lo, 5, v7
	v_cndmask_b32_e64 v8, 0, 1, vcc_lo
	v_cmp_eq_u32_e32 vcc_lo, 3, v7
	v_cndmask_b32_e64 v7, 0, 1, vcc_lo
	v_cmp_ne_u32_e32 vcc_lo, 0, v2
	v_or_b32_e32 v7, v7, v8
	v_mov_b32_e32 v8, 0x7e00
	v_add_nc_u32_e32 v3, v3, v7
	v_cndmask_b32_e32 v2, 0x7c00, v8, vcc_lo
	v_cmp_gt_i32_e32 vcc_lo, 31, v6
	v_cndmask_b32_e32 v3, 0x7c00, v3, vcc_lo
	v_cmp_eq_u32_e32 vcc_lo, 0x40f, v6
	v_cndmask_b32_e32 v2, v3, v2, vcc_lo
	v_lshrrev_b32_e32 v3, 16, v1
	v_and_or_b32 v2, 0x8000, v3, v2
	global_store_short v[4:5], v2, off
.LBB8_1045:
	s_mov_b32 s12, 0
.LBB8_1046:
	s_andn2_b32 vcc_lo, exec_lo, s12
	s_cbranch_vccnz .LBB8_1062
; %bb.1047:
	s_sext_i32_i16 s14, s1
	s_mov_b32 s12, -1
	s_cmp_lt_i32 s14, 2
	s_cbranch_scc1 .LBB8_1057
; %bb.1048:
	s_cmp_lt_i32 s14, 3
	s_cbranch_scc1 .LBB8_1054
; %bb.1049:
	s_cmp_gt_i32 s14, 3
	s_cbranch_scc0 .LBB8_1051
; %bb.1050:
	s_waitcnt vmcnt(0)
	v_trunc_f64_e32 v[2:3], v[0:1]
	s_mov_b32 s12, 0
	v_ldexp_f64 v[6:7], v[2:3], 0xffffffe0
	v_floor_f64_e32 v[6:7], v[6:7]
	v_fma_f64 v[2:3], 0xc1f00000, v[6:7], v[2:3]
	v_cvt_i32_f64_e32 v7, v[6:7]
	v_cvt_u32_f64_e32 v6, v[2:3]
	global_store_dwordx2 v[4:5], v[6:7], off
.LBB8_1051:
	s_andn2_b32 vcc_lo, exec_lo, s12
	s_cbranch_vccnz .LBB8_1053
; %bb.1052:
	s_waitcnt vmcnt(0)
	v_cvt_i32_f64_e32 v2, v[0:1]
	global_store_dword v[4:5], v2, off
.LBB8_1053:
	s_mov_b32 s12, 0
.LBB8_1054:
	s_andn2_b32 vcc_lo, exec_lo, s12
	s_cbranch_vccnz .LBB8_1056
; %bb.1055:
	s_waitcnt vmcnt(0)
	v_cvt_i32_f64_e32 v2, v[0:1]
	global_store_short v[4:5], v2, off
.LBB8_1056:
	s_mov_b32 s12, 0
.LBB8_1057:
	s_andn2_b32 vcc_lo, exec_lo, s12
	s_cbranch_vccnz .LBB8_1062
; %bb.1058:
	s_sext_i32_i16 s1, s1
	s_cmp_gt_i32 s1, 0
	s_mov_b32 s1, -1
	s_cbranch_scc0 .LBB8_1060
; %bb.1059:
	s_waitcnt vmcnt(0)
	v_cvt_i32_f64_e32 v2, v[0:1]
	s_mov_b32 s1, 0
	global_store_byte v[4:5], v2, off
.LBB8_1060:
	s_andn2_b32 vcc_lo, exec_lo, s1
	s_cbranch_vccnz .LBB8_1062
; %bb.1061:
	v_trunc_f64_e32 v[0:1], v[0:1]
	s_waitcnt vmcnt(0)
	v_ldexp_f64 v[2:3], v[0:1], 0xffffffe0
	v_floor_f64_e32 v[2:3], v[2:3]
	v_fma_f64 v[0:1], 0xc1f00000, v[2:3], v[0:1]
	v_cvt_u32_f64_e32 v0, v[0:1]
	global_store_byte v[4:5], v0, off
.LBB8_1062:
	s_or_b32 exec_lo, exec_lo, s0
	s_and_b32 s12, s13, exec_lo
                                        ; implicit-def: $vgpr10
.LBB8_1063:
	s_or_saveexec_b32 s7, s7
	s_mov_b32 s0, 0
                                        ; implicit-def: $sgpr1
                                        ; implicit-def: $vgpr0_vgpr1
                                        ; implicit-def: $vgpr12_vgpr13
	s_xor_b32 exec_lo, exec_lo, s7
	s_cbranch_execz .LBB8_1692
; %bb.1064:
	v_mul_lo_u32 v4, s3, v10
	s_and_b32 s6, 0xffff, s6
	s_cmp_lt_i32 s6, 11
	v_ashrrev_i32_e32 v1, 31, v4
	v_add_co_u32 v0, vcc_lo, s10, v4
	v_add_co_ci_u32_e64 v1, null, s11, v1, vcc_lo
	s_cbranch_scc1 .LBB8_1071
; %bb.1065:
	s_cmp_gt_i32 s6, 25
	s_mov_b32 s1, 0
	s_cbranch_scc0 .LBB8_1073
; %bb.1066:
	s_cmp_gt_i32 s6, 28
	s_cbranch_scc0 .LBB8_1074
; %bb.1067:
	s_cmp_gt_i32 s6, 43
	;; [unrolled: 3-line block ×3, first 2 shown]
	s_cbranch_scc0 .LBB8_1076
; %bb.1069:
	s_cmp_eq_u32 s6, 46
	s_cbranch_scc0 .LBB8_1079
; %bb.1070:
	global_load_dword v2, v[0:1], off
	s_mov_b32 s13, -1
	s_waitcnt vmcnt(0)
	v_lshlrev_b32_e32 v2, 16, v2
	v_cvt_f64_f32_e32 v[2:3], v2
	s_branch .LBB8_1081
.LBB8_1071:
	s_mov_b32 s13, 0
	s_mov_b32 s5, s12
                                        ; implicit-def: $vgpr2_vgpr3
	s_cbranch_execnz .LBB8_1144
.LBB8_1072:
	s_andn2_b32 vcc_lo, exec_lo, s13
                                        ; implicit-def: $vgpr14_vgpr15
	s_cbranch_vccz .LBB8_1189
	s_branch .LBB8_1690
.LBB8_1073:
	s_mov_b32 s13, 0
                                        ; implicit-def: $vgpr2_vgpr3
	s_cbranch_execnz .LBB8_1111
	s_branch .LBB8_1140
.LBB8_1074:
	s_mov_b32 s5, -1
	s_mov_b32 s13, 0
                                        ; implicit-def: $vgpr2_vgpr3
	s_branch .LBB8_1090
.LBB8_1075:
	s_mov_b32 s13, 0
                                        ; implicit-def: $vgpr2_vgpr3
	s_cbranch_execnz .LBB8_1086
	s_branch .LBB8_1089
.LBB8_1076:
	s_mov_b32 s5, -1
	s_branch .LBB8_1080
.LBB8_1077:
	s_andn2_saveexec_b32 s18, s18
	s_cbranch_execz .LBB8_976
.LBB8_1078:
	v_add_f32_e64 v3, 0x46000000, |v2|
	s_andn2_b32 s17, s17, exec_lo
	v_and_b32_e32 v3, 0xff, v3
	v_cmp_ne_u32_e32 vcc_lo, 0, v3
	s_and_b32 s19, vcc_lo, exec_lo
	s_or_b32 s17, s17, s19
	s_or_b32 exec_lo, exec_lo, s18
	v_mov_b32_e32 v6, 0
	s_and_saveexec_b32 s18, s17
	s_cbranch_execnz .LBB8_977
	s_branch .LBB8_978
.LBB8_1079:
	s_mov_b32 s0, -1
.LBB8_1080:
	s_mov_b32 s13, 0
                                        ; implicit-def: $vgpr2_vgpr3
.LBB8_1081:
	s_and_b32 vcc_lo, exec_lo, s5
	s_cbranch_vccz .LBB8_1084
; %bb.1082:
	s_cmp_eq_u32 s6, 44
	s_cbranch_scc0 .LBB8_1085
; %bb.1083:
	global_load_ubyte v5, v[0:1], off
	s_mov_b32 s0, 0
	s_mov_b32 s13, -1
	s_waitcnt vmcnt(0)
	v_lshlrev_b32_e32 v2, 23, v5
	v_cmp_ne_u32_e32 vcc_lo, 0xff, v5
	v_cvt_f64_f32_e32 v[2:3], v2
	v_cndmask_b32_e32 v2, 0x20000000, v2, vcc_lo
	v_cndmask_b32_e32 v3, 0x7ff80000, v3, vcc_lo
	v_cmp_ne_u32_e32 vcc_lo, 0, v5
	v_cndmask_b32_e32 v3, 0x38000000, v3, vcc_lo
	v_cndmask_b32_e32 v2, 0, v2, vcc_lo
.LBB8_1084:
	s_branch .LBB8_1089
.LBB8_1085:
	s_mov_b32 s0, -1
                                        ; implicit-def: $vgpr2_vgpr3
	s_branch .LBB8_1089
.LBB8_1086:
	s_cmp_eq_u32 s6, 29
	s_cbranch_scc0 .LBB8_1088
; %bb.1087:
	global_load_dwordx2 v[2:3], v[0:1], off
	s_mov_b32 s0, 0
	s_mov_b32 s13, -1
	s_mov_b32 s5, 0
	s_waitcnt vmcnt(0)
	v_cvt_f64_u32_e32 v[5:6], v3
	v_cvt_f64_u32_e32 v[2:3], v2
	v_ldexp_f64 v[5:6], v[5:6], 32
	v_add_f64 v[2:3], v[5:6], v[2:3]
	s_branch .LBB8_1090
.LBB8_1088:
	s_mov_b32 s0, -1
                                        ; implicit-def: $vgpr2_vgpr3
.LBB8_1089:
	s_mov_b32 s5, 0
.LBB8_1090:
	s_and_b32 vcc_lo, exec_lo, s5
	s_cbranch_vccz .LBB8_1110
; %bb.1091:
	s_cmp_lt_i32 s6, 27
	s_cbranch_scc1 .LBB8_1094
; %bb.1092:
	s_cmp_gt_i32 s6, 27
	s_cbranch_scc0 .LBB8_1095
; %bb.1093:
	global_load_dword v2, v[0:1], off
	s_mov_b32 s5, 0
	s_waitcnt vmcnt(0)
	v_cvt_f64_u32_e32 v[2:3], v2
	s_branch .LBB8_1096
.LBB8_1094:
	s_mov_b32 s5, -1
                                        ; implicit-def: $vgpr2_vgpr3
	s_branch .LBB8_1099
.LBB8_1095:
	s_mov_b32 s5, -1
                                        ; implicit-def: $vgpr2_vgpr3
.LBB8_1096:
	s_andn2_b32 vcc_lo, exec_lo, s5
	s_cbranch_vccnz .LBB8_1098
; %bb.1097:
	global_load_ushort v2, v[0:1], off
	s_waitcnt vmcnt(0)
	v_cvt_f64_u32_e32 v[2:3], v2
.LBB8_1098:
	s_mov_b32 s5, 0
.LBB8_1099:
	s_andn2_b32 vcc_lo, exec_lo, s5
	s_cbranch_vccnz .LBB8_1109
; %bb.1100:
	global_load_ubyte v5, v[0:1], off
	s_mov_b32 s5, 0
	s_mov_b32 s13, exec_lo
	s_waitcnt vmcnt(0)
	v_cmpx_lt_i16_e32 0x7f, v5
	s_xor_b32 s13, exec_lo, s13
	s_cbranch_execz .LBB8_1104
; %bb.1101:
	s_mov_b32 s5, -1
	s_mov_b32 s14, exec_lo
	v_cmpx_eq_u16_e32 0x80, v5
; %bb.1102:
	s_xor_b32 s5, exec_lo, -1
; %bb.1103:
	s_or_b32 exec_lo, exec_lo, s14
	s_and_b32 s5, s5, exec_lo
.LBB8_1104:
	s_or_saveexec_b32 s13, s13
	v_bfrev_b32_e32 v2, 4
	v_mov_b32_e32 v3, 0x7ff80000
	s_xor_b32 exec_lo, exec_lo, s13
; %bb.1105:
	v_cmp_ne_u16_e32 vcc_lo, 0, v5
	v_mov_b32_e32 v2, 0
	v_mov_b32_e32 v3, 0
	s_andn2_b32 s5, s5, exec_lo
	s_and_b32 s14, vcc_lo, exec_lo
	s_or_b32 s5, s5, s14
; %bb.1106:
	s_or_b32 exec_lo, exec_lo, s13
	s_and_saveexec_b32 s13, s5
	s_cbranch_execz .LBB8_1108
; %bb.1107:
	v_and_b32_e32 v2, 0xffff, v5
	v_lshlrev_b32_e32 v5, 24, v5
	v_and_b32_e32 v3, 7, v2
	v_bfe_u32 v8, v2, 3, 4
	v_ffbh_u32_e32 v6, v3
	v_cmp_eq_u32_e32 vcc_lo, 0, v8
	v_min_u32_e32 v6, 32, v6
	v_subrev_nc_u32_e32 v7, 28, v6
	v_sub_nc_u32_e32 v6, 29, v6
	v_lshlrev_b32_e32 v2, v7, v2
	v_cndmask_b32_e32 v6, v8, v6, vcc_lo
	v_and_b32_e32 v2, 7, v2
	v_cndmask_b32_e32 v2, v3, v2, vcc_lo
	v_and_b32_e32 v3, 0x80000000, v5
	v_lshl_add_u32 v5, v6, 23, 0x3b800000
	v_lshlrev_b32_e32 v2, 20, v2
	v_or3_b32 v2, v3, v5, v2
	v_cvt_f64_f32_e32 v[2:3], v2
.LBB8_1108:
	s_or_b32 exec_lo, exec_lo, s13
.LBB8_1109:
	s_mov_b32 s13, -1
.LBB8_1110:
	s_branch .LBB8_1140
.LBB8_1111:
	s_cmp_gt_i32 s6, 22
	s_cbranch_scc0 .LBB8_1123
; %bb.1112:
	s_cmp_lt_i32 s6, 24
	s_cbranch_scc1 .LBB8_1124
; %bb.1113:
	s_cmp_gt_i32 s6, 24
	s_cbranch_scc0 .LBB8_1125
; %bb.1114:
	global_load_ubyte v5, v[0:1], off
	s_mov_b32 s5, exec_lo
	s_waitcnt vmcnt(0)
	v_cmpx_lt_i16_e32 0x7f, v5
	s_xor_b32 s5, exec_lo, s5
	s_cbranch_execz .LBB8_1118
; %bb.1115:
	s_mov_b32 s1, -1
	s_mov_b32 s13, exec_lo
	v_cmpx_eq_u16_e32 0x80, v5
; %bb.1116:
	s_xor_b32 s1, exec_lo, -1
; %bb.1117:
	s_or_b32 exec_lo, exec_lo, s13
	s_and_b32 s1, s1, exec_lo
.LBB8_1118:
	s_or_saveexec_b32 s5, s5
	v_bfrev_b32_e32 v2, 4
	v_mov_b32_e32 v3, 0x7ff80000
	s_xor_b32 exec_lo, exec_lo, s5
; %bb.1119:
	v_cmp_ne_u16_e32 vcc_lo, 0, v5
	v_mov_b32_e32 v2, 0
	v_mov_b32_e32 v3, 0
	s_andn2_b32 s1, s1, exec_lo
	s_and_b32 s13, vcc_lo, exec_lo
	s_or_b32 s1, s1, s13
; %bb.1120:
	s_or_b32 exec_lo, exec_lo, s5
	s_and_saveexec_b32 s5, s1
	s_cbranch_execz .LBB8_1122
; %bb.1121:
	v_and_b32_e32 v2, 0xffff, v5
	v_lshlrev_b32_e32 v5, 24, v5
	v_and_b32_e32 v3, 3, v2
	v_bfe_u32 v8, v2, 2, 5
	v_ffbh_u32_e32 v6, v3
	v_cmp_eq_u32_e32 vcc_lo, 0, v8
	v_min_u32_e32 v6, 32, v6
	v_subrev_nc_u32_e32 v7, 29, v6
	v_sub_nc_u32_e32 v6, 30, v6
	v_lshlrev_b32_e32 v2, v7, v2
	v_cndmask_b32_e32 v6, v8, v6, vcc_lo
	v_and_b32_e32 v2, 3, v2
	v_cndmask_b32_e32 v2, v3, v2, vcc_lo
	v_and_b32_e32 v3, 0x80000000, v5
	v_lshl_add_u32 v5, v6, 23, 0x37800000
	v_lshlrev_b32_e32 v2, 21, v2
	v_or3_b32 v2, v3, v5, v2
	v_cvt_f64_f32_e32 v[2:3], v2
.LBB8_1122:
	s_or_b32 exec_lo, exec_lo, s5
	s_mov_b32 s1, 0
	s_branch .LBB8_1126
.LBB8_1123:
                                        ; implicit-def: $vgpr2_vgpr3
	s_mov_b32 s1, 0
	s_branch .LBB8_1132
.LBB8_1124:
	s_mov_b32 s1, -1
                                        ; implicit-def: $vgpr2_vgpr3
	s_branch .LBB8_1129
.LBB8_1125:
	s_mov_b32 s1, -1
                                        ; implicit-def: $vgpr2_vgpr3
.LBB8_1126:
	s_and_b32 vcc_lo, exec_lo, s1
	s_cbranch_vccz .LBB8_1128
; %bb.1127:
	global_load_ubyte v2, v[0:1], off
	s_waitcnt vmcnt(0)
	v_lshlrev_b32_e32 v2, 24, v2
	v_and_b32_e32 v3, 0x7f000000, v2
	v_ffbh_u32_e32 v5, v3
	v_add_nc_u32_e32 v7, 0x1000000, v3
	v_cmp_ne_u32_e32 vcc_lo, 0, v3
	v_min_u32_e32 v5, 32, v5
	v_sub_nc_u32_e64 v5, v5, 4 clamp
	v_lshlrev_b32_e32 v6, v5, v3
	v_lshlrev_b32_e32 v5, 23, v5
	v_lshrrev_b32_e32 v6, 4, v6
	v_sub_nc_u32_e32 v5, v6, v5
	v_ashrrev_i32_e32 v6, 8, v7
	v_add_nc_u32_e32 v5, 0x3c000000, v5
	v_and_or_b32 v5, 0x7f800000, v6, v5
	v_cndmask_b32_e32 v3, 0, v5, vcc_lo
	v_and_or_b32 v2, 0x80000000, v2, v3
	v_cvt_f64_f32_e32 v[2:3], v2
.LBB8_1128:
	s_mov_b32 s1, 0
.LBB8_1129:
	s_andn2_b32 vcc_lo, exec_lo, s1
	s_cbranch_vccnz .LBB8_1131
; %bb.1130:
	global_load_ubyte v2, v[0:1], off
	s_waitcnt vmcnt(0)
	v_lshlrev_b32_e32 v3, 25, v2
	v_lshlrev_b16 v2, 8, v2
	v_lshrrev_b32_e32 v5, 4, v3
	v_and_or_b32 v6, 0x7f00, v2, 0.5
	v_cmp_gt_u32_e32 vcc_lo, 0x8000000, v3
	v_bfe_i32 v2, v2, 0, 16
	v_or_b32_e32 v5, 0x70000000, v5
	v_add_f32_e32 v6, -0.5, v6
	v_mul_f32_e32 v5, 0x7800000, v5
	v_cndmask_b32_e32 v3, v5, v6, vcc_lo
	v_and_or_b32 v2, 0x80000000, v2, v3
	v_cvt_f64_f32_e32 v[2:3], v2
.LBB8_1131:
	s_mov_b32 s13, -1
	s_mov_b32 s1, 0
	s_cbranch_execnz .LBB8_1140
.LBB8_1132:
	s_cmp_gt_i32 s6, 14
	s_cbranch_scc0 .LBB8_1135
; %bb.1133:
	s_cmp_eq_u32 s6, 15
	s_cbranch_scc0 .LBB8_1136
; %bb.1134:
	global_load_ushort v2, v[0:1], off
	s_mov_b32 s0, 0
	s_mov_b32 s13, -1
	s_waitcnt vmcnt(0)
	v_lshlrev_b32_e32 v2, 16, v2
	v_cvt_f64_f32_e32 v[2:3], v2
	s_branch .LBB8_1138
.LBB8_1135:
	s_mov_b32 s1, -1
	s_branch .LBB8_1137
.LBB8_1136:
	s_mov_b32 s0, -1
.LBB8_1137:
                                        ; implicit-def: $vgpr2_vgpr3
.LBB8_1138:
	s_and_b32 vcc_lo, exec_lo, s1
	s_mov_b32 s1, 0
	s_cbranch_vccz .LBB8_1140
; %bb.1139:
	s_cmp_lg_u32 s6, 11
	s_mov_b32 s1, -1
	s_cselect_b32 s0, -1, 0
.LBB8_1140:
	s_and_b32 vcc_lo, exec_lo, s0
	s_mov_b32 s5, s12
	s_cbranch_vccnz .LBB8_1209
; %bb.1141:
	s_andn2_b32 vcc_lo, exec_lo, s1
	s_cbranch_vccnz .LBB8_1143
.LBB8_1142:
	global_load_ubyte v2, v[0:1], off
	s_mov_b32 s13, -1
	s_waitcnt vmcnt(0)
	v_cmp_ne_u16_e32 vcc_lo, 0, v2
	v_mov_b32_e32 v2, 0
	v_cndmask_b32_e64 v3, 0, 0x3ff00000, vcc_lo
.LBB8_1143:
	s_branch .LBB8_1072
.LBB8_1144:
	s_cmp_lt_i32 s6, 5
	s_cbranch_scc1 .LBB8_1149
; %bb.1145:
	s_cmp_lt_i32 s6, 8
	s_cbranch_scc1 .LBB8_1150
; %bb.1146:
	;; [unrolled: 3-line block ×3, first 2 shown]
	s_cmp_gt_i32 s6, 9
	s_cbranch_scc0 .LBB8_1152
; %bb.1148:
	global_load_dwordx2 v[2:3], v[0:1], off
	s_mov_b32 s0, 0
	s_branch .LBB8_1153
.LBB8_1149:
                                        ; implicit-def: $vgpr2_vgpr3
	s_branch .LBB8_1170
.LBB8_1150:
                                        ; implicit-def: $vgpr2_vgpr3
	s_branch .LBB8_1159
.LBB8_1151:
	s_mov_b32 s0, -1
                                        ; implicit-def: $vgpr2_vgpr3
	s_branch .LBB8_1156
.LBB8_1152:
	s_mov_b32 s0, -1
                                        ; implicit-def: $vgpr2_vgpr3
.LBB8_1153:
	s_andn2_b32 vcc_lo, exec_lo, s0
	s_cbranch_vccnz .LBB8_1155
; %bb.1154:
	global_load_dword v2, v[0:1], off
	s_waitcnt vmcnt(0)
	v_cvt_f64_f32_e32 v[2:3], v2
.LBB8_1155:
	s_mov_b32 s0, 0
.LBB8_1156:
	s_andn2_b32 vcc_lo, exec_lo, s0
	s_cbranch_vccnz .LBB8_1158
; %bb.1157:
	global_load_dword v2, v[0:1], off
	s_waitcnt vmcnt(0)
	v_cvt_f32_f16_e32 v2, v2
	v_cvt_f64_f32_e32 v[2:3], v2
.LBB8_1158:
	s_cbranch_execnz .LBB8_1169
.LBB8_1159:
	s_cmp_lt_i32 s6, 6
	s_cbranch_scc1 .LBB8_1162
; %bb.1160:
	s_cmp_gt_i32 s6, 6
	s_cbranch_scc0 .LBB8_1163
; %bb.1161:
	global_load_dwordx2 v[2:3], v[0:1], off
	s_mov_b32 s0, 0
	s_branch .LBB8_1164
.LBB8_1162:
	s_mov_b32 s0, -1
                                        ; implicit-def: $vgpr2_vgpr3
	s_branch .LBB8_1167
.LBB8_1163:
	s_mov_b32 s0, -1
                                        ; implicit-def: $vgpr2_vgpr3
.LBB8_1164:
	s_andn2_b32 vcc_lo, exec_lo, s0
	s_cbranch_vccnz .LBB8_1166
; %bb.1165:
	global_load_dword v2, v[0:1], off
	s_waitcnt vmcnt(0)
	v_cvt_f64_f32_e32 v[2:3], v2
.LBB8_1166:
	s_mov_b32 s0, 0
.LBB8_1167:
	s_andn2_b32 vcc_lo, exec_lo, s0
	s_cbranch_vccnz .LBB8_1169
; %bb.1168:
	global_load_ushort v2, v[0:1], off
	s_waitcnt vmcnt(0)
	v_cvt_f32_f16_e32 v2, v2
	v_cvt_f64_f32_e32 v[2:3], v2
.LBB8_1169:
	s_cbranch_execnz .LBB8_1188
.LBB8_1170:
	s_cmp_lt_i32 s6, 2
	s_cbranch_scc1 .LBB8_1174
; %bb.1171:
	s_cmp_lt_i32 s6, 3
	s_cbranch_scc1 .LBB8_1175
; %bb.1172:
	s_cmp_gt_i32 s6, 3
	s_cbranch_scc0 .LBB8_1176
; %bb.1173:
	global_load_dwordx2 v[2:3], v[0:1], off
	s_mov_b32 s0, 0
	s_waitcnt vmcnt(0)
	v_cvt_f64_i32_e32 v[5:6], v3
	v_cvt_f64_u32_e32 v[2:3], v2
	v_ldexp_f64 v[5:6], v[5:6], 32
	v_add_f64 v[2:3], v[5:6], v[2:3]
	s_branch .LBB8_1177
.LBB8_1174:
                                        ; implicit-def: $vgpr2_vgpr3
	s_branch .LBB8_1183
.LBB8_1175:
	s_mov_b32 s0, -1
                                        ; implicit-def: $vgpr2_vgpr3
	s_branch .LBB8_1180
.LBB8_1176:
	s_mov_b32 s0, -1
                                        ; implicit-def: $vgpr2_vgpr3
.LBB8_1177:
	s_andn2_b32 vcc_lo, exec_lo, s0
	s_cbranch_vccnz .LBB8_1179
; %bb.1178:
	global_load_dword v2, v[0:1], off
	s_waitcnt vmcnt(0)
	v_cvt_f64_i32_e32 v[2:3], v2
.LBB8_1179:
	s_mov_b32 s0, 0
.LBB8_1180:
	s_andn2_b32 vcc_lo, exec_lo, s0
	s_cbranch_vccnz .LBB8_1182
; %bb.1181:
	global_load_sshort v2, v[0:1], off
	s_waitcnt vmcnt(0)
	v_cvt_f64_i32_e32 v[2:3], v2
.LBB8_1182:
	s_cbranch_execnz .LBB8_1188
.LBB8_1183:
	s_cmp_gt_i32 s6, 0
	s_mov_b32 s0, 0
	s_cbranch_scc0 .LBB8_1185
; %bb.1184:
	global_load_sbyte v2, v[0:1], off
	s_waitcnt vmcnt(0)
	v_cvt_f64_i32_e32 v[2:3], v2
	s_branch .LBB8_1186
.LBB8_1185:
	s_mov_b32 s0, -1
                                        ; implicit-def: $vgpr2_vgpr3
.LBB8_1186:
	s_andn2_b32 vcc_lo, exec_lo, s0
	s_cbranch_vccnz .LBB8_1188
; %bb.1187:
	global_load_ubyte v0, v[0:1], off
	s_waitcnt vmcnt(0)
	v_cvt_f64_u32_e32 v[2:3], v0
.LBB8_1188:
                                        ; implicit-def: $vgpr14_vgpr15
.LBB8_1189:
	v_mov_b32_e32 v0, 0
	v_mov_b32_e32 v1, 0x7ff00000
	s_mov_b32 s13, exec_lo
	s_waitcnt vmcnt(0)
	v_cmpx_neq_f64_e32 0, v[2:3]
	s_cbranch_execz .LBB8_1197
; %bb.1190:
	v_mov_b32_e32 v0, 0
	v_mov_b32_e32 v1, 0x7ff80000
	s_mov_b32 s14, exec_lo
	v_cmpx_ngt_f64_e32 0, v[2:3]
	s_cbranch_execz .LBB8_1196
; %bb.1191:
                                        ; implicit-def: $vgpr0_vgpr1
	s_mov_b32 s0, exec_lo
	v_cmpx_ge_f64_e32 2.0, v[2:3]
	s_xor_b32 s15, exec_lo, s0
	s_cbranch_execz .LBB8_1193
; %bb.1192:
	v_fma_f64 v[0:1], v[2:3], 0.5, -2.0
	s_mov_b32 s0, 0xc38a0576
	s_mov_b32 s1, 0xbc7857d0
	;; [unrolled: 1-line block ×4, first 2 shown]
	v_mul_f64 v[11:12], v[2:3], 0.5
	v_fma_f64 v[27:28], v[2:3], v[2:3], -2.0
	s_mov_b32 s19, 0xbc603228
	s_mov_b32 s18, 0x3d3cda56
	;; [unrolled: 1-line block ×4, first 2 shown]
	v_fma_f64 v[5:6], v[0:1], s[16:17], s[0:1]
	s_mov_b32 s17, 0xbc499f2a
	s_mov_b32 s0, 0xe593bfac
	;; [unrolled: 1-line block ×3, first 2 shown]
	v_frexp_mant_f64_e32 v[13:14], v[11:12]
	v_fma_f64 v[7:8], v[0:1], v[5:6], s[16:17]
	s_mov_b32 s16, 0x97eb07de
	s_mov_b32 s17, 0xbdd25103
	v_add_f64 v[7:8], v[7:8], s[0:1]
	s_mov_b32 s0, 0x7e0d1573
	s_mov_b32 s1, 0xbcd3eaaa
	v_fma_f64 v[5:6], v[0:1], v[7:8], -v[5:6]
	v_add_f64 v[5:6], v[5:6], s[0:1]
	s_mov_b32 s0, 0x615290c
	s_mov_b32 s1, 0x3d011d7f
	v_fma_f64 v[7:8], v[0:1], v[5:6], -v[7:8]
	;; [unrolled: 4-line block ×6, first 2 shown]
	v_add_f64 v[7:8], v[7:8], s[0:1]
	s_mov_b32 s1, 0x3fe55555
	s_mov_b32 s0, 0x55555555
	v_cmp_gt_f64_e32 vcc_lo, s[0:1], v[13:14]
	s_mov_b32 s0, 0x55555780
	v_fma_f64 v[5:6], v[0:1], v[7:8], -v[5:6]
	v_cndmask_b32_e64 v9, 0, 1, vcc_lo
	v_ldexp_f64 v[13:14], v[13:14], v9
	v_frexp_exp_i32_f64_e32 v9, v[11:12]
	v_add_f64 v[5:6], v[5:6], s[16:17]
	s_mov_b32 s16, 0xb43fdf6c
	s_mov_b32 s17, 0x3df8ea34
	v_add_f64 v[15:16], v[13:14], 1.0
	v_add_f64 v[21:22], v[13:14], -1.0
	v_subrev_co_ci_u32_e64 v9, null, 0, v9, vcc_lo
	v_fma_f64 v[7:8], v[0:1], v[5:6], -v[7:8]
	v_rcp_f64_e32 v[17:18], v[15:16]
	v_add_f64 v[23:24], v[15:16], -1.0
	v_add_f64 v[7:8], v[7:8], s[16:17]
	s_mov_b32 s16, 0x28ea67e6
	s_mov_b32 s17, 0xbe20361b
	v_add_f64 v[13:14], v[13:14], -v[23:24]
	v_fma_f64 v[19:20], -v[15:16], v[17:18], 1.0
	v_fma_f64 v[5:6], v[0:1], v[7:8], -v[5:6]
	v_fma_f64 v[17:18], v[19:20], v[17:18], v[17:18]
	v_add_f64 v[5:6], v[5:6], s[16:17]
	s_mov_b32 s16, 0x2395010
	s_mov_b32 s17, 0x3e44258e
	v_fma_f64 v[19:20], -v[15:16], v[17:18], 1.0
	v_fma_f64 v[7:8], v[0:1], v[5:6], -v[7:8]
	v_fma_f64 v[17:18], v[19:20], v[17:18], v[17:18]
	v_add_f64 v[7:8], v[7:8], s[16:17]
	s_mov_b32 s16, 0x24b8c3e8
	s_mov_b32 s17, 0xbe67dd3e
	v_mul_f64 v[19:20], v[21:22], v[17:18]
	v_fma_f64 v[5:6], v[0:1], v[7:8], -v[5:6]
	v_mul_f64 v[25:26], v[15:16], v[19:20]
	v_add_f64 v[5:6], v[5:6], s[16:17]
	s_mov_b32 s16, 0xb347d108
	s_mov_b32 s17, 0x3e8ae344
	v_fma_f64 v[15:16], v[19:20], v[15:16], -v[25:26]
	v_fma_f64 v[7:8], v[0:1], v[5:6], -v[7:8]
	v_fma_f64 v[13:14], v[19:20], v[13:14], v[15:16]
	v_add_f64 v[7:8], v[7:8], s[16:17]
	s_mov_b32 s16, 0x7a0399e0
	s_mov_b32 s17, 0xbce5dd51
	v_fma_f64 v[29:30], v[27:28], s[18:19], s[16:17]
	s_mov_b32 s19, 0x3c603228
	s_mov_b32 s16, 0xddd0e045
	;; [unrolled: 1-line block ×3, first 2 shown]
	v_add_f64 v[15:16], v[25:26], v[13:14]
	v_fma_f64 v[5:6], v[0:1], v[7:8], -v[5:6]
	v_add_f64 v[23:24], v[21:22], -v[15:16]
	v_add_f64 v[25:26], v[15:16], -v[25:26]
	v_add_f64 v[5:6], v[5:6], s[20:21]
	s_mov_b32 s20, 0xd3d694fe
	s_mov_b32 s21, 0xbf2533ca
	v_add_f64 v[21:22], v[21:22], -v[23:24]
	v_add_f64 v[13:14], v[25:26], -v[13:14]
	v_fma_f64 v[7:8], v[0:1], v[5:6], -v[7:8]
	v_add_f64 v[15:16], v[21:22], -v[15:16]
	v_fma_f64 v[21:22], v[27:28], v[29:30], s[18:19]
	s_mov_b32 s18, 0xd511afc5
	s_mov_b32 s19, 0x3ecd1c4e
	v_add_f64 v[7:8], v[7:8], s[18:19]
	s_mov_b32 s18, 0xb8debbcf
	s_mov_b32 s19, 0xbeebd5f9
	v_add_f64 v[13:14], v[13:14], v[15:16]
	v_add_f64 v[15:16], v[21:22], s[16:17]
	s_mov_b32 s16, 0xb84626ca
	s_mov_b32 s17, 0xbde3663b
	v_fma_f64 v[5:6], v[0:1], v[7:8], -v[5:6]
	v_add_f64 v[13:14], v[23:24], v[13:14]
	v_fma_f64 v[21:22], v[27:28], v[15:16], -v[29:30]
	v_add_f64 v[5:6], v[5:6], s[18:19]
	s_mov_b32 s18, 0x42c70d0b
	s_mov_b32 s19, 0x3f0911b5
	v_mul_f64 v[13:14], v[17:18], v[13:14]
	v_add_f64 v[17:18], v[21:22], s[16:17]
	s_mov_b32 s16, 0x145c31d0
	s_mov_b32 s17, 0xbe57c41d
	v_fma_f64 v[7:8], v[0:1], v[5:6], -v[7:8]
	v_add_f64 v[21:22], v[19:20], v[13:14]
	v_fma_f64 v[15:16], v[27:28], v[17:18], -v[15:16]
	v_add_f64 v[7:8], v[7:8], s[18:19]
	s_mov_b32 s18, 0xbf559e2b
	s_mov_b32 s19, 0x3fc3ab76
	v_mul_f64 v[23:24], v[21:22], v[21:22]
	v_add_f64 v[15:16], v[15:16], s[16:17]
	s_mov_b32 s16, 0x6b47b09a
	s_mov_b32 s17, 0x3fc38538
	v_add_f64 v[19:20], v[21:22], -v[19:20]
	v_fma_f64 v[5:6], v[0:1], v[7:8], -v[5:6]
	v_fma_f64 v[25:26], v[23:24], s[18:19], s[16:17]
	v_fma_f64 v[17:18], v[27:28], v[15:16], -v[17:18]
	s_mov_b32 s16, 0x2c832e3a
	s_mov_b32 s17, 0xbec469b3
	;; [unrolled: 1-line block ×4, first 2 shown]
	v_mul_f64 v[29:30], v[21:22], v[23:24]
	v_add_f64 v[13:14], v[13:14], -v[19:20]
	v_add_f64 v[5:6], v[5:6], s[20:21]
	s_mov_b32 s20, 0xb6c6df7d
	s_mov_b32 s21, 0x3f40c95d
	v_fma_f64 v[25:26], v[23:24], v[25:26], s[18:19]
	v_add_f64 v[17:18], v[17:18], s[16:17]
	s_mov_b32 s16, 0x16291751
	s_mov_b32 s17, 0x3fcc71c0
	;; [unrolled: 1-line block ×4, first 2 shown]
	v_ldexp_f64 v[13:14], v[13:14], 1
	v_fma_f64 v[7:8], v[0:1], v[5:6], -v[7:8]
	v_fma_f64 v[25:26], v[23:24], v[25:26], s[16:17]
	v_fma_f64 v[15:16], v[27:28], v[17:18], -v[15:16]
	s_mov_b32 s16, 0xe5a3bd02
	s_mov_b32 s17, 0xbf26ade2
	v_add_f64 v[7:8], v[7:8], s[20:21]
	s_mov_b32 s20, 0xe7bb2349
	s_mov_b32 s21, 0x3f9951e3
	v_fma_f64 v[25:26], v[23:24], v[25:26], s[18:19]
	v_add_f64 v[15:16], v[15:16], s[16:17]
	s_mov_b32 s16, 0x998ef7b6
	s_mov_b32 s17, 0x3fd99999
	s_mov_b32 s18, 0xb3cd4a4
	s_mov_b32 s19, 0xbf58cc62
	v_fma_f64 v[5:6], v[0:1], v[7:8], -v[5:6]
	v_fma_f64 v[25:26], v[23:24], v[25:26], s[16:17]
	v_fma_f64 v[17:18], v[27:28], v[15:16], -v[17:18]
	s_mov_b32 s16, 0x9d7d4192
	s_mov_b32 s17, 0xbf7c9293
	v_add_f64 v[5:6], v[5:6], s[18:19]
	s_mov_b32 s18, 0x49d3a1b4
	s_mov_b32 s19, 0x3f710653
	v_fma_f64 v[23:24], v[23:24], v[25:26], s[0:1]
	v_add_f64 v[17:18], v[17:18], s[16:17]
	v_ldexp_f64 v[25:26], v[21:22], 1
	s_mov_b32 s0, 0x43c1db74
	s_mov_b32 s1, 0xbfbf6372
	s_mov_b32 s16, 0x652b82fe
	s_mov_b32 s17, 0x3ff71547
	v_mul_f64 v[31:32], v[2:3], s[16:17]
	s_mov_b32 s16, 0x757b0dd4
	s_mov_b32 s17, 0xbfd69a1b
	v_fma_f64 v[7:8], v[0:1], v[5:6], -v[7:8]
	v_mul_f64 v[23:24], v[29:30], v[23:24]
	v_fma_f64 v[15:16], v[27:28], v[17:18], -v[15:16]
	v_cvt_f64_i32_e32 v[29:30], v9
	v_add_f64 v[7:8], v[7:8], s[18:19]
	s_mov_b32 s18, 0x7913a26a
	s_mov_b32 s19, 0xbf85a29f
	v_add_f64 v[21:22], v[25:26], v[23:24]
	v_add_f64 v[15:16], v[15:16], s[0:1]
	s_mov_b32 s1, 0x3fe62e42
	s_mov_b32 s0, 0xfefa39ef
	v_mul_f64 v[33:34], v[29:30], s[0:1]
	v_fma_f64 v[5:6], v[0:1], v[7:8], -v[5:6]
	v_add_f64 v[19:20], v[21:22], -v[25:26]
	v_fma_f64 v[17:18], v[27:28], v[15:16], -v[17:18]
	v_rndne_f64_e32 v[25:26], v[31:32]
	v_fma_f64 v[31:32], v[29:30], s[0:1], -v[33:34]
	s_mov_b32 s1, 0xbfe62e42
	v_add_f64 v[5:6], v[5:6], s[18:19]
	s_mov_b32 s18, 0x6a5dcb37
	s_mov_b32 s19, 0x3e5ade15
	v_add_f64 v[19:20], v[23:24], -v[19:20]
	v_add_f64 v[17:18], v[17:18], s[16:17]
	v_fma_f64 v[23:24], v[25:26], s[0:1], v[2:3]
	s_mov_b32 s1, 0x3c7abc9e
	s_mov_b32 s0, 0x3b39803f
	;; [unrolled: 1-line block ×3, first 2 shown]
	v_fma_f64 v[29:30], v[29:30], s[0:1], v[31:32]
	s_mov_b32 s1, 0xbc7abc9e
	s_mov_b32 s17, 0x3e928af3
	v_cvt_i32_f64_e32 v9, v[25:26]
	v_fma_f64 v[7:8], v[0:1], v[5:6], -v[7:8]
	v_add_f64 v[13:14], v[13:14], v[19:20]
	v_fma_f64 v[17:18], v[27:28], v[17:18], -v[15:16]
	v_fma_f64 v[19:20], v[25:26], s[0:1], v[23:24]
	s_mov_b32 s0, 0x361008ca
	s_mov_b32 s1, 0x3ff867a1
	v_add_f64 v[23:24], v[33:34], v[29:30]
	v_add_f64 v[7:8], v[7:8], s[20:21]
	;; [unrolled: 1-line block ×4, first 2 shown]
	v_fma_f64 v[31:32], v[19:20], s[18:19], s[16:17]
	s_mov_b32 s0, 0x623fde64
	s_mov_b32 s1, 0x3ec71dee
	;; [unrolled: 1-line block ×4, first 2 shown]
	v_add_f64 v[33:34], v[23:24], -v[33:34]
	v_fma_f64 v[5:6], v[0:1], v[7:8], -v[5:6]
	v_add_f64 v[35:36], v[23:24], v[27:28]
	v_add_f64 v[15:16], v[17:18], -v[15:16]
	v_fma_f64 v[31:32], v[19:20], v[31:32], s[0:1]
	s_mov_b32 s0, 0x7c89e6b0
	s_mov_b32 s1, 0x3efa0199
	v_add_f64 v[21:22], v[27:28], -v[21:22]
	v_add_f64 v[29:30], v[29:30], -v[33:34]
	v_add_f64 v[5:6], v[5:6], s[16:17]
	s_mov_b32 s16, 0xd536f53c
	s_mov_b32 s17, 0x3fba46da
	v_add_f64 v[17:18], v[35:36], -v[23:24]
	v_mul_f64 v[15:16], v[15:16], 0.5
	v_fma_f64 v[31:32], v[19:20], v[31:32], s[0:1]
	s_mov_b32 s0, 0x14761f6e
	s_mov_b32 s1, 0x3f2a01a0
	v_add_f64 v[13:14], v[13:14], -v[21:22]
	v_fma_f64 v[7:8], v[0:1], v[5:6], -v[7:8]
	v_add_f64 v[37:38], v[35:36], -v[17:18]
	v_div_scale_f64 v[39:40], null, v[2:3], v[2:3], v[15:16]
	v_fma_f64 v[31:32], v[19:20], v[31:32], s[0:1]
	s_mov_b32 s0, 0x1852b7b0
	s_mov_b32 s1, 0x3f56c16c
	v_add_f64 v[17:18], v[27:28], -v[17:18]
	v_add_f64 v[7:8], v[7:8], s[16:17]
	s_mov_b32 s16, 0x469192e
	s_mov_b32 s17, 0xbfc694d1
	v_add_f64 v[21:22], v[23:24], -v[37:38]
	v_rcp_f64_e32 v[27:28], v[39:40]
	v_fma_f64 v[23:24], v[19:20], v[31:32], s[0:1]
	s_mov_b32 s0, 0x11122322
	s_mov_b32 s1, 0x3f811111
	v_add_f64 v[31:32], v[29:30], v[13:14]
	v_fma_f64 v[5:6], v[0:1], v[7:8], -v[5:6]
	v_add_f64 v[17:18], v[17:18], v[21:22]
	v_fma_f64 v[21:22], v[19:20], v[23:24], s[0:1]
	v_fma_f64 v[23:24], -v[39:40], v[27:28], 1.0
	s_mov_b32 s0, 0x555502a1
	s_mov_b32 s1, 0x3fa55555
	v_add_f64 v[33:34], v[31:32], -v[29:30]
	v_add_f64 v[5:6], v[5:6], s[16:17]
	s_mov_b32 s16, 0x724a7ffa
	s_mov_b32 s17, 0x3fd02a63
	v_add_f64 v[17:18], v[31:32], v[17:18]
	v_fma_f64 v[21:22], v[19:20], v[21:22], s[0:1]
	v_fma_f64 v[23:24], v[27:28], v[23:24], v[27:28]
	s_mov_b32 s0, 0x55555511
	s_mov_b32 s1, 0x3fc55555
	v_add_f64 v[27:28], v[31:32], -v[33:34]
	v_add_f64 v[13:14], v[13:14], -v[33:34]
	v_div_scale_f64 v[33:34], vcc_lo, v[15:16], v[2:3], v[15:16]
	v_fma_f64 v[0:1], v[0:1], v[5:6], -v[7:8]
	v_add_f64 v[31:32], v[35:36], v[17:18]
	v_fma_f64 v[21:22], v[19:20], v[21:22], s[0:1]
	v_fma_f64 v[5:6], -v[39:40], v[23:24], 1.0
	s_mov_b32 s0, 11
	s_mov_b32 s1, 0x3fe00000
	v_add_f64 v[27:28], v[29:30], -v[27:28]
	v_add_f64 v[0:1], v[0:1], s[16:17]
	v_add_f64 v[29:30], v[31:32], -v[35:36]
	v_fma_f64 v[21:22], v[19:20], v[21:22], s[0:1]
	v_fma_f64 v[5:6], v[23:24], v[5:6], v[23:24]
	v_cmp_neq_f64_e64 s0, 0, v[11:12]
	v_add_f64 v[13:14], v[13:14], v[27:28]
	v_add_f64 v[0:1], v[0:1], -v[7:8]
	v_add_f64 v[17:18], v[17:18], -v[29:30]
	v_fma_f64 v[21:22], v[19:20], v[21:22], 1.0
	v_mul_f64 v[7:8], v[33:34], v[5:6]
	v_mul_f64 v[0:1], v[0:1], 0.5
	v_add_f64 v[13:14], v[13:14], v[17:18]
	v_fma_f64 v[17:18], v[19:20], v[21:22], 1.0
	v_fma_f64 v[19:20], -v[39:40], v[7:8], v[33:34]
	v_mul_f64 v[0:1], v[2:3], v[0:1]
	v_add_f64 v[13:14], v[31:32], v[13:14]
	v_ldexp_f64 v[17:18], v[17:18], v9
	v_div_fmas_f64 v[5:6], v[19:20], v[5:6], v[7:8]
	v_cmp_neq_f64_e32 vcc_lo, 0x7ff00000, v[11:12]
	v_mul_f64 v[0:1], v[17:18], v[0:1]
	v_div_fixup_f64 v[2:3], v[5:6], v[2:3], v[15:16]
	v_cndmask_b32_e32 v7, 0x7ff00000, v14, vcc_lo
	s_and_b32 vcc_lo, s0, vcc_lo
	v_cndmask_b32_e32 v5, 0, v13, vcc_lo
	v_cndmask_b32_e64 v6, 0xfff00000, v7, s0
	v_fma_f64 v[0:1], v[5:6], v[0:1], v[2:3]
                                        ; implicit-def: $vgpr2_vgpr3
.LBB8_1193:
	s_andn2_saveexec_b32 s1, s15
	s_cbranch_execz .LBB8_1195
; %bb.1194:
	v_div_scale_f64 v[0:1], null, v[2:3], v[2:3], 0x40200000
	v_div_scale_f64 v[11:12], vcc_lo, 0x40200000, v[2:3], 0x40200000
	s_mov_b32 s16, 0x838f5ed3
	s_mov_b32 s17, 0x3c74af1a
	;; [unrolled: 1-line block ×4, first 2 shown]
	v_cmp_nlt_f64_e64 s0, 0x4090cc00, v[2:3]
	v_rcp_f64_e32 v[5:6], v[0:1]
	v_fma_f64 v[7:8], -v[0:1], v[5:6], 1.0
	v_fma_f64 v[5:6], v[5:6], v[7:8], v[5:6]
	v_fma_f64 v[7:8], -v[0:1], v[5:6], 1.0
	v_fma_f64 v[5:6], v[5:6], v[7:8], v[5:6]
	v_mul_f64 v[7:8], v[11:12], v[5:6]
	v_fma_f64 v[0:1], -v[0:1], v[7:8], v[11:12]
	v_div_fmas_f64 v[0:1], v[0:1], v[5:6], v[7:8]
	v_cmp_gt_f64_e32 vcc_lo, 0x10000000, v[2:3]
	v_div_fixup_f64 v[0:1], v[0:1], v[2:3], 0x40200000
	v_cndmask_b32_e64 v9, 0, 0x100, vcc_lo
	v_ldexp_f64 v[17:18], v[2:3], v9
	v_add_f64 v[0:1], v[0:1], -2.0
	v_rsq_f64_e32 v[19:20], v[17:18]
	v_fma_f64 v[5:6], v[0:1], s[18:19], s[16:17]
	s_mov_b32 s19, 0x3c5a8c5d
	s_mov_b32 s16, 0x17771d52
	;; [unrolled: 1-line block ×3, first 2 shown]
	v_mul_f64 v[21:22], v[17:18], v[19:20]
	v_mul_f64 v[19:20], v[19:20], 0.5
	v_fma_f64 v[7:8], v[0:1], v[5:6], s[18:19]
	s_mov_b32 s18, 0x6a5dcb37
	s_mov_b32 s19, 0x3e5ade15
	v_fma_f64 v[23:24], -v[19:20], v[21:22], 0.5
	v_add_f64 v[7:8], v[7:8], s[16:17]
	s_mov_b32 s16, 0x44ee2c0b
	s_mov_b32 s17, 0x3caa7d5e
	v_fma_f64 v[21:22], v[21:22], v[23:24], v[21:22]
	v_fma_f64 v[19:20], v[19:20], v[23:24], v[19:20]
	v_fma_f64 v[5:6], v[0:1], v[7:8], -v[5:6]
	v_fma_f64 v[23:24], -v[21:22], v[21:22], v[17:18]
	v_add_f64 v[5:6], v[5:6], s[16:17]
	s_mov_b32 s16, 0xd8758ef2
	s_mov_b32 s17, 0xbcc5d2a3
	v_fma_f64 v[7:8], v[0:1], v[5:6], -v[7:8]
	v_add_f64 v[7:8], v[7:8], s[16:17]
	s_mov_b32 s16, 0xefee81bd
	s_mov_b32 s17, 0x3ce25ced
	v_fma_f64 v[5:6], v[0:1], v[7:8], -v[5:6]
	;; [unrolled: 4-line block ×14, first 2 shown]
	v_add_f64 v[5:6], v[5:6], s[16:17]
	s_mov_b32 s16, 0x652b82fe
	s_mov_b32 s17, 0xbff71547
	v_mul_f64 v[11:12], v[2:3], s[16:17]
	s_mov_b32 s16, 0x8fada5c6
	s_mov_b32 s17, 0xbe978052
	v_fma_f64 v[7:8], v[0:1], v[5:6], -v[7:8]
	v_rndne_f64_e32 v[11:12], v[11:12]
	v_add_f64 v[7:8], v[7:8], s[16:17]
	s_mov_b32 s16, 0xfefa39ef
	s_mov_b32 s17, 0xbfe62e42
	v_fma_f64 v[13:14], v[11:12], s[16:17], -v[2:3]
	s_mov_b32 s16, 0x3b39803f
	s_mov_b32 s17, 0xbc7abc9e
	v_cvt_i32_f64_e32 v9, v[11:12]
	v_cndmask_b32_e64 v2, 0, 0xffffff80, vcc_lo
	v_cmp_class_f64_e64 vcc_lo, v[17:18], 0x260
	v_fma_f64 v[5:6], v[0:1], v[7:8], -v[5:6]
	v_fma_f64 v[13:14], v[11:12], s[16:17], v[13:14]
	s_mov_b32 s16, 0x1752d1b6
	s_mov_b32 s17, 0x3ec42fe3
	v_add_f64 v[5:6], v[5:6], s[16:17]
	s_mov_b32 s16, 0xfca7ab0c
	s_mov_b32 s17, 0x3e928af3
	v_fma_f64 v[15:16], v[13:14], s[18:19], s[16:17]
	s_mov_b32 s16, 0x623fde64
	s_mov_b32 s17, 0x3ec71dee
	v_fma_f64 v[7:8], v[0:1], v[5:6], -v[7:8]
	v_fma_f64 v[15:16], v[13:14], v[15:16], s[16:17]
	s_mov_b32 s16, 0x1dcdb2e5
	s_mov_b32 s17, 0xbef44d71
	v_add_f64 v[7:8], v[7:8], s[16:17]
	s_mov_b32 s16, 0x7c89e6b0
	s_mov_b32 s17, 0x3efa0199
	v_fma_f64 v[15:16], v[13:14], v[15:16], s[16:17]
	s_mov_b32 s16, 0x14761f6e
	s_mov_b32 s17, 0x3f2a01a0
	;; [unrolled: 10-line block ×5, first 2 shown]
	v_fma_f64 v[0:1], v[0:1], v[5:6], -v[7:8]
	v_fma_f64 v[5:6], v[23:24], v[19:20], v[21:22]
	v_fma_f64 v[15:16], v[13:14], v[15:16], 1.0
	v_add_f64 v[0:1], v[0:1], s[16:17]
	v_fma_f64 v[21:22], -v[5:6], v[5:6], v[17:18]
	v_fma_f64 v[11:12], v[13:14], v[15:16], 1.0
	v_add_f64 v[0:1], v[0:1], -v[7:8]
	v_fma_f64 v[5:6], v[21:22], v[19:20], v[5:6]
	v_ldexp_f64 v[7:8], v[11:12], v9
	v_mul_f64 v[0:1], v[0:1], 0.5
	v_ldexp_f64 v[2:3], v[5:6], v2
	v_cndmask_b32_e64 v6, 0, v8, s0
	v_cndmask_b32_e64 v5, 0, v7, s0
	v_mul_f64 v[0:1], v[5:6], v[0:1]
	v_cndmask_b32_e32 v3, v3, v18, vcc_lo
	v_cndmask_b32_e32 v2, v2, v17, vcc_lo
	v_div_scale_f64 v[5:6], null, v[2:3], v[2:3], v[0:1]
	v_rcp_f64_e32 v[7:8], v[5:6]
	v_fma_f64 v[11:12], -v[5:6], v[7:8], 1.0
	v_fma_f64 v[7:8], v[7:8], v[11:12], v[7:8]
	v_fma_f64 v[11:12], -v[5:6], v[7:8], 1.0
	v_fma_f64 v[7:8], v[7:8], v[11:12], v[7:8]
	v_div_scale_f64 v[11:12], vcc_lo, v[0:1], v[2:3], v[0:1]
	v_mul_f64 v[13:14], v[11:12], v[7:8]
	v_fma_f64 v[5:6], -v[5:6], v[13:14], v[11:12]
	v_div_fmas_f64 v[5:6], v[5:6], v[7:8], v[13:14]
	v_div_fixup_f64 v[0:1], v[5:6], v[2:3], v[0:1]
.LBB8_1195:
	s_or_b32 exec_lo, exec_lo, s1
.LBB8_1196:
	s_or_b32 exec_lo, exec_lo, s14
.LBB8_1197:
	s_or_b32 exec_lo, exec_lo, s13
	s_lshl_b32 s3, s3, 7
	s_cmp_lt_i32 s6, 11
	v_add_nc_u32_e32 v6, s3, v4
	v_ashrrev_i32_e32 v2, 31, v6
	v_add_co_u32 v4, vcc_lo, s10, v6
	v_add_co_ci_u32_e64 v5, null, s11, v2, vcc_lo
	s_cbranch_scc1 .LBB8_1204
; %bb.1198:
	s_cmp_gt_i32 s6, 25
	s_mov_b32 s1, 0
	s_cbranch_scc0 .LBB8_1206
; %bb.1199:
	s_cmp_gt_i32 s6, 28
	s_cbranch_scc0 .LBB8_1207
; %bb.1200:
	s_cmp_gt_i32 s6, 43
	;; [unrolled: 3-line block ×3, first 2 shown]
	s_cbranch_scc0 .LBB8_1210
; %bb.1202:
	s_cmp_eq_u32 s6, 46
	s_mov_b32 s14, 0
	s_cbranch_scc0 .LBB8_1213
; %bb.1203:
	global_load_dword v2, v[4:5], off
	s_mov_b32 s0, 0
	s_mov_b32 s13, -1
	s_waitcnt vmcnt(0)
	v_lshlrev_b32_e32 v2, 16, v2
	v_cvt_f64_f32_e32 v[2:3], v2
	s_branch .LBB8_1215
.LBB8_1204:
	s_mov_b32 s13, 0
                                        ; implicit-def: $vgpr2_vgpr3
	s_cbranch_execnz .LBB8_1280
.LBB8_1205:
	s_andn2_b32 vcc_lo, exec_lo, s13
	s_cbranch_vccnz .LBB8_1690
	s_branch .LBB8_1327
.LBB8_1206:
	s_mov_b32 s13, 0
	s_mov_b32 s0, 0
                                        ; implicit-def: $vgpr2_vgpr3
	s_cbranch_execnz .LBB8_1246
	s_branch .LBB8_1276
.LBB8_1207:
	s_mov_b32 s14, -1
	s_mov_b32 s13, 0
	s_mov_b32 s0, 0
                                        ; implicit-def: $vgpr2_vgpr3
	s_branch .LBB8_1225
.LBB8_1208:
	s_mov_b32 s14, -1
	s_mov_b32 s13, 0
	s_mov_b32 s0, 0
                                        ; implicit-def: $vgpr2_vgpr3
	s_branch .LBB8_1220
.LBB8_1209:
	s_or_b32 s5, s12, exec_lo
	s_trap 2
	s_cbranch_execz .LBB8_1142
	s_branch .LBB8_1143
.LBB8_1210:
	s_mov_b32 s14, -1
	s_mov_b32 s13, 0
	s_mov_b32 s0, 0
	s_branch .LBB8_1214
.LBB8_1211:
	s_andn2_saveexec_b32 s19, s19
	s_cbranch_execz .LBB8_988
.LBB8_1212:
	v_add_f32_e64 v3, 0x42800000, |v2|
	s_andn2_b32 s18, s18, exec_lo
	v_and_b32_e32 v3, 0xff, v3
	v_cmp_ne_u32_e32 vcc_lo, 0, v3
	s_and_b32 s20, vcc_lo, exec_lo
	s_or_b32 s18, s18, s20
	s_or_b32 exec_lo, exec_lo, s19
	v_mov_b32_e32 v6, 0
	s_and_saveexec_b32 s19, s18
	s_cbranch_execnz .LBB8_989
	s_branch .LBB8_990
.LBB8_1213:
	s_mov_b32 s0, -1
	s_mov_b32 s13, 0
.LBB8_1214:
                                        ; implicit-def: $vgpr2_vgpr3
.LBB8_1215:
	s_and_b32 vcc_lo, exec_lo, s14
	s_cbranch_vccz .LBB8_1219
; %bb.1216:
	s_cmp_eq_u32 s6, 44
	s_cbranch_scc0 .LBB8_1218
; %bb.1217:
	global_load_ubyte v7, v[4:5], off
	s_mov_b32 s0, 0
	s_mov_b32 s13, -1
	s_waitcnt vmcnt(0)
	v_lshlrev_b32_e32 v2, 23, v7
	v_cmp_ne_u32_e32 vcc_lo, 0xff, v7
	v_cvt_f64_f32_e32 v[2:3], v2
	v_cndmask_b32_e32 v2, 0x20000000, v2, vcc_lo
	v_cndmask_b32_e32 v3, 0x7ff80000, v3, vcc_lo
	v_cmp_ne_u32_e32 vcc_lo, 0, v7
	v_cndmask_b32_e32 v3, 0x38000000, v3, vcc_lo
	v_cndmask_b32_e32 v2, 0, v2, vcc_lo
	s_branch .LBB8_1219
.LBB8_1218:
	s_mov_b32 s0, -1
                                        ; implicit-def: $vgpr2_vgpr3
.LBB8_1219:
	s_mov_b32 s14, 0
.LBB8_1220:
	s_and_b32 vcc_lo, exec_lo, s14
	s_cbranch_vccz .LBB8_1224
; %bb.1221:
	s_cmp_eq_u32 s6, 29
	s_cbranch_scc0 .LBB8_1223
; %bb.1222:
	global_load_dwordx2 v[2:3], v[4:5], off
	s_mov_b32 s0, 0
	s_mov_b32 s13, -1
	s_mov_b32 s14, 0
	s_waitcnt vmcnt(0)
	v_cvt_f64_u32_e32 v[7:8], v3
	v_cvt_f64_u32_e32 v[2:3], v2
	v_ldexp_f64 v[7:8], v[7:8], 32
	v_add_f64 v[2:3], v[7:8], v[2:3]
	s_branch .LBB8_1225
.LBB8_1223:
	s_mov_b32 s0, -1
                                        ; implicit-def: $vgpr2_vgpr3
.LBB8_1224:
	s_mov_b32 s14, 0
.LBB8_1225:
	s_and_b32 vcc_lo, exec_lo, s14
	s_cbranch_vccz .LBB8_1245
; %bb.1226:
	s_cmp_lt_i32 s6, 27
	s_cbranch_scc1 .LBB8_1229
; %bb.1227:
	s_cmp_gt_i32 s6, 27
	s_cbranch_scc0 .LBB8_1230
; %bb.1228:
	global_load_dword v2, v[4:5], off
	s_mov_b32 s13, 0
	s_waitcnt vmcnt(0)
	v_cvt_f64_u32_e32 v[2:3], v2
	s_branch .LBB8_1231
.LBB8_1229:
	s_mov_b32 s13, -1
                                        ; implicit-def: $vgpr2_vgpr3
	s_branch .LBB8_1234
.LBB8_1230:
	s_mov_b32 s13, -1
                                        ; implicit-def: $vgpr2_vgpr3
.LBB8_1231:
	s_andn2_b32 vcc_lo, exec_lo, s13
	s_cbranch_vccnz .LBB8_1233
; %bb.1232:
	global_load_ushort v2, v[4:5], off
	s_waitcnt vmcnt(0)
	v_cvt_f64_u32_e32 v[2:3], v2
.LBB8_1233:
	s_mov_b32 s13, 0
.LBB8_1234:
	s_andn2_b32 vcc_lo, exec_lo, s13
	s_cbranch_vccnz .LBB8_1244
; %bb.1235:
	global_load_ubyte v7, v[4:5], off
	s_mov_b32 s13, 0
	s_mov_b32 s14, exec_lo
	s_waitcnt vmcnt(0)
	v_cmpx_lt_i16_e32 0x7f, v7
	s_xor_b32 s14, exec_lo, s14
	s_cbranch_execz .LBB8_1239
; %bb.1236:
	s_mov_b32 s13, -1
	s_mov_b32 s15, exec_lo
	v_cmpx_eq_u16_e32 0x80, v7
; %bb.1237:
	s_xor_b32 s13, exec_lo, -1
; %bb.1238:
	s_or_b32 exec_lo, exec_lo, s15
	s_and_b32 s13, s13, exec_lo
.LBB8_1239:
	s_or_saveexec_b32 s14, s14
	v_bfrev_b32_e32 v2, 4
	v_mov_b32_e32 v3, 0x7ff80000
	s_xor_b32 exec_lo, exec_lo, s14
; %bb.1240:
	v_cmp_ne_u16_e32 vcc_lo, 0, v7
	v_mov_b32_e32 v2, 0
	v_mov_b32_e32 v3, 0
	s_andn2_b32 s13, s13, exec_lo
	s_and_b32 s15, vcc_lo, exec_lo
	s_or_b32 s13, s13, s15
; %bb.1241:
	s_or_b32 exec_lo, exec_lo, s14
	s_and_saveexec_b32 s14, s13
	s_cbranch_execz .LBB8_1243
; %bb.1242:
	v_and_b32_e32 v2, 0xffff, v7
	v_lshlrev_b32_e32 v7, 24, v7
	v_and_b32_e32 v3, 7, v2
	v_bfe_u32 v11, v2, 3, 4
	v_ffbh_u32_e32 v8, v3
	v_cmp_eq_u32_e32 vcc_lo, 0, v11
	v_min_u32_e32 v8, 32, v8
	v_subrev_nc_u32_e32 v9, 28, v8
	v_sub_nc_u32_e32 v8, 29, v8
	v_lshlrev_b32_e32 v2, v9, v2
	v_cndmask_b32_e32 v8, v11, v8, vcc_lo
	v_and_b32_e32 v2, 7, v2
	v_cndmask_b32_e32 v2, v3, v2, vcc_lo
	v_and_b32_e32 v3, 0x80000000, v7
	v_lshl_add_u32 v7, v8, 23, 0x3b800000
	v_lshlrev_b32_e32 v2, 20, v2
	v_or3_b32 v2, v3, v7, v2
	v_cvt_f64_f32_e32 v[2:3], v2
.LBB8_1243:
	s_or_b32 exec_lo, exec_lo, s14
.LBB8_1244:
	s_mov_b32 s13, -1
.LBB8_1245:
	s_branch .LBB8_1276
.LBB8_1246:
	s_cmp_gt_i32 s6, 22
	s_cbranch_scc0 .LBB8_1258
; %bb.1247:
	s_cmp_lt_i32 s6, 24
	s_cbranch_scc1 .LBB8_1259
; %bb.1248:
	s_cmp_gt_i32 s6, 24
	s_cbranch_scc0 .LBB8_1260
; %bb.1249:
	global_load_ubyte v7, v[4:5], off
	s_mov_b32 s13, exec_lo
	s_waitcnt vmcnt(0)
	v_cmpx_lt_i16_e32 0x7f, v7
	s_xor_b32 s13, exec_lo, s13
	s_cbranch_execz .LBB8_1253
; %bb.1250:
	s_mov_b32 s1, -1
	s_mov_b32 s14, exec_lo
	v_cmpx_eq_u16_e32 0x80, v7
; %bb.1251:
	s_xor_b32 s1, exec_lo, -1
; %bb.1252:
	s_or_b32 exec_lo, exec_lo, s14
	s_and_b32 s1, s1, exec_lo
.LBB8_1253:
	s_or_saveexec_b32 s13, s13
	v_bfrev_b32_e32 v2, 4
	v_mov_b32_e32 v3, 0x7ff80000
	s_xor_b32 exec_lo, exec_lo, s13
; %bb.1254:
	v_cmp_ne_u16_e32 vcc_lo, 0, v7
	v_mov_b32_e32 v2, 0
	v_mov_b32_e32 v3, 0
	s_andn2_b32 s1, s1, exec_lo
	s_and_b32 s14, vcc_lo, exec_lo
	s_or_b32 s1, s1, s14
; %bb.1255:
	s_or_b32 exec_lo, exec_lo, s13
	s_and_saveexec_b32 s13, s1
	s_cbranch_execz .LBB8_1257
; %bb.1256:
	v_and_b32_e32 v2, 0xffff, v7
	v_lshlrev_b32_e32 v7, 24, v7
	v_and_b32_e32 v3, 3, v2
	v_bfe_u32 v11, v2, 2, 5
	v_ffbh_u32_e32 v8, v3
	v_cmp_eq_u32_e32 vcc_lo, 0, v11
	v_min_u32_e32 v8, 32, v8
	v_subrev_nc_u32_e32 v9, 29, v8
	v_sub_nc_u32_e32 v8, 30, v8
	v_lshlrev_b32_e32 v2, v9, v2
	v_cndmask_b32_e32 v8, v11, v8, vcc_lo
	v_and_b32_e32 v2, 3, v2
	v_cndmask_b32_e32 v2, v3, v2, vcc_lo
	v_and_b32_e32 v3, 0x80000000, v7
	v_lshl_add_u32 v7, v8, 23, 0x37800000
	v_lshlrev_b32_e32 v2, 21, v2
	v_or3_b32 v2, v3, v7, v2
	v_cvt_f64_f32_e32 v[2:3], v2
.LBB8_1257:
	s_or_b32 exec_lo, exec_lo, s13
	s_mov_b32 s1, 0
	s_branch .LBB8_1261
.LBB8_1258:
	s_mov_b32 s1, -1
                                        ; implicit-def: $vgpr2_vgpr3
	s_branch .LBB8_1267
.LBB8_1259:
	s_mov_b32 s1, -1
                                        ; implicit-def: $vgpr2_vgpr3
	s_branch .LBB8_1264
.LBB8_1260:
	s_mov_b32 s1, -1
                                        ; implicit-def: $vgpr2_vgpr3
.LBB8_1261:
	s_and_b32 vcc_lo, exec_lo, s1
	s_cbranch_vccz .LBB8_1263
; %bb.1262:
	global_load_ubyte v2, v[4:5], off
	s_waitcnt vmcnt(0)
	v_lshlrev_b32_e32 v2, 24, v2
	v_and_b32_e32 v3, 0x7f000000, v2
	v_ffbh_u32_e32 v7, v3
	v_add_nc_u32_e32 v9, 0x1000000, v3
	v_cmp_ne_u32_e32 vcc_lo, 0, v3
	v_min_u32_e32 v7, 32, v7
	v_sub_nc_u32_e64 v7, v7, 4 clamp
	v_lshlrev_b32_e32 v8, v7, v3
	v_lshlrev_b32_e32 v7, 23, v7
	v_lshrrev_b32_e32 v8, 4, v8
	v_sub_nc_u32_e32 v7, v8, v7
	v_ashrrev_i32_e32 v8, 8, v9
	v_add_nc_u32_e32 v7, 0x3c000000, v7
	v_and_or_b32 v7, 0x7f800000, v8, v7
	v_cndmask_b32_e32 v3, 0, v7, vcc_lo
	v_and_or_b32 v2, 0x80000000, v2, v3
	v_cvt_f64_f32_e32 v[2:3], v2
.LBB8_1263:
	s_mov_b32 s1, 0
.LBB8_1264:
	s_andn2_b32 vcc_lo, exec_lo, s1
	s_cbranch_vccnz .LBB8_1266
; %bb.1265:
	global_load_ubyte v2, v[4:5], off
	s_waitcnt vmcnt(0)
	v_lshlrev_b32_e32 v3, 25, v2
	v_lshlrev_b16 v2, 8, v2
	v_lshrrev_b32_e32 v7, 4, v3
	v_and_or_b32 v8, 0x7f00, v2, 0.5
	v_cmp_gt_u32_e32 vcc_lo, 0x8000000, v3
	v_bfe_i32 v2, v2, 0, 16
	v_or_b32_e32 v7, 0x70000000, v7
	v_add_f32_e32 v8, -0.5, v8
	v_mul_f32_e32 v7, 0x7800000, v7
	v_cndmask_b32_e32 v3, v7, v8, vcc_lo
	v_and_or_b32 v2, 0x80000000, v2, v3
	v_cvt_f64_f32_e32 v[2:3], v2
.LBB8_1266:
	s_mov_b32 s1, 0
	s_mov_b32 s13, -1
.LBB8_1267:
	s_andn2_b32 vcc_lo, exec_lo, s1
	s_mov_b32 s1, 0
	s_cbranch_vccnz .LBB8_1276
; %bb.1268:
	s_cmp_gt_i32 s6, 14
	s_cbranch_scc0 .LBB8_1271
; %bb.1269:
	s_cmp_eq_u32 s6, 15
	s_cbranch_scc0 .LBB8_1272
; %bb.1270:
	global_load_ushort v2, v[4:5], off
	s_mov_b32 s0, 0
	s_mov_b32 s13, -1
	s_waitcnt vmcnt(0)
	v_lshlrev_b32_e32 v2, 16, v2
	v_cvt_f64_f32_e32 v[2:3], v2
	s_branch .LBB8_1274
.LBB8_1271:
	s_mov_b32 s1, -1
	s_branch .LBB8_1273
.LBB8_1272:
	s_mov_b32 s0, -1
.LBB8_1273:
                                        ; implicit-def: $vgpr2_vgpr3
.LBB8_1274:
	s_and_b32 vcc_lo, exec_lo, s1
	s_mov_b32 s1, 0
	s_cbranch_vccz .LBB8_1276
; %bb.1275:
	s_cmp_lg_u32 s6, 11
	s_mov_b32 s1, -1
	s_cselect_b32 s0, -1, 0
.LBB8_1276:
	s_and_b32 vcc_lo, exec_lo, s0
	s_cbranch_vccnz .LBB8_1347
; %bb.1277:
	s_andn2_b32 vcc_lo, exec_lo, s1
	s_cbranch_vccnz .LBB8_1279
.LBB8_1278:
	global_load_ubyte v2, v[4:5], off
	s_mov_b32 s13, -1
	s_waitcnt vmcnt(0)
	v_cmp_ne_u16_e32 vcc_lo, 0, v2
	v_mov_b32_e32 v2, 0
	v_cndmask_b32_e64 v3, 0, 0x3ff00000, vcc_lo
.LBB8_1279:
	s_branch .LBB8_1205
.LBB8_1280:
	s_cmp_lt_i32 s6, 5
	s_cbranch_scc1 .LBB8_1285
; %bb.1281:
	s_cmp_lt_i32 s6, 8
	s_cbranch_scc1 .LBB8_1286
; %bb.1282:
	;; [unrolled: 3-line block ×3, first 2 shown]
	s_cmp_gt_i32 s6, 9
	s_cbranch_scc0 .LBB8_1288
; %bb.1284:
	global_load_dwordx2 v[2:3], v[4:5], off
	s_mov_b32 s0, 0
	s_branch .LBB8_1289
.LBB8_1285:
                                        ; implicit-def: $vgpr2_vgpr3
	s_branch .LBB8_1307
.LBB8_1286:
	s_mov_b32 s0, -1
                                        ; implicit-def: $vgpr2_vgpr3
	s_branch .LBB8_1295
.LBB8_1287:
	s_mov_b32 s0, -1
                                        ; implicit-def: $vgpr2_vgpr3
	s_branch .LBB8_1292
.LBB8_1288:
	s_mov_b32 s0, -1
                                        ; implicit-def: $vgpr2_vgpr3
.LBB8_1289:
	s_andn2_b32 vcc_lo, exec_lo, s0
	s_cbranch_vccnz .LBB8_1291
; %bb.1290:
	global_load_dword v2, v[4:5], off
	s_waitcnt vmcnt(0)
	v_cvt_f64_f32_e32 v[2:3], v2
.LBB8_1291:
	s_mov_b32 s0, 0
.LBB8_1292:
	s_andn2_b32 vcc_lo, exec_lo, s0
	s_cbranch_vccnz .LBB8_1294
; %bb.1293:
	global_load_dword v2, v[4:5], off
	s_waitcnt vmcnt(0)
	v_cvt_f32_f16_e32 v2, v2
	v_cvt_f64_f32_e32 v[2:3], v2
.LBB8_1294:
	s_mov_b32 s0, 0
.LBB8_1295:
	s_andn2_b32 vcc_lo, exec_lo, s0
	s_cbranch_vccnz .LBB8_1306
; %bb.1296:
	s_cmp_lt_i32 s6, 6
	s_cbranch_scc1 .LBB8_1299
; %bb.1297:
	s_cmp_gt_i32 s6, 6
	s_cbranch_scc0 .LBB8_1300
; %bb.1298:
	global_load_dwordx2 v[2:3], v[4:5], off
	s_mov_b32 s0, 0
	s_branch .LBB8_1301
.LBB8_1299:
	s_mov_b32 s0, -1
                                        ; implicit-def: $vgpr2_vgpr3
	s_branch .LBB8_1304
.LBB8_1300:
	s_mov_b32 s0, -1
                                        ; implicit-def: $vgpr2_vgpr3
.LBB8_1301:
	s_andn2_b32 vcc_lo, exec_lo, s0
	s_cbranch_vccnz .LBB8_1303
; %bb.1302:
	global_load_dword v2, v[4:5], off
	s_waitcnt vmcnt(0)
	v_cvt_f64_f32_e32 v[2:3], v2
.LBB8_1303:
	s_mov_b32 s0, 0
.LBB8_1304:
	s_andn2_b32 vcc_lo, exec_lo, s0
	s_cbranch_vccnz .LBB8_1306
; %bb.1305:
	global_load_ushort v2, v[4:5], off
	s_waitcnt vmcnt(0)
	v_cvt_f32_f16_e32 v2, v2
	v_cvt_f64_f32_e32 v[2:3], v2
.LBB8_1306:
	s_cbranch_execnz .LBB8_1326
.LBB8_1307:
	s_cmp_lt_i32 s6, 2
	s_cbranch_scc1 .LBB8_1311
; %bb.1308:
	s_cmp_lt_i32 s6, 3
	s_cbranch_scc1 .LBB8_1312
; %bb.1309:
	s_cmp_gt_i32 s6, 3
	s_cbranch_scc0 .LBB8_1313
; %bb.1310:
	global_load_dwordx2 v[2:3], v[4:5], off
	s_mov_b32 s0, 0
	s_waitcnt vmcnt(0)
	v_cvt_f64_i32_e32 v[7:8], v3
	v_cvt_f64_u32_e32 v[2:3], v2
	v_ldexp_f64 v[7:8], v[7:8], 32
	v_add_f64 v[2:3], v[7:8], v[2:3]
	s_branch .LBB8_1314
.LBB8_1311:
	s_mov_b32 s0, -1
                                        ; implicit-def: $vgpr2_vgpr3
	s_branch .LBB8_1320
.LBB8_1312:
	s_mov_b32 s0, -1
                                        ; implicit-def: $vgpr2_vgpr3
	s_branch .LBB8_1317
.LBB8_1313:
	s_mov_b32 s0, -1
                                        ; implicit-def: $vgpr2_vgpr3
.LBB8_1314:
	s_andn2_b32 vcc_lo, exec_lo, s0
	s_cbranch_vccnz .LBB8_1316
; %bb.1315:
	global_load_dword v2, v[4:5], off
	s_waitcnt vmcnt(0)
	v_cvt_f64_i32_e32 v[2:3], v2
.LBB8_1316:
	s_mov_b32 s0, 0
.LBB8_1317:
	s_andn2_b32 vcc_lo, exec_lo, s0
	s_cbranch_vccnz .LBB8_1319
; %bb.1318:
	global_load_sshort v2, v[4:5], off
	s_waitcnt vmcnt(0)
	v_cvt_f64_i32_e32 v[2:3], v2
.LBB8_1319:
	s_mov_b32 s0, 0
.LBB8_1320:
	s_andn2_b32 vcc_lo, exec_lo, s0
	s_cbranch_vccnz .LBB8_1326
; %bb.1321:
	s_cmp_gt_i32 s6, 0
	s_mov_b32 s0, 0
	s_cbranch_scc0 .LBB8_1323
; %bb.1322:
	global_load_sbyte v2, v[4:5], off
	s_waitcnt vmcnt(0)
	v_cvt_f64_i32_e32 v[2:3], v2
	s_branch .LBB8_1324
.LBB8_1323:
	s_mov_b32 s0, -1
                                        ; implicit-def: $vgpr2_vgpr3
.LBB8_1324:
	s_andn2_b32 vcc_lo, exec_lo, s0
	s_cbranch_vccnz .LBB8_1326
; %bb.1325:
	global_load_ubyte v2, v[4:5], off
	s_waitcnt vmcnt(0)
	v_cvt_f64_u32_e32 v[2:3], v2
.LBB8_1326:
.LBB8_1327:
	v_mov_b32_e32 v4, 0
	v_mov_b32_e32 v5, 0x7ff00000
	s_mov_b32 s13, exec_lo
	s_waitcnt vmcnt(0)
	v_cmpx_neq_f64_e32 0, v[2:3]
	s_cbranch_execz .LBB8_1335
; %bb.1328:
	v_mov_b32_e32 v4, 0
	v_mov_b32_e32 v5, 0x7ff80000
	s_mov_b32 s14, exec_lo
	v_cmpx_ngt_f64_e32 0, v[2:3]
	s_cbranch_execz .LBB8_1334
; %bb.1329:
                                        ; implicit-def: $vgpr4_vgpr5
	s_mov_b32 s0, exec_lo
	v_cmpx_ge_f64_e32 2.0, v[2:3]
	s_xor_b32 s15, exec_lo, s0
	s_cbranch_execz .LBB8_1331
; %bb.1330:
	v_fma_f64 v[4:5], v[2:3], 0.5, -2.0
	s_mov_b32 s0, 0xc38a0576
	s_mov_b32 s1, 0xbc7857d0
	;; [unrolled: 1-line block ×4, first 2 shown]
	v_mul_f64 v[13:14], v[2:3], 0.5
	v_fma_f64 v[29:30], v[2:3], v[2:3], -2.0
	s_mov_b32 s19, 0xbc603228
	s_mov_b32 s18, 0x3d3cda56
	;; [unrolled: 1-line block ×4, first 2 shown]
	v_fma_f64 v[7:8], v[4:5], s[16:17], s[0:1]
	s_mov_b32 s17, 0xbc499f2a
	s_mov_b32 s0, 0xe593bfac
	;; [unrolled: 1-line block ×3, first 2 shown]
	v_frexp_mant_f64_e32 v[15:16], v[13:14]
	v_fma_f64 v[11:12], v[4:5], v[7:8], s[16:17]
	s_mov_b32 s16, 0x97eb07de
	s_mov_b32 s17, 0xbdd25103
	v_add_f64 v[11:12], v[11:12], s[0:1]
	s_mov_b32 s0, 0x7e0d1573
	s_mov_b32 s1, 0xbcd3eaaa
	v_fma_f64 v[7:8], v[4:5], v[11:12], -v[7:8]
	v_add_f64 v[7:8], v[7:8], s[0:1]
	s_mov_b32 s0, 0x615290c
	s_mov_b32 s1, 0x3d011d7f
	v_fma_f64 v[11:12], v[4:5], v[7:8], -v[11:12]
	;; [unrolled: 4-line block ×6, first 2 shown]
	v_add_f64 v[11:12], v[11:12], s[0:1]
	s_mov_b32 s1, 0x3fe55555
	s_mov_b32 s0, 0x55555555
	v_cmp_gt_f64_e32 vcc_lo, s[0:1], v[15:16]
	s_mov_b32 s0, 0x55555780
	v_fma_f64 v[7:8], v[4:5], v[11:12], -v[7:8]
	v_cndmask_b32_e64 v9, 0, 1, vcc_lo
	v_ldexp_f64 v[15:16], v[15:16], v9
	v_frexp_exp_i32_f64_e32 v9, v[13:14]
	v_add_f64 v[7:8], v[7:8], s[16:17]
	s_mov_b32 s16, 0xb43fdf6c
	s_mov_b32 s17, 0x3df8ea34
	v_add_f64 v[17:18], v[15:16], 1.0
	v_add_f64 v[23:24], v[15:16], -1.0
	v_subrev_co_ci_u32_e64 v9, null, 0, v9, vcc_lo
	v_fma_f64 v[11:12], v[4:5], v[7:8], -v[11:12]
	v_rcp_f64_e32 v[19:20], v[17:18]
	v_add_f64 v[25:26], v[17:18], -1.0
	v_add_f64 v[11:12], v[11:12], s[16:17]
	s_mov_b32 s16, 0x28ea67e6
	s_mov_b32 s17, 0xbe20361b
	v_add_f64 v[15:16], v[15:16], -v[25:26]
	v_fma_f64 v[21:22], -v[17:18], v[19:20], 1.0
	v_fma_f64 v[7:8], v[4:5], v[11:12], -v[7:8]
	v_fma_f64 v[19:20], v[21:22], v[19:20], v[19:20]
	v_add_f64 v[7:8], v[7:8], s[16:17]
	s_mov_b32 s16, 0x2395010
	s_mov_b32 s17, 0x3e44258e
	v_fma_f64 v[21:22], -v[17:18], v[19:20], 1.0
	v_fma_f64 v[11:12], v[4:5], v[7:8], -v[11:12]
	v_fma_f64 v[19:20], v[21:22], v[19:20], v[19:20]
	v_add_f64 v[11:12], v[11:12], s[16:17]
	s_mov_b32 s16, 0x24b8c3e8
	s_mov_b32 s17, 0xbe67dd3e
	v_mul_f64 v[21:22], v[23:24], v[19:20]
	v_fma_f64 v[7:8], v[4:5], v[11:12], -v[7:8]
	v_mul_f64 v[27:28], v[17:18], v[21:22]
	v_add_f64 v[7:8], v[7:8], s[16:17]
	s_mov_b32 s16, 0xb347d108
	s_mov_b32 s17, 0x3e8ae344
	v_fma_f64 v[17:18], v[21:22], v[17:18], -v[27:28]
	v_fma_f64 v[11:12], v[4:5], v[7:8], -v[11:12]
	v_fma_f64 v[15:16], v[21:22], v[15:16], v[17:18]
	v_add_f64 v[11:12], v[11:12], s[16:17]
	s_mov_b32 s16, 0x7a0399e0
	s_mov_b32 s17, 0xbce5dd51
	v_fma_f64 v[31:32], v[29:30], s[18:19], s[16:17]
	s_mov_b32 s19, 0x3c603228
	s_mov_b32 s16, 0xddd0e045
	;; [unrolled: 1-line block ×3, first 2 shown]
	v_add_f64 v[17:18], v[27:28], v[15:16]
	v_fma_f64 v[7:8], v[4:5], v[11:12], -v[7:8]
	v_add_f64 v[25:26], v[23:24], -v[17:18]
	v_add_f64 v[27:28], v[17:18], -v[27:28]
	v_add_f64 v[7:8], v[7:8], s[20:21]
	s_mov_b32 s20, 0xd3d694fe
	s_mov_b32 s21, 0xbf2533ca
	v_add_f64 v[23:24], v[23:24], -v[25:26]
	v_add_f64 v[15:16], v[27:28], -v[15:16]
	v_fma_f64 v[11:12], v[4:5], v[7:8], -v[11:12]
	v_add_f64 v[17:18], v[23:24], -v[17:18]
	v_fma_f64 v[23:24], v[29:30], v[31:32], s[18:19]
	s_mov_b32 s18, 0xd511afc5
	s_mov_b32 s19, 0x3ecd1c4e
	v_add_f64 v[11:12], v[11:12], s[18:19]
	s_mov_b32 s18, 0xb8debbcf
	s_mov_b32 s19, 0xbeebd5f9
	v_add_f64 v[15:16], v[15:16], v[17:18]
	v_add_f64 v[17:18], v[23:24], s[16:17]
	s_mov_b32 s16, 0xb84626ca
	s_mov_b32 s17, 0xbde3663b
	v_fma_f64 v[7:8], v[4:5], v[11:12], -v[7:8]
	v_add_f64 v[15:16], v[25:26], v[15:16]
	v_fma_f64 v[23:24], v[29:30], v[17:18], -v[31:32]
	v_add_f64 v[7:8], v[7:8], s[18:19]
	s_mov_b32 s18, 0x42c70d0b
	s_mov_b32 s19, 0x3f0911b5
	v_mul_f64 v[15:16], v[19:20], v[15:16]
	v_add_f64 v[19:20], v[23:24], s[16:17]
	s_mov_b32 s16, 0x145c31d0
	s_mov_b32 s17, 0xbe57c41d
	v_fma_f64 v[11:12], v[4:5], v[7:8], -v[11:12]
	v_add_f64 v[23:24], v[21:22], v[15:16]
	v_fma_f64 v[17:18], v[29:30], v[19:20], -v[17:18]
	v_add_f64 v[11:12], v[11:12], s[18:19]
	s_mov_b32 s18, 0xbf559e2b
	s_mov_b32 s19, 0x3fc3ab76
	v_mul_f64 v[25:26], v[23:24], v[23:24]
	v_add_f64 v[17:18], v[17:18], s[16:17]
	s_mov_b32 s16, 0x6b47b09a
	s_mov_b32 s17, 0x3fc38538
	v_add_f64 v[21:22], v[23:24], -v[21:22]
	v_fma_f64 v[7:8], v[4:5], v[11:12], -v[7:8]
	v_fma_f64 v[27:28], v[25:26], s[18:19], s[16:17]
	v_fma_f64 v[19:20], v[29:30], v[17:18], -v[19:20]
	s_mov_b32 s16, 0x2c832e3a
	s_mov_b32 s17, 0xbec469b3
	;; [unrolled: 1-line block ×4, first 2 shown]
	v_mul_f64 v[31:32], v[23:24], v[25:26]
	v_add_f64 v[15:16], v[15:16], -v[21:22]
	v_add_f64 v[7:8], v[7:8], s[20:21]
	s_mov_b32 s20, 0xb6c6df7d
	s_mov_b32 s21, 0x3f40c95d
	v_fma_f64 v[27:28], v[25:26], v[27:28], s[18:19]
	v_add_f64 v[19:20], v[19:20], s[16:17]
	s_mov_b32 s16, 0x16291751
	s_mov_b32 s17, 0x3fcc71c0
	;; [unrolled: 1-line block ×4, first 2 shown]
	v_ldexp_f64 v[15:16], v[15:16], 1
	v_fma_f64 v[11:12], v[4:5], v[7:8], -v[11:12]
	v_fma_f64 v[27:28], v[25:26], v[27:28], s[16:17]
	v_fma_f64 v[17:18], v[29:30], v[19:20], -v[17:18]
	s_mov_b32 s16, 0xe5a3bd02
	s_mov_b32 s17, 0xbf26ade2
	v_add_f64 v[11:12], v[11:12], s[20:21]
	s_mov_b32 s20, 0xe7bb2349
	s_mov_b32 s21, 0x3f9951e3
	v_fma_f64 v[27:28], v[25:26], v[27:28], s[18:19]
	v_add_f64 v[17:18], v[17:18], s[16:17]
	s_mov_b32 s16, 0x998ef7b6
	s_mov_b32 s17, 0x3fd99999
	;; [unrolled: 1-line block ×4, first 2 shown]
	v_fma_f64 v[7:8], v[4:5], v[11:12], -v[7:8]
	v_fma_f64 v[27:28], v[25:26], v[27:28], s[16:17]
	v_fma_f64 v[19:20], v[29:30], v[17:18], -v[19:20]
	s_mov_b32 s16, 0x9d7d4192
	s_mov_b32 s17, 0xbf7c9293
	v_add_f64 v[7:8], v[7:8], s[18:19]
	s_mov_b32 s18, 0x49d3a1b4
	s_mov_b32 s19, 0x3f710653
	v_fma_f64 v[25:26], v[25:26], v[27:28], s[0:1]
	v_add_f64 v[19:20], v[19:20], s[16:17]
	v_ldexp_f64 v[27:28], v[23:24], 1
	s_mov_b32 s0, 0x43c1db74
	s_mov_b32 s1, 0xbfbf6372
	;; [unrolled: 1-line block ×4, first 2 shown]
	v_mul_f64 v[33:34], v[2:3], s[16:17]
	s_mov_b32 s16, 0x757b0dd4
	s_mov_b32 s17, 0xbfd69a1b
	v_fma_f64 v[11:12], v[4:5], v[7:8], -v[11:12]
	v_mul_f64 v[25:26], v[31:32], v[25:26]
	v_fma_f64 v[17:18], v[29:30], v[19:20], -v[17:18]
	v_cvt_f64_i32_e32 v[31:32], v9
	v_add_f64 v[11:12], v[11:12], s[18:19]
	s_mov_b32 s18, 0x7913a26a
	s_mov_b32 s19, 0xbf85a29f
	v_add_f64 v[23:24], v[27:28], v[25:26]
	v_add_f64 v[17:18], v[17:18], s[0:1]
	s_mov_b32 s1, 0x3fe62e42
	s_mov_b32 s0, 0xfefa39ef
	v_mul_f64 v[35:36], v[31:32], s[0:1]
	v_fma_f64 v[7:8], v[4:5], v[11:12], -v[7:8]
	v_add_f64 v[21:22], v[23:24], -v[27:28]
	v_fma_f64 v[19:20], v[29:30], v[17:18], -v[19:20]
	v_rndne_f64_e32 v[27:28], v[33:34]
	v_fma_f64 v[33:34], v[31:32], s[0:1], -v[35:36]
	s_mov_b32 s1, 0xbfe62e42
	v_add_f64 v[7:8], v[7:8], s[18:19]
	s_mov_b32 s18, 0x6a5dcb37
	s_mov_b32 s19, 0x3e5ade15
	v_add_f64 v[21:22], v[25:26], -v[21:22]
	v_add_f64 v[19:20], v[19:20], s[16:17]
	v_fma_f64 v[25:26], v[27:28], s[0:1], v[2:3]
	s_mov_b32 s1, 0x3c7abc9e
	s_mov_b32 s0, 0x3b39803f
	;; [unrolled: 1-line block ×3, first 2 shown]
	v_fma_f64 v[31:32], v[31:32], s[0:1], v[33:34]
	s_mov_b32 s1, 0xbc7abc9e
	s_mov_b32 s17, 0x3e928af3
	v_cvt_i32_f64_e32 v9, v[27:28]
	v_fma_f64 v[11:12], v[4:5], v[7:8], -v[11:12]
	v_add_f64 v[15:16], v[15:16], v[21:22]
	v_fma_f64 v[19:20], v[29:30], v[19:20], -v[17:18]
	v_fma_f64 v[21:22], v[27:28], s[0:1], v[25:26]
	s_mov_b32 s0, 0x361008ca
	s_mov_b32 s1, 0x3ff867a1
	v_add_f64 v[25:26], v[35:36], v[31:32]
	v_add_f64 v[11:12], v[11:12], s[20:21]
	;; [unrolled: 1-line block ×4, first 2 shown]
	v_fma_f64 v[33:34], v[21:22], s[18:19], s[16:17]
	s_mov_b32 s0, 0x623fde64
	s_mov_b32 s1, 0x3ec71dee
	;; [unrolled: 1-line block ×4, first 2 shown]
	v_add_f64 v[35:36], v[25:26], -v[35:36]
	v_fma_f64 v[7:8], v[4:5], v[11:12], -v[7:8]
	v_add_f64 v[37:38], v[25:26], v[29:30]
	v_add_f64 v[17:18], v[19:20], -v[17:18]
	v_fma_f64 v[33:34], v[21:22], v[33:34], s[0:1]
	s_mov_b32 s0, 0x7c89e6b0
	s_mov_b32 s1, 0x3efa0199
	v_add_f64 v[23:24], v[29:30], -v[23:24]
	v_add_f64 v[31:32], v[31:32], -v[35:36]
	v_add_f64 v[7:8], v[7:8], s[16:17]
	s_mov_b32 s16, 0xd536f53c
	s_mov_b32 s17, 0x3fba46da
	v_add_f64 v[19:20], v[37:38], -v[25:26]
	v_mul_f64 v[17:18], v[17:18], 0.5
	v_fma_f64 v[33:34], v[21:22], v[33:34], s[0:1]
	s_mov_b32 s0, 0x14761f6e
	s_mov_b32 s1, 0x3f2a01a0
	v_add_f64 v[15:16], v[15:16], -v[23:24]
	v_fma_f64 v[11:12], v[4:5], v[7:8], -v[11:12]
	v_add_f64 v[39:40], v[37:38], -v[19:20]
	v_div_scale_f64 v[41:42], null, v[2:3], v[2:3], v[17:18]
	v_fma_f64 v[33:34], v[21:22], v[33:34], s[0:1]
	s_mov_b32 s0, 0x1852b7b0
	s_mov_b32 s1, 0x3f56c16c
	v_add_f64 v[19:20], v[29:30], -v[19:20]
	v_add_f64 v[11:12], v[11:12], s[16:17]
	s_mov_b32 s16, 0x469192e
	s_mov_b32 s17, 0xbfc694d1
	v_add_f64 v[23:24], v[25:26], -v[39:40]
	v_rcp_f64_e32 v[29:30], v[41:42]
	v_fma_f64 v[25:26], v[21:22], v[33:34], s[0:1]
	s_mov_b32 s0, 0x11122322
	s_mov_b32 s1, 0x3f811111
	v_add_f64 v[33:34], v[31:32], v[15:16]
	v_fma_f64 v[7:8], v[4:5], v[11:12], -v[7:8]
	v_add_f64 v[19:20], v[19:20], v[23:24]
	v_fma_f64 v[23:24], v[21:22], v[25:26], s[0:1]
	v_fma_f64 v[25:26], -v[41:42], v[29:30], 1.0
	s_mov_b32 s0, 0x555502a1
	s_mov_b32 s1, 0x3fa55555
	v_add_f64 v[35:36], v[33:34], -v[31:32]
	v_add_f64 v[7:8], v[7:8], s[16:17]
	s_mov_b32 s16, 0x724a7ffa
	s_mov_b32 s17, 0x3fd02a63
	v_add_f64 v[19:20], v[33:34], v[19:20]
	v_fma_f64 v[23:24], v[21:22], v[23:24], s[0:1]
	v_fma_f64 v[25:26], v[29:30], v[25:26], v[29:30]
	s_mov_b32 s0, 0x55555511
	s_mov_b32 s1, 0x3fc55555
	v_add_f64 v[29:30], v[33:34], -v[35:36]
	v_add_f64 v[15:16], v[15:16], -v[35:36]
	v_div_scale_f64 v[35:36], vcc_lo, v[17:18], v[2:3], v[17:18]
	v_fma_f64 v[4:5], v[4:5], v[7:8], -v[11:12]
	v_add_f64 v[33:34], v[37:38], v[19:20]
	v_fma_f64 v[23:24], v[21:22], v[23:24], s[0:1]
	v_fma_f64 v[7:8], -v[41:42], v[25:26], 1.0
	s_mov_b32 s0, 11
	s_mov_b32 s1, 0x3fe00000
	v_add_f64 v[29:30], v[31:32], -v[29:30]
	v_add_f64 v[4:5], v[4:5], s[16:17]
	v_add_f64 v[31:32], v[33:34], -v[37:38]
	v_fma_f64 v[23:24], v[21:22], v[23:24], s[0:1]
	v_fma_f64 v[7:8], v[25:26], v[7:8], v[25:26]
	v_cmp_neq_f64_e64 s0, 0, v[13:14]
	v_add_f64 v[15:16], v[15:16], v[29:30]
	v_add_f64 v[4:5], v[4:5], -v[11:12]
	v_add_f64 v[19:20], v[19:20], -v[31:32]
	v_fma_f64 v[23:24], v[21:22], v[23:24], 1.0
	v_mul_f64 v[11:12], v[35:36], v[7:8]
	v_mul_f64 v[4:5], v[4:5], 0.5
	v_add_f64 v[15:16], v[15:16], v[19:20]
	v_fma_f64 v[19:20], v[21:22], v[23:24], 1.0
	v_fma_f64 v[21:22], -v[41:42], v[11:12], v[35:36]
	v_mul_f64 v[4:5], v[2:3], v[4:5]
	v_add_f64 v[15:16], v[33:34], v[15:16]
	v_ldexp_f64 v[19:20], v[19:20], v9
	v_div_fmas_f64 v[7:8], v[21:22], v[7:8], v[11:12]
	v_cmp_neq_f64_e32 vcc_lo, 0x7ff00000, v[13:14]
	v_mul_f64 v[4:5], v[19:20], v[4:5]
	v_div_fixup_f64 v[2:3], v[7:8], v[2:3], v[17:18]
	v_cndmask_b32_e32 v9, 0x7ff00000, v16, vcc_lo
	s_and_b32 vcc_lo, s0, vcc_lo
	v_cndmask_b32_e32 v7, 0, v15, vcc_lo
	v_cndmask_b32_e64 v8, 0xfff00000, v9, s0
	v_fma_f64 v[4:5], v[7:8], v[4:5], v[2:3]
                                        ; implicit-def: $vgpr2_vgpr3
.LBB8_1331:
	s_andn2_saveexec_b32 s1, s15
	s_cbranch_execz .LBB8_1333
; %bb.1332:
	v_div_scale_f64 v[4:5], null, v[2:3], v[2:3], 0x40200000
	v_div_scale_f64 v[13:14], vcc_lo, 0x40200000, v[2:3], 0x40200000
	s_mov_b32 s16, 0x838f5ed3
	s_mov_b32 s17, 0x3c74af1a
	;; [unrolled: 1-line block ×4, first 2 shown]
	v_cmp_nlt_f64_e64 s0, 0x4090cc00, v[2:3]
	v_rcp_f64_e32 v[7:8], v[4:5]
	v_fma_f64 v[11:12], -v[4:5], v[7:8], 1.0
	v_fma_f64 v[7:8], v[7:8], v[11:12], v[7:8]
	v_fma_f64 v[11:12], -v[4:5], v[7:8], 1.0
	v_fma_f64 v[7:8], v[7:8], v[11:12], v[7:8]
	v_mul_f64 v[11:12], v[13:14], v[7:8]
	v_fma_f64 v[4:5], -v[4:5], v[11:12], v[13:14]
	v_div_fmas_f64 v[4:5], v[4:5], v[7:8], v[11:12]
	v_cmp_gt_f64_e32 vcc_lo, 0x10000000, v[2:3]
	v_div_fixup_f64 v[4:5], v[4:5], v[2:3], 0x40200000
	v_cndmask_b32_e64 v9, 0, 0x100, vcc_lo
	v_ldexp_f64 v[19:20], v[2:3], v9
	v_add_f64 v[4:5], v[4:5], -2.0
	v_rsq_f64_e32 v[21:22], v[19:20]
	v_fma_f64 v[7:8], v[4:5], s[18:19], s[16:17]
	s_mov_b32 s19, 0x3c5a8c5d
	s_mov_b32 s16, 0x17771d52
	;; [unrolled: 1-line block ×3, first 2 shown]
	v_mul_f64 v[23:24], v[19:20], v[21:22]
	v_mul_f64 v[21:22], v[21:22], 0.5
	v_fma_f64 v[11:12], v[4:5], v[7:8], s[18:19]
	s_mov_b32 s18, 0x6a5dcb37
	s_mov_b32 s19, 0x3e5ade15
	v_fma_f64 v[25:26], -v[21:22], v[23:24], 0.5
	v_add_f64 v[11:12], v[11:12], s[16:17]
	s_mov_b32 s16, 0x44ee2c0b
	s_mov_b32 s17, 0x3caa7d5e
	v_fma_f64 v[23:24], v[23:24], v[25:26], v[23:24]
	v_fma_f64 v[21:22], v[21:22], v[25:26], v[21:22]
	v_fma_f64 v[7:8], v[4:5], v[11:12], -v[7:8]
	v_fma_f64 v[25:26], -v[23:24], v[23:24], v[19:20]
	v_add_f64 v[7:8], v[7:8], s[16:17]
	s_mov_b32 s16, 0xd8758ef2
	s_mov_b32 s17, 0xbcc5d2a3
	v_fma_f64 v[11:12], v[4:5], v[7:8], -v[11:12]
	v_add_f64 v[11:12], v[11:12], s[16:17]
	s_mov_b32 s16, 0xefee81bd
	s_mov_b32 s17, 0x3ce25ced
	v_fma_f64 v[7:8], v[4:5], v[11:12], -v[7:8]
	;; [unrolled: 4-line block ×14, first 2 shown]
	v_add_f64 v[7:8], v[7:8], s[16:17]
	s_mov_b32 s16, 0x652b82fe
	s_mov_b32 s17, 0xbff71547
	v_mul_f64 v[13:14], v[2:3], s[16:17]
	s_mov_b32 s16, 0x8fada5c6
	s_mov_b32 s17, 0xbe978052
	v_fma_f64 v[11:12], v[4:5], v[7:8], -v[11:12]
	v_rndne_f64_e32 v[13:14], v[13:14]
	v_add_f64 v[11:12], v[11:12], s[16:17]
	s_mov_b32 s16, 0xfefa39ef
	s_mov_b32 s17, 0xbfe62e42
	v_fma_f64 v[15:16], v[13:14], s[16:17], -v[2:3]
	s_mov_b32 s16, 0x3b39803f
	s_mov_b32 s17, 0xbc7abc9e
	v_cvt_i32_f64_e32 v9, v[13:14]
	v_fma_f64 v[7:8], v[4:5], v[11:12], -v[7:8]
	v_fma_f64 v[15:16], v[13:14], s[16:17], v[15:16]
	s_mov_b32 s16, 0x1752d1b6
	s_mov_b32 s17, 0x3ec42fe3
	v_add_f64 v[7:8], v[7:8], s[16:17]
	s_mov_b32 s16, 0xfca7ab0c
	s_mov_b32 s17, 0x3e928af3
	v_fma_f64 v[17:18], v[15:16], s[18:19], s[16:17]
	s_mov_b32 s16, 0x623fde64
	s_mov_b32 s17, 0x3ec71dee
	v_fma_f64 v[11:12], v[4:5], v[7:8], -v[11:12]
	v_fma_f64 v[17:18], v[15:16], v[17:18], s[16:17]
	s_mov_b32 s16, 0x1dcdb2e5
	s_mov_b32 s17, 0xbef44d71
	v_add_f64 v[11:12], v[11:12], s[16:17]
	s_mov_b32 s16, 0x7c89e6b0
	s_mov_b32 s17, 0x3efa0199
	v_fma_f64 v[17:18], v[15:16], v[17:18], s[16:17]
	s_mov_b32 s16, 0x14761f6e
	s_mov_b32 s17, 0x3f2a01a0
	;; [unrolled: 10-line block ×5, first 2 shown]
	v_fma_f64 v[4:5], v[4:5], v[7:8], -v[11:12]
	v_fma_f64 v[7:8], v[25:26], v[21:22], v[23:24]
	v_fma_f64 v[17:18], v[15:16], v[17:18], 1.0
	v_add_f64 v[4:5], v[4:5], s[16:17]
	v_fma_f64 v[23:24], -v[7:8], v[7:8], v[19:20]
	v_fma_f64 v[13:14], v[15:16], v[17:18], 1.0
	v_add_f64 v[4:5], v[4:5], -v[11:12]
	v_fma_f64 v[7:8], v[23:24], v[21:22], v[7:8]
	v_ldexp_f64 v[11:12], v[13:14], v9
	v_mul_f64 v[2:3], v[4:5], 0.5
	v_cndmask_b32_e64 v4, 0, 0xffffff80, vcc_lo
	v_cmp_class_f64_e64 vcc_lo, v[19:20], 0x260
	v_ldexp_f64 v[4:5], v[7:8], v4
	v_cndmask_b32_e64 v8, 0, v12, s0
	v_cndmask_b32_e64 v7, 0, v11, s0
	v_mul_f64 v[2:3], v[7:8], v[2:3]
	v_cndmask_b32_e32 v5, v5, v20, vcc_lo
	v_cndmask_b32_e32 v4, v4, v19, vcc_lo
	v_div_scale_f64 v[7:8], null, v[4:5], v[4:5], v[2:3]
	v_rcp_f64_e32 v[11:12], v[7:8]
	v_fma_f64 v[13:14], -v[7:8], v[11:12], 1.0
	v_fma_f64 v[11:12], v[11:12], v[13:14], v[11:12]
	v_fma_f64 v[13:14], -v[7:8], v[11:12], 1.0
	v_fma_f64 v[11:12], v[11:12], v[13:14], v[11:12]
	v_div_scale_f64 v[13:14], vcc_lo, v[2:3], v[4:5], v[2:3]
	v_mul_f64 v[15:16], v[13:14], v[11:12]
	v_fma_f64 v[7:8], -v[7:8], v[15:16], v[13:14]
	v_div_fmas_f64 v[7:8], v[7:8], v[11:12], v[15:16]
	v_div_fixup_f64 v[4:5], v[7:8], v[4:5], v[2:3]
.LBB8_1333:
	s_or_b32 exec_lo, exec_lo, s1
.LBB8_1334:
	s_or_b32 exec_lo, exec_lo, s14
.LBB8_1335:
	s_or_b32 exec_lo, exec_lo, s13
	v_add_nc_u32_e32 v11, s3, v6
	s_cmp_lt_i32 s6, 11
	v_ashrrev_i32_e32 v2, 31, v11
	v_add_co_u32 v6, vcc_lo, s10, v11
	v_add_co_ci_u32_e64 v7, null, s11, v2, vcc_lo
	s_cbranch_scc1 .LBB8_1342
; %bb.1336:
	s_cmp_gt_i32 s6, 25
	s_mov_b32 s1, 0
	s_cbranch_scc0 .LBB8_1344
; %bb.1337:
	s_cmp_gt_i32 s6, 28
	s_cbranch_scc0 .LBB8_1345
; %bb.1338:
	s_cmp_gt_i32 s6, 43
	;; [unrolled: 3-line block ×3, first 2 shown]
	s_cbranch_scc0 .LBB8_1348
; %bb.1340:
	s_cmp_eq_u32 s6, 46
	s_mov_b32 s14, 0
	s_cbranch_scc0 .LBB8_1349
; %bb.1341:
	global_load_dword v2, v[6:7], off
	s_mov_b32 s0, 0
	s_mov_b32 s13, -1
	s_waitcnt vmcnt(0)
	v_lshlrev_b32_e32 v2, 16, v2
	v_cvt_f64_f32_e32 v[2:3], v2
	s_branch .LBB8_1351
.LBB8_1342:
	s_mov_b32 s13, 0
                                        ; implicit-def: $vgpr2_vgpr3
	s_cbranch_execnz .LBB8_1417
.LBB8_1343:
	s_andn2_b32 vcc_lo, exec_lo, s13
	s_cbranch_vccnz .LBB8_1690
	s_branch .LBB8_1465
.LBB8_1344:
	s_mov_b32 s14, -1
	s_mov_b32 s13, 0
	s_mov_b32 s0, 0
                                        ; implicit-def: $vgpr2_vgpr3
	s_branch .LBB8_1382
.LBB8_1345:
	s_mov_b32 s14, -1
	s_mov_b32 s13, 0
	s_mov_b32 s0, 0
                                        ; implicit-def: $vgpr2_vgpr3
	s_branch .LBB8_1361
.LBB8_1346:
	s_mov_b32 s14, -1
	s_mov_b32 s13, 0
	s_mov_b32 s0, 0
                                        ; implicit-def: $vgpr2_vgpr3
	s_branch .LBB8_1356
.LBB8_1347:
	s_or_b32 s5, s5, exec_lo
	s_trap 2
	s_cbranch_execz .LBB8_1278
	s_branch .LBB8_1279
.LBB8_1348:
	s_mov_b32 s14, -1
	s_mov_b32 s13, 0
	s_mov_b32 s0, 0
	s_branch .LBB8_1350
.LBB8_1349:
	s_mov_b32 s0, -1
	s_mov_b32 s13, 0
.LBB8_1350:
                                        ; implicit-def: $vgpr2_vgpr3
.LBB8_1351:
	s_and_b32 vcc_lo, exec_lo, s14
	s_cbranch_vccz .LBB8_1355
; %bb.1352:
	s_cmp_eq_u32 s6, 44
	s_cbranch_scc0 .LBB8_1354
; %bb.1353:
	global_load_ubyte v8, v[6:7], off
	s_mov_b32 s0, 0
	s_mov_b32 s13, -1
	s_waitcnt vmcnt(0)
	v_lshlrev_b32_e32 v2, 23, v8
	v_cmp_ne_u32_e32 vcc_lo, 0xff, v8
	v_cvt_f64_f32_e32 v[2:3], v2
	v_cndmask_b32_e32 v2, 0x20000000, v2, vcc_lo
	v_cndmask_b32_e32 v3, 0x7ff80000, v3, vcc_lo
	v_cmp_ne_u32_e32 vcc_lo, 0, v8
	v_cndmask_b32_e32 v3, 0x38000000, v3, vcc_lo
	v_cndmask_b32_e32 v2, 0, v2, vcc_lo
	s_branch .LBB8_1355
.LBB8_1354:
	s_mov_b32 s0, -1
                                        ; implicit-def: $vgpr2_vgpr3
.LBB8_1355:
	s_mov_b32 s14, 0
.LBB8_1356:
	s_and_b32 vcc_lo, exec_lo, s14
	s_cbranch_vccz .LBB8_1360
; %bb.1357:
	s_cmp_eq_u32 s6, 29
	s_cbranch_scc0 .LBB8_1359
; %bb.1358:
	global_load_dwordx2 v[2:3], v[6:7], off
	s_mov_b32 s0, 0
	s_mov_b32 s13, -1
	s_mov_b32 s14, 0
	s_waitcnt vmcnt(0)
	v_cvt_f64_u32_e32 v[8:9], v3
	v_cvt_f64_u32_e32 v[2:3], v2
	v_ldexp_f64 v[8:9], v[8:9], 32
	v_add_f64 v[2:3], v[8:9], v[2:3]
	s_branch .LBB8_1361
.LBB8_1359:
	s_mov_b32 s0, -1
                                        ; implicit-def: $vgpr2_vgpr3
.LBB8_1360:
	s_mov_b32 s14, 0
.LBB8_1361:
	s_and_b32 vcc_lo, exec_lo, s14
	s_cbranch_vccz .LBB8_1381
; %bb.1362:
	s_cmp_lt_i32 s6, 27
	s_cbranch_scc1 .LBB8_1365
; %bb.1363:
	s_cmp_gt_i32 s6, 27
	s_cbranch_scc0 .LBB8_1366
; %bb.1364:
	global_load_dword v2, v[6:7], off
	s_mov_b32 s13, 0
	s_waitcnt vmcnt(0)
	v_cvt_f64_u32_e32 v[2:3], v2
	s_branch .LBB8_1367
.LBB8_1365:
	s_mov_b32 s13, -1
                                        ; implicit-def: $vgpr2_vgpr3
	s_branch .LBB8_1370
.LBB8_1366:
	s_mov_b32 s13, -1
                                        ; implicit-def: $vgpr2_vgpr3
.LBB8_1367:
	s_andn2_b32 vcc_lo, exec_lo, s13
	s_cbranch_vccnz .LBB8_1369
; %bb.1368:
	global_load_ushort v2, v[6:7], off
	s_waitcnt vmcnt(0)
	v_cvt_f64_u32_e32 v[2:3], v2
.LBB8_1369:
	s_mov_b32 s13, 0
.LBB8_1370:
	s_andn2_b32 vcc_lo, exec_lo, s13
	s_cbranch_vccnz .LBB8_1380
; %bb.1371:
	global_load_ubyte v8, v[6:7], off
	s_mov_b32 s13, 0
	s_mov_b32 s14, exec_lo
	s_waitcnt vmcnt(0)
	v_cmpx_lt_i16_e32 0x7f, v8
	s_xor_b32 s14, exec_lo, s14
	s_cbranch_execz .LBB8_1375
; %bb.1372:
	s_mov_b32 s13, -1
	s_mov_b32 s15, exec_lo
	v_cmpx_eq_u16_e32 0x80, v8
; %bb.1373:
	s_xor_b32 s13, exec_lo, -1
; %bb.1374:
	s_or_b32 exec_lo, exec_lo, s15
	s_and_b32 s13, s13, exec_lo
.LBB8_1375:
	s_or_saveexec_b32 s14, s14
	v_bfrev_b32_e32 v2, 4
	v_mov_b32_e32 v3, 0x7ff80000
	s_xor_b32 exec_lo, exec_lo, s14
; %bb.1376:
	v_cmp_ne_u16_e32 vcc_lo, 0, v8
	v_mov_b32_e32 v2, 0
	v_mov_b32_e32 v3, 0
	s_andn2_b32 s13, s13, exec_lo
	s_and_b32 s15, vcc_lo, exec_lo
	s_or_b32 s13, s13, s15
; %bb.1377:
	s_or_b32 exec_lo, exec_lo, s14
	s_and_saveexec_b32 s14, s13
	s_cbranch_execz .LBB8_1379
; %bb.1378:
	v_and_b32_e32 v2, 0xffff, v8
	v_lshlrev_b32_e32 v8, 24, v8
	v_and_b32_e32 v3, 7, v2
	v_bfe_u32 v13, v2, 3, 4
	v_ffbh_u32_e32 v9, v3
	v_cmp_eq_u32_e32 vcc_lo, 0, v13
	v_min_u32_e32 v9, 32, v9
	v_subrev_nc_u32_e32 v12, 28, v9
	v_sub_nc_u32_e32 v9, 29, v9
	v_lshlrev_b32_e32 v2, v12, v2
	v_cndmask_b32_e32 v9, v13, v9, vcc_lo
	v_and_b32_e32 v2, 7, v2
	v_cndmask_b32_e32 v2, v3, v2, vcc_lo
	v_and_b32_e32 v3, 0x80000000, v8
	v_lshl_add_u32 v8, v9, 23, 0x3b800000
	v_lshlrev_b32_e32 v2, 20, v2
	v_or3_b32 v2, v3, v8, v2
	v_cvt_f64_f32_e32 v[2:3], v2
.LBB8_1379:
	s_or_b32 exec_lo, exec_lo, s14
.LBB8_1380:
	s_mov_b32 s13, -1
.LBB8_1381:
	s_mov_b32 s14, 0
.LBB8_1382:
	s_and_b32 vcc_lo, exec_lo, s14
	s_cbranch_vccz .LBB8_1413
; %bb.1383:
	s_cmp_gt_i32 s6, 22
	s_cbranch_scc0 .LBB8_1395
; %bb.1384:
	s_cmp_lt_i32 s6, 24
	s_cbranch_scc1 .LBB8_1396
; %bb.1385:
	s_cmp_gt_i32 s6, 24
	s_cbranch_scc0 .LBB8_1397
; %bb.1386:
	global_load_ubyte v8, v[6:7], off
	s_mov_b32 s13, exec_lo
	s_waitcnt vmcnt(0)
	v_cmpx_lt_i16_e32 0x7f, v8
	s_xor_b32 s13, exec_lo, s13
	s_cbranch_execz .LBB8_1390
; %bb.1387:
	s_mov_b32 s1, -1
	s_mov_b32 s14, exec_lo
	v_cmpx_eq_u16_e32 0x80, v8
; %bb.1388:
	s_xor_b32 s1, exec_lo, -1
; %bb.1389:
	s_or_b32 exec_lo, exec_lo, s14
	s_and_b32 s1, s1, exec_lo
.LBB8_1390:
	s_or_saveexec_b32 s13, s13
	v_bfrev_b32_e32 v2, 4
	v_mov_b32_e32 v3, 0x7ff80000
	s_xor_b32 exec_lo, exec_lo, s13
; %bb.1391:
	v_cmp_ne_u16_e32 vcc_lo, 0, v8
	v_mov_b32_e32 v2, 0
	v_mov_b32_e32 v3, 0
	s_andn2_b32 s1, s1, exec_lo
	s_and_b32 s14, vcc_lo, exec_lo
	s_or_b32 s1, s1, s14
; %bb.1392:
	s_or_b32 exec_lo, exec_lo, s13
	s_and_saveexec_b32 s13, s1
	s_cbranch_execz .LBB8_1394
; %bb.1393:
	v_and_b32_e32 v2, 0xffff, v8
	v_lshlrev_b32_e32 v8, 24, v8
	v_and_b32_e32 v3, 3, v2
	v_bfe_u32 v13, v2, 2, 5
	v_ffbh_u32_e32 v9, v3
	v_cmp_eq_u32_e32 vcc_lo, 0, v13
	v_min_u32_e32 v9, 32, v9
	v_subrev_nc_u32_e32 v12, 29, v9
	v_sub_nc_u32_e32 v9, 30, v9
	v_lshlrev_b32_e32 v2, v12, v2
	v_cndmask_b32_e32 v9, v13, v9, vcc_lo
	v_and_b32_e32 v2, 3, v2
	v_cndmask_b32_e32 v2, v3, v2, vcc_lo
	v_and_b32_e32 v3, 0x80000000, v8
	v_lshl_add_u32 v8, v9, 23, 0x37800000
	v_lshlrev_b32_e32 v2, 21, v2
	v_or3_b32 v2, v3, v8, v2
	v_cvt_f64_f32_e32 v[2:3], v2
.LBB8_1394:
	s_or_b32 exec_lo, exec_lo, s13
	s_mov_b32 s1, 0
	s_branch .LBB8_1398
.LBB8_1395:
	s_mov_b32 s1, -1
                                        ; implicit-def: $vgpr2_vgpr3
	s_branch .LBB8_1404
.LBB8_1396:
	s_mov_b32 s1, -1
                                        ; implicit-def: $vgpr2_vgpr3
	s_branch .LBB8_1401
.LBB8_1397:
	s_mov_b32 s1, -1
                                        ; implicit-def: $vgpr2_vgpr3
.LBB8_1398:
	s_and_b32 vcc_lo, exec_lo, s1
	s_cbranch_vccz .LBB8_1400
; %bb.1399:
	global_load_ubyte v2, v[6:7], off
	s_waitcnt vmcnt(0)
	v_lshlrev_b32_e32 v2, 24, v2
	v_and_b32_e32 v3, 0x7f000000, v2
	v_ffbh_u32_e32 v8, v3
	v_add_nc_u32_e32 v12, 0x1000000, v3
	v_cmp_ne_u32_e32 vcc_lo, 0, v3
	v_min_u32_e32 v8, 32, v8
	v_sub_nc_u32_e64 v8, v8, 4 clamp
	v_lshlrev_b32_e32 v9, v8, v3
	v_lshlrev_b32_e32 v8, 23, v8
	v_lshrrev_b32_e32 v9, 4, v9
	v_sub_nc_u32_e32 v8, v9, v8
	v_ashrrev_i32_e32 v9, 8, v12
	v_add_nc_u32_e32 v8, 0x3c000000, v8
	v_and_or_b32 v8, 0x7f800000, v9, v8
	v_cndmask_b32_e32 v3, 0, v8, vcc_lo
	v_and_or_b32 v2, 0x80000000, v2, v3
	v_cvt_f64_f32_e32 v[2:3], v2
.LBB8_1400:
	s_mov_b32 s1, 0
.LBB8_1401:
	s_andn2_b32 vcc_lo, exec_lo, s1
	s_cbranch_vccnz .LBB8_1403
; %bb.1402:
	global_load_ubyte v2, v[6:7], off
	s_waitcnt vmcnt(0)
	v_lshlrev_b32_e32 v3, 25, v2
	v_lshlrev_b16 v2, 8, v2
	v_lshrrev_b32_e32 v8, 4, v3
	v_and_or_b32 v9, 0x7f00, v2, 0.5
	v_cmp_gt_u32_e32 vcc_lo, 0x8000000, v3
	v_bfe_i32 v2, v2, 0, 16
	v_or_b32_e32 v8, 0x70000000, v8
	v_add_f32_e32 v9, -0.5, v9
	v_mul_f32_e32 v8, 0x7800000, v8
	v_cndmask_b32_e32 v3, v8, v9, vcc_lo
	v_and_or_b32 v2, 0x80000000, v2, v3
	v_cvt_f64_f32_e32 v[2:3], v2
.LBB8_1403:
	s_mov_b32 s1, 0
	s_mov_b32 s13, -1
.LBB8_1404:
	s_andn2_b32 vcc_lo, exec_lo, s1
	s_mov_b32 s1, 0
	s_cbranch_vccnz .LBB8_1413
; %bb.1405:
	s_cmp_gt_i32 s6, 14
	s_cbranch_scc0 .LBB8_1408
; %bb.1406:
	s_cmp_eq_u32 s6, 15
	s_cbranch_scc0 .LBB8_1409
; %bb.1407:
	global_load_ushort v2, v[6:7], off
	s_mov_b32 s0, 0
	s_mov_b32 s13, -1
	s_waitcnt vmcnt(0)
	v_lshlrev_b32_e32 v2, 16, v2
	v_cvt_f64_f32_e32 v[2:3], v2
	s_branch .LBB8_1411
.LBB8_1408:
	s_mov_b32 s1, -1
	s_branch .LBB8_1410
.LBB8_1409:
	s_mov_b32 s0, -1
.LBB8_1410:
                                        ; implicit-def: $vgpr2_vgpr3
.LBB8_1411:
	s_and_b32 vcc_lo, exec_lo, s1
	s_mov_b32 s1, 0
	s_cbranch_vccz .LBB8_1413
; %bb.1412:
	s_cmp_lg_u32 s6, 11
	s_mov_b32 s1, -1
	s_cselect_b32 s0, -1, 0
.LBB8_1413:
	s_and_b32 vcc_lo, exec_lo, s0
	s_cbranch_vccnz .LBB8_1484
; %bb.1414:
	s_andn2_b32 vcc_lo, exec_lo, s1
	s_cbranch_vccnz .LBB8_1416
.LBB8_1415:
	global_load_ubyte v2, v[6:7], off
	s_mov_b32 s13, -1
	s_waitcnt vmcnt(0)
	v_cmp_ne_u16_e32 vcc_lo, 0, v2
	v_mov_b32_e32 v2, 0
	v_cndmask_b32_e64 v3, 0, 0x3ff00000, vcc_lo
.LBB8_1416:
	s_branch .LBB8_1343
.LBB8_1417:
	s_cmp_lt_i32 s6, 5
	s_cbranch_scc1 .LBB8_1422
; %bb.1418:
	s_cmp_lt_i32 s6, 8
	s_cbranch_scc1 .LBB8_1423
; %bb.1419:
	;; [unrolled: 3-line block ×3, first 2 shown]
	s_cmp_gt_i32 s6, 9
	s_cbranch_scc0 .LBB8_1425
; %bb.1421:
	global_load_dwordx2 v[2:3], v[6:7], off
	s_mov_b32 s0, 0
	s_branch .LBB8_1426
.LBB8_1422:
	s_mov_b32 s0, -1
                                        ; implicit-def: $vgpr2_vgpr3
	s_branch .LBB8_1444
.LBB8_1423:
	s_mov_b32 s0, -1
                                        ; implicit-def: $vgpr2_vgpr3
	s_branch .LBB8_1432
.LBB8_1424:
	s_mov_b32 s0, -1
                                        ; implicit-def: $vgpr2_vgpr3
	s_branch .LBB8_1429
.LBB8_1425:
	s_mov_b32 s0, -1
                                        ; implicit-def: $vgpr2_vgpr3
.LBB8_1426:
	s_andn2_b32 vcc_lo, exec_lo, s0
	s_cbranch_vccnz .LBB8_1428
; %bb.1427:
	global_load_dword v2, v[6:7], off
	s_waitcnt vmcnt(0)
	v_cvt_f64_f32_e32 v[2:3], v2
.LBB8_1428:
	s_mov_b32 s0, 0
.LBB8_1429:
	s_andn2_b32 vcc_lo, exec_lo, s0
	s_cbranch_vccnz .LBB8_1431
; %bb.1430:
	global_load_dword v2, v[6:7], off
	s_waitcnt vmcnt(0)
	v_cvt_f32_f16_e32 v2, v2
	v_cvt_f64_f32_e32 v[2:3], v2
.LBB8_1431:
	s_mov_b32 s0, 0
.LBB8_1432:
	s_andn2_b32 vcc_lo, exec_lo, s0
	s_cbranch_vccnz .LBB8_1443
; %bb.1433:
	s_cmp_lt_i32 s6, 6
	s_cbranch_scc1 .LBB8_1436
; %bb.1434:
	s_cmp_gt_i32 s6, 6
	s_cbranch_scc0 .LBB8_1437
; %bb.1435:
	global_load_dwordx2 v[2:3], v[6:7], off
	s_mov_b32 s0, 0
	s_branch .LBB8_1438
.LBB8_1436:
	s_mov_b32 s0, -1
                                        ; implicit-def: $vgpr2_vgpr3
	s_branch .LBB8_1441
.LBB8_1437:
	s_mov_b32 s0, -1
                                        ; implicit-def: $vgpr2_vgpr3
.LBB8_1438:
	s_andn2_b32 vcc_lo, exec_lo, s0
	s_cbranch_vccnz .LBB8_1440
; %bb.1439:
	global_load_dword v2, v[6:7], off
	s_waitcnt vmcnt(0)
	v_cvt_f64_f32_e32 v[2:3], v2
.LBB8_1440:
	s_mov_b32 s0, 0
.LBB8_1441:
	s_andn2_b32 vcc_lo, exec_lo, s0
	s_cbranch_vccnz .LBB8_1443
; %bb.1442:
	global_load_ushort v2, v[6:7], off
	s_waitcnt vmcnt(0)
	v_cvt_f32_f16_e32 v2, v2
	v_cvt_f64_f32_e32 v[2:3], v2
.LBB8_1443:
	s_mov_b32 s0, 0
.LBB8_1444:
	s_andn2_b32 vcc_lo, exec_lo, s0
	s_cbranch_vccnz .LBB8_1464
; %bb.1445:
	s_cmp_lt_i32 s6, 2
	s_cbranch_scc1 .LBB8_1449
; %bb.1446:
	s_cmp_lt_i32 s6, 3
	s_cbranch_scc1 .LBB8_1450
; %bb.1447:
	s_cmp_gt_i32 s6, 3
	s_cbranch_scc0 .LBB8_1451
; %bb.1448:
	global_load_dwordx2 v[2:3], v[6:7], off
	s_mov_b32 s0, 0
	s_waitcnt vmcnt(0)
	v_cvt_f64_i32_e32 v[8:9], v3
	v_cvt_f64_u32_e32 v[2:3], v2
	v_ldexp_f64 v[8:9], v[8:9], 32
	v_add_f64 v[2:3], v[8:9], v[2:3]
	s_branch .LBB8_1452
.LBB8_1449:
	s_mov_b32 s0, -1
                                        ; implicit-def: $vgpr2_vgpr3
	s_branch .LBB8_1458
.LBB8_1450:
	s_mov_b32 s0, -1
                                        ; implicit-def: $vgpr2_vgpr3
	s_branch .LBB8_1455
.LBB8_1451:
	s_mov_b32 s0, -1
                                        ; implicit-def: $vgpr2_vgpr3
.LBB8_1452:
	s_andn2_b32 vcc_lo, exec_lo, s0
	s_cbranch_vccnz .LBB8_1454
; %bb.1453:
	global_load_dword v2, v[6:7], off
	s_waitcnt vmcnt(0)
	v_cvt_f64_i32_e32 v[2:3], v2
.LBB8_1454:
	s_mov_b32 s0, 0
.LBB8_1455:
	s_andn2_b32 vcc_lo, exec_lo, s0
	s_cbranch_vccnz .LBB8_1457
; %bb.1456:
	global_load_sshort v2, v[6:7], off
	s_waitcnt vmcnt(0)
	v_cvt_f64_i32_e32 v[2:3], v2
.LBB8_1457:
	s_mov_b32 s0, 0
.LBB8_1458:
	s_andn2_b32 vcc_lo, exec_lo, s0
	s_cbranch_vccnz .LBB8_1464
; %bb.1459:
	s_cmp_gt_i32 s6, 0
	s_mov_b32 s0, 0
	s_cbranch_scc0 .LBB8_1461
; %bb.1460:
	global_load_sbyte v2, v[6:7], off
	s_waitcnt vmcnt(0)
	v_cvt_f64_i32_e32 v[2:3], v2
	s_branch .LBB8_1462
.LBB8_1461:
	s_mov_b32 s0, -1
                                        ; implicit-def: $vgpr2_vgpr3
.LBB8_1462:
	s_andn2_b32 vcc_lo, exec_lo, s0
	s_cbranch_vccnz .LBB8_1464
; %bb.1463:
	global_load_ubyte v2, v[6:7], off
	s_waitcnt vmcnt(0)
	v_cvt_f64_u32_e32 v[2:3], v2
.LBB8_1464:
.LBB8_1465:
	v_mov_b32_e32 v8, 0
	v_mov_b32_e32 v9, 0x7ff00000
	s_mov_b32 s13, exec_lo
	s_waitcnt vmcnt(0)
	v_cmpx_neq_f64_e32 0, v[2:3]
	s_cbranch_execz .LBB8_1473
; %bb.1466:
	v_mov_b32_e32 v8, 0
	v_mov_b32_e32 v9, 0x7ff80000
	s_mov_b32 s14, exec_lo
	v_cmpx_ngt_f64_e32 0, v[2:3]
	s_cbranch_execz .LBB8_1472
; %bb.1467:
                                        ; implicit-def: $vgpr8_vgpr9
	s_mov_b32 s0, exec_lo
	v_cmpx_ge_f64_e32 2.0, v[2:3]
	s_xor_b32 s15, exec_lo, s0
	s_cbranch_execz .LBB8_1469
; %bb.1468:
	v_fma_f64 v[6:7], v[2:3], 0.5, -2.0
	s_mov_b32 s0, 0xc38a0576
	s_mov_b32 s1, 0xbc7857d0
	s_mov_b32 s17, 0x3c499f2a
	s_mov_b32 s16, 0xc3c4014
	v_mul_f64 v[14:15], v[2:3], 0.5
	v_fma_f64 v[30:31], v[2:3], v[2:3], -2.0
	s_mov_b32 s19, 0xbc603228
	s_mov_b32 s18, 0x3d3cda56
	;; [unrolled: 1-line block ×4, first 2 shown]
	v_fma_f64 v[8:9], v[6:7], s[16:17], s[0:1]
	s_mov_b32 s17, 0xbc499f2a
	s_mov_b32 s0, 0xe593bfac
	;; [unrolled: 1-line block ×3, first 2 shown]
	v_frexp_mant_f64_e32 v[16:17], v[14:15]
	v_frexp_exp_i32_f64_e32 v34, v[14:15]
	v_fma_f64 v[12:13], v[6:7], v[8:9], s[16:17]
	s_mov_b32 s16, 0x97eb07de
	s_mov_b32 s17, 0xbdd25103
	v_add_f64 v[12:13], v[12:13], s[0:1]
	s_mov_b32 s0, 0x7e0d1573
	s_mov_b32 s1, 0xbcd3eaaa
	v_fma_f64 v[8:9], v[6:7], v[12:13], -v[8:9]
	v_add_f64 v[8:9], v[8:9], s[0:1]
	s_mov_b32 s0, 0x615290c
	s_mov_b32 s1, 0x3d011d7f
	v_fma_f64 v[12:13], v[6:7], v[8:9], -v[12:13]
	;; [unrolled: 4-line block ×6, first 2 shown]
	v_add_f64 v[12:13], v[12:13], s[0:1]
	s_mov_b32 s1, 0x3fe55555
	s_mov_b32 s0, 0x55555555
	v_cmp_gt_f64_e32 vcc_lo, s[0:1], v[16:17]
	s_mov_b32 s0, 0x55555780
	v_fma_f64 v[8:9], v[6:7], v[12:13], -v[8:9]
	v_cndmask_b32_e64 v18, 0, 1, vcc_lo
	v_ldexp_f64 v[16:17], v[16:17], v18
	v_add_f64 v[8:9], v[8:9], s[16:17]
	s_mov_b32 s16, 0xb43fdf6c
	s_mov_b32 s17, 0x3df8ea34
	v_add_f64 v[18:19], v[16:17], 1.0
	v_add_f64 v[24:25], v[16:17], -1.0
	v_fma_f64 v[12:13], v[6:7], v[8:9], -v[12:13]
	v_rcp_f64_e32 v[20:21], v[18:19]
	v_add_f64 v[26:27], v[18:19], -1.0
	v_add_f64 v[12:13], v[12:13], s[16:17]
	s_mov_b32 s16, 0x28ea67e6
	s_mov_b32 s17, 0xbe20361b
	v_add_f64 v[16:17], v[16:17], -v[26:27]
	v_fma_f64 v[22:23], -v[18:19], v[20:21], 1.0
	v_fma_f64 v[8:9], v[6:7], v[12:13], -v[8:9]
	v_fma_f64 v[20:21], v[22:23], v[20:21], v[20:21]
	v_add_f64 v[8:9], v[8:9], s[16:17]
	s_mov_b32 s16, 0x2395010
	s_mov_b32 s17, 0x3e44258e
	v_fma_f64 v[22:23], -v[18:19], v[20:21], 1.0
	v_fma_f64 v[12:13], v[6:7], v[8:9], -v[12:13]
	v_fma_f64 v[20:21], v[22:23], v[20:21], v[20:21]
	v_add_f64 v[12:13], v[12:13], s[16:17]
	s_mov_b32 s16, 0x24b8c3e8
	s_mov_b32 s17, 0xbe67dd3e
	v_mul_f64 v[22:23], v[24:25], v[20:21]
	v_fma_f64 v[8:9], v[6:7], v[12:13], -v[8:9]
	v_mul_f64 v[28:29], v[18:19], v[22:23]
	v_add_f64 v[8:9], v[8:9], s[16:17]
	s_mov_b32 s16, 0xb347d108
	s_mov_b32 s17, 0x3e8ae344
	v_fma_f64 v[18:19], v[22:23], v[18:19], -v[28:29]
	v_fma_f64 v[12:13], v[6:7], v[8:9], -v[12:13]
	v_fma_f64 v[16:17], v[22:23], v[16:17], v[18:19]
	v_add_f64 v[12:13], v[12:13], s[16:17]
	s_mov_b32 s16, 0x7a0399e0
	s_mov_b32 s17, 0xbce5dd51
	v_fma_f64 v[32:33], v[30:31], s[18:19], s[16:17]
	s_mov_b32 s19, 0x3c603228
	s_mov_b32 s16, 0xddd0e045
	;; [unrolled: 1-line block ×3, first 2 shown]
	v_add_f64 v[18:19], v[28:29], v[16:17]
	v_fma_f64 v[8:9], v[6:7], v[12:13], -v[8:9]
	v_add_f64 v[26:27], v[24:25], -v[18:19]
	v_add_f64 v[28:29], v[18:19], -v[28:29]
	v_add_f64 v[8:9], v[8:9], s[20:21]
	s_mov_b32 s20, 0xd3d694fe
	s_mov_b32 s21, 0xbf2533ca
	v_add_f64 v[24:25], v[24:25], -v[26:27]
	v_add_f64 v[16:17], v[28:29], -v[16:17]
	v_fma_f64 v[12:13], v[6:7], v[8:9], -v[12:13]
	v_add_f64 v[18:19], v[24:25], -v[18:19]
	v_fma_f64 v[24:25], v[30:31], v[32:33], s[18:19]
	s_mov_b32 s18, 0xd511afc5
	s_mov_b32 s19, 0x3ecd1c4e
	v_add_f64 v[12:13], v[12:13], s[18:19]
	s_mov_b32 s18, 0xb8debbcf
	s_mov_b32 s19, 0xbeebd5f9
	v_add_f64 v[16:17], v[16:17], v[18:19]
	v_add_f64 v[18:19], v[24:25], s[16:17]
	s_mov_b32 s16, 0xb84626ca
	s_mov_b32 s17, 0xbde3663b
	v_fma_f64 v[8:9], v[6:7], v[12:13], -v[8:9]
	v_add_f64 v[16:17], v[26:27], v[16:17]
	v_fma_f64 v[24:25], v[30:31], v[18:19], -v[32:33]
	v_add_f64 v[8:9], v[8:9], s[18:19]
	s_mov_b32 s18, 0x42c70d0b
	s_mov_b32 s19, 0x3f0911b5
	v_mul_f64 v[16:17], v[20:21], v[16:17]
	v_add_f64 v[20:21], v[24:25], s[16:17]
	s_mov_b32 s16, 0x145c31d0
	s_mov_b32 s17, 0xbe57c41d
	v_fma_f64 v[12:13], v[6:7], v[8:9], -v[12:13]
	v_add_f64 v[24:25], v[22:23], v[16:17]
	v_fma_f64 v[18:19], v[30:31], v[20:21], -v[18:19]
	v_add_f64 v[12:13], v[12:13], s[18:19]
	s_mov_b32 s18, 0xbf559e2b
	s_mov_b32 s19, 0x3fc3ab76
	v_mul_f64 v[26:27], v[24:25], v[24:25]
	v_add_f64 v[18:19], v[18:19], s[16:17]
	s_mov_b32 s16, 0x6b47b09a
	s_mov_b32 s17, 0x3fc38538
	v_add_f64 v[22:23], v[24:25], -v[22:23]
	v_fma_f64 v[8:9], v[6:7], v[12:13], -v[8:9]
	v_fma_f64 v[28:29], v[26:27], s[18:19], s[16:17]
	v_fma_f64 v[20:21], v[30:31], v[18:19], -v[20:21]
	s_mov_b32 s16, 0x2c832e3a
	s_mov_b32 s17, 0xbec469b3
	;; [unrolled: 1-line block ×4, first 2 shown]
	v_mul_f64 v[32:33], v[24:25], v[26:27]
	v_add_f64 v[16:17], v[16:17], -v[22:23]
	v_add_f64 v[8:9], v[8:9], s[20:21]
	s_mov_b32 s20, 0xb6c6df7d
	s_mov_b32 s21, 0x3f40c95d
	v_fma_f64 v[28:29], v[26:27], v[28:29], s[18:19]
	v_add_f64 v[20:21], v[20:21], s[16:17]
	s_mov_b32 s16, 0x16291751
	s_mov_b32 s17, 0x3fcc71c0
	;; [unrolled: 1-line block ×4, first 2 shown]
	v_ldexp_f64 v[16:17], v[16:17], 1
	v_fma_f64 v[12:13], v[6:7], v[8:9], -v[12:13]
	v_fma_f64 v[28:29], v[26:27], v[28:29], s[16:17]
	v_fma_f64 v[18:19], v[30:31], v[20:21], -v[18:19]
	s_mov_b32 s16, 0xe5a3bd02
	s_mov_b32 s17, 0xbf26ade2
	v_add_f64 v[12:13], v[12:13], s[20:21]
	s_mov_b32 s20, 0xe7bb2349
	s_mov_b32 s21, 0x3f9951e3
	v_fma_f64 v[28:29], v[26:27], v[28:29], s[18:19]
	v_add_f64 v[18:19], v[18:19], s[16:17]
	s_mov_b32 s16, 0x998ef7b6
	s_mov_b32 s17, 0x3fd99999
	;; [unrolled: 1-line block ×4, first 2 shown]
	v_fma_f64 v[8:9], v[6:7], v[12:13], -v[8:9]
	v_fma_f64 v[28:29], v[26:27], v[28:29], s[16:17]
	v_fma_f64 v[20:21], v[30:31], v[18:19], -v[20:21]
	s_mov_b32 s16, 0x9d7d4192
	s_mov_b32 s17, 0xbf7c9293
	v_add_f64 v[8:9], v[8:9], s[18:19]
	s_mov_b32 s18, 0x49d3a1b4
	s_mov_b32 s19, 0x3f710653
	v_fma_f64 v[26:27], v[26:27], v[28:29], s[0:1]
	v_add_f64 v[20:21], v[20:21], s[16:17]
	v_ldexp_f64 v[28:29], v[24:25], 1
	s_mov_b32 s0, 0x43c1db74
	s_mov_b32 s1, 0xbfbf6372
	;; [unrolled: 1-line block ×4, first 2 shown]
	v_fma_f64 v[12:13], v[6:7], v[8:9], -v[12:13]
	v_mul_f64 v[26:27], v[32:33], v[26:27]
	v_fma_f64 v[18:19], v[30:31], v[20:21], -v[18:19]
	v_subrev_co_ci_u32_e64 v32, null, 0, v34, vcc_lo
	v_mul_f64 v[34:35], v[2:3], s[16:17]
	s_mov_b32 s16, 0x757b0dd4
	s_mov_b32 s17, 0xbfd69a1b
	v_cvt_f64_i32_e32 v[32:33], v32
	v_add_f64 v[12:13], v[12:13], s[18:19]
	s_mov_b32 s18, 0x7913a26a
	s_mov_b32 s19, 0xbf85a29f
	v_add_f64 v[24:25], v[28:29], v[26:27]
	v_add_f64 v[18:19], v[18:19], s[0:1]
	s_mov_b32 s1, 0x3fe62e42
	s_mov_b32 s0, 0xfefa39ef
	v_mul_f64 v[36:37], v[32:33], s[0:1]
	v_fma_f64 v[8:9], v[6:7], v[12:13], -v[8:9]
	v_add_f64 v[22:23], v[24:25], -v[28:29]
	v_fma_f64 v[20:21], v[30:31], v[18:19], -v[20:21]
	v_rndne_f64_e32 v[28:29], v[34:35]
	v_fma_f64 v[34:35], v[32:33], s[0:1], -v[36:37]
	s_mov_b32 s1, 0xbfe62e42
	v_add_f64 v[8:9], v[8:9], s[18:19]
	s_mov_b32 s18, 0x6a5dcb37
	s_mov_b32 s19, 0x3e5ade15
	v_add_f64 v[22:23], v[26:27], -v[22:23]
	v_add_f64 v[20:21], v[20:21], s[16:17]
	v_fma_f64 v[26:27], v[28:29], s[0:1], v[2:3]
	s_mov_b32 s1, 0x3c7abc9e
	s_mov_b32 s0, 0x3b39803f
	;; [unrolled: 1-line block ×4, first 2 shown]
	v_fma_f64 v[32:33], v[32:33], s[0:1], v[34:35]
	s_mov_b32 s1, 0xbc7abc9e
	v_fma_f64 v[12:13], v[6:7], v[8:9], -v[12:13]
	v_add_f64 v[16:17], v[16:17], v[22:23]
	v_fma_f64 v[20:21], v[30:31], v[20:21], -v[18:19]
	v_fma_f64 v[22:23], v[28:29], s[0:1], v[26:27]
	s_mov_b32 s0, 0x361008ca
	s_mov_b32 s1, 0x3ff867a1
	v_add_f64 v[26:27], v[36:37], v[32:33]
	v_add_f64 v[12:13], v[12:13], s[20:21]
	;; [unrolled: 1-line block ×4, first 2 shown]
	v_fma_f64 v[34:35], v[22:23], s[18:19], s[16:17]
	s_mov_b32 s0, 0x623fde64
	s_mov_b32 s1, 0x3ec71dee
	;; [unrolled: 1-line block ×4, first 2 shown]
	v_add_f64 v[36:37], v[26:27], -v[36:37]
	v_fma_f64 v[8:9], v[6:7], v[12:13], -v[8:9]
	v_add_f64 v[38:39], v[26:27], v[30:31]
	v_add_f64 v[18:19], v[20:21], -v[18:19]
	v_fma_f64 v[34:35], v[22:23], v[34:35], s[0:1]
	s_mov_b32 s0, 0x7c89e6b0
	s_mov_b32 s1, 0x3efa0199
	v_add_f64 v[24:25], v[30:31], -v[24:25]
	v_add_f64 v[32:33], v[32:33], -v[36:37]
	v_add_f64 v[8:9], v[8:9], s[16:17]
	s_mov_b32 s16, 0xd536f53c
	s_mov_b32 s17, 0x3fba46da
	v_add_f64 v[20:21], v[38:39], -v[26:27]
	v_mul_f64 v[18:19], v[18:19], 0.5
	v_fma_f64 v[34:35], v[22:23], v[34:35], s[0:1]
	s_mov_b32 s0, 0x14761f6e
	s_mov_b32 s1, 0x3f2a01a0
	v_add_f64 v[16:17], v[16:17], -v[24:25]
	v_fma_f64 v[12:13], v[6:7], v[8:9], -v[12:13]
	v_add_f64 v[40:41], v[38:39], -v[20:21]
	v_div_scale_f64 v[42:43], null, v[2:3], v[2:3], v[18:19]
	v_fma_f64 v[34:35], v[22:23], v[34:35], s[0:1]
	s_mov_b32 s0, 0x1852b7b0
	s_mov_b32 s1, 0x3f56c16c
	v_add_f64 v[20:21], v[30:31], -v[20:21]
	v_add_f64 v[12:13], v[12:13], s[16:17]
	s_mov_b32 s16, 0x469192e
	s_mov_b32 s17, 0xbfc694d1
	v_add_f64 v[24:25], v[26:27], -v[40:41]
	v_rcp_f64_e32 v[30:31], v[42:43]
	v_fma_f64 v[26:27], v[22:23], v[34:35], s[0:1]
	s_mov_b32 s0, 0x11122322
	s_mov_b32 s1, 0x3f811111
	v_add_f64 v[34:35], v[32:33], v[16:17]
	v_fma_f64 v[8:9], v[6:7], v[12:13], -v[8:9]
	v_add_f64 v[20:21], v[20:21], v[24:25]
	v_fma_f64 v[24:25], v[22:23], v[26:27], s[0:1]
	v_fma_f64 v[26:27], -v[42:43], v[30:31], 1.0
	s_mov_b32 s0, 0x555502a1
	s_mov_b32 s1, 0x3fa55555
	v_add_f64 v[36:37], v[34:35], -v[32:33]
	v_add_f64 v[8:9], v[8:9], s[16:17]
	s_mov_b32 s16, 0x724a7ffa
	s_mov_b32 s17, 0x3fd02a63
	v_add_f64 v[20:21], v[34:35], v[20:21]
	v_fma_f64 v[24:25], v[22:23], v[24:25], s[0:1]
	v_fma_f64 v[26:27], v[30:31], v[26:27], v[30:31]
	s_mov_b32 s0, 0x55555511
	s_mov_b32 s1, 0x3fc55555
	v_add_f64 v[30:31], v[34:35], -v[36:37]
	v_add_f64 v[16:17], v[16:17], -v[36:37]
	v_div_scale_f64 v[36:37], vcc_lo, v[18:19], v[2:3], v[18:19]
	v_fma_f64 v[6:7], v[6:7], v[8:9], -v[12:13]
	v_add_f64 v[34:35], v[38:39], v[20:21]
	v_fma_f64 v[24:25], v[22:23], v[24:25], s[0:1]
	v_fma_f64 v[8:9], -v[42:43], v[26:27], 1.0
	s_mov_b32 s0, 11
	s_mov_b32 s1, 0x3fe00000
	v_add_f64 v[30:31], v[32:33], -v[30:31]
	v_add_f64 v[6:7], v[6:7], s[16:17]
	v_add_f64 v[32:33], v[34:35], -v[38:39]
	v_fma_f64 v[24:25], v[22:23], v[24:25], s[0:1]
	v_fma_f64 v[8:9], v[26:27], v[8:9], v[26:27]
	v_cvt_i32_f64_e32 v26, v[28:29]
	v_cmp_neq_f64_e64 s0, 0, v[14:15]
	v_add_f64 v[16:17], v[16:17], v[30:31]
	v_add_f64 v[6:7], v[6:7], -v[12:13]
	v_add_f64 v[20:21], v[20:21], -v[32:33]
	v_fma_f64 v[24:25], v[22:23], v[24:25], 1.0
	v_mul_f64 v[12:13], v[36:37], v[8:9]
	v_mul_f64 v[6:7], v[6:7], 0.5
	v_add_f64 v[16:17], v[16:17], v[20:21]
	v_fma_f64 v[20:21], v[22:23], v[24:25], 1.0
	v_fma_f64 v[22:23], -v[42:43], v[12:13], v[36:37]
	v_mul_f64 v[6:7], v[2:3], v[6:7]
	v_add_f64 v[16:17], v[34:35], v[16:17]
	v_ldexp_f64 v[20:21], v[20:21], v26
	v_div_fmas_f64 v[8:9], v[22:23], v[8:9], v[12:13]
	v_cmp_neq_f64_e32 vcc_lo, 0x7ff00000, v[14:15]
	v_mul_f64 v[6:7], v[20:21], v[6:7]
	v_div_fixup_f64 v[2:3], v[8:9], v[2:3], v[18:19]
	v_cndmask_b32_e32 v12, 0x7ff00000, v17, vcc_lo
	s_and_b32 vcc_lo, s0, vcc_lo
	v_cndmask_b32_e32 v8, 0, v16, vcc_lo
	v_cndmask_b32_e64 v9, 0xfff00000, v12, s0
	v_fma_f64 v[8:9], v[8:9], v[6:7], v[2:3]
                                        ; implicit-def: $vgpr2_vgpr3
.LBB8_1469:
	s_andn2_saveexec_b32 s1, s15
	s_cbranch_execz .LBB8_1471
; %bb.1470:
	v_div_scale_f64 v[6:7], null, v[2:3], v[2:3], 0x40200000
	v_div_scale_f64 v[14:15], vcc_lo, 0x40200000, v[2:3], 0x40200000
	s_mov_b32 s16, 0x838f5ed3
	s_mov_b32 s17, 0x3c74af1a
	;; [unrolled: 1-line block ×4, first 2 shown]
	v_cmp_nlt_f64_e64 s0, 0x4090cc00, v[2:3]
	v_rcp_f64_e32 v[8:9], v[6:7]
	v_fma_f64 v[12:13], -v[6:7], v[8:9], 1.0
	v_fma_f64 v[8:9], v[8:9], v[12:13], v[8:9]
	v_fma_f64 v[12:13], -v[6:7], v[8:9], 1.0
	v_fma_f64 v[8:9], v[8:9], v[12:13], v[8:9]
	v_mul_f64 v[12:13], v[14:15], v[8:9]
	v_fma_f64 v[6:7], -v[6:7], v[12:13], v[14:15]
	v_div_fmas_f64 v[6:7], v[6:7], v[8:9], v[12:13]
	v_cmp_gt_f64_e32 vcc_lo, 0x10000000, v[2:3]
	v_div_fixup_f64 v[6:7], v[6:7], v[2:3], 0x40200000
	v_cndmask_b32_e64 v20, 0, 0x100, vcc_lo
	v_ldexp_f64 v[20:21], v[2:3], v20
	v_add_f64 v[6:7], v[6:7], -2.0
	v_rsq_f64_e32 v[22:23], v[20:21]
	v_fma_f64 v[8:9], v[6:7], s[18:19], s[16:17]
	s_mov_b32 s19, 0x3c5a8c5d
	s_mov_b32 s16, 0x17771d52
	;; [unrolled: 1-line block ×3, first 2 shown]
	v_mul_f64 v[24:25], v[20:21], v[22:23]
	v_mul_f64 v[22:23], v[22:23], 0.5
	v_fma_f64 v[12:13], v[6:7], v[8:9], s[18:19]
	s_mov_b32 s18, 0x6a5dcb37
	s_mov_b32 s19, 0x3e5ade15
	v_fma_f64 v[26:27], -v[22:23], v[24:25], 0.5
	v_add_f64 v[12:13], v[12:13], s[16:17]
	s_mov_b32 s16, 0x44ee2c0b
	s_mov_b32 s17, 0x3caa7d5e
	v_fma_f64 v[24:25], v[24:25], v[26:27], v[24:25]
	v_fma_f64 v[22:23], v[22:23], v[26:27], v[22:23]
	v_fma_f64 v[8:9], v[6:7], v[12:13], -v[8:9]
	v_fma_f64 v[26:27], -v[24:25], v[24:25], v[20:21]
	v_add_f64 v[8:9], v[8:9], s[16:17]
	s_mov_b32 s16, 0xd8758ef2
	s_mov_b32 s17, 0xbcc5d2a3
	v_fma_f64 v[12:13], v[6:7], v[8:9], -v[12:13]
	v_add_f64 v[12:13], v[12:13], s[16:17]
	s_mov_b32 s16, 0xefee81bd
	s_mov_b32 s17, 0x3ce25ced
	v_fma_f64 v[8:9], v[6:7], v[12:13], -v[8:9]
	;; [unrolled: 4-line block ×14, first 2 shown]
	v_add_f64 v[8:9], v[8:9], s[16:17]
	s_mov_b32 s16, 0x652b82fe
	s_mov_b32 s17, 0xbff71547
	v_mul_f64 v[14:15], v[2:3], s[16:17]
	s_mov_b32 s16, 0x8fada5c6
	s_mov_b32 s17, 0xbe978052
	v_fma_f64 v[12:13], v[6:7], v[8:9], -v[12:13]
	v_rndne_f64_e32 v[14:15], v[14:15]
	v_add_f64 v[12:13], v[12:13], s[16:17]
	s_mov_b32 s16, 0xfefa39ef
	s_mov_b32 s17, 0xbfe62e42
	v_fma_f64 v[16:17], v[14:15], s[16:17], -v[2:3]
	s_mov_b32 s16, 0x3b39803f
	s_mov_b32 s17, 0xbc7abc9e
	v_fma_f64 v[8:9], v[6:7], v[12:13], -v[8:9]
	v_fma_f64 v[16:17], v[14:15], s[16:17], v[16:17]
	s_mov_b32 s16, 0x1752d1b6
	s_mov_b32 s17, 0x3ec42fe3
	v_add_f64 v[8:9], v[8:9], s[16:17]
	s_mov_b32 s16, 0xfca7ab0c
	s_mov_b32 s17, 0x3e928af3
	v_fma_f64 v[18:19], v[16:17], s[18:19], s[16:17]
	s_mov_b32 s16, 0x623fde64
	s_mov_b32 s17, 0x3ec71dee
	v_fma_f64 v[12:13], v[6:7], v[8:9], -v[12:13]
	v_fma_f64 v[18:19], v[16:17], v[18:19], s[16:17]
	s_mov_b32 s16, 0x1dcdb2e5
	s_mov_b32 s17, 0xbef44d71
	v_add_f64 v[12:13], v[12:13], s[16:17]
	s_mov_b32 s16, 0x7c89e6b0
	s_mov_b32 s17, 0x3efa0199
	v_fma_f64 v[18:19], v[16:17], v[18:19], s[16:17]
	;; [unrolled: 10-line block ×5, first 2 shown]
	s_mov_b32 s16, 0xaa062c8a
	s_mov_b32 s17, 0x4005c3d7
	v_fma_f64 v[6:7], v[6:7], v[8:9], -v[12:13]
	v_fma_f64 v[8:9], v[26:27], v[22:23], v[24:25]
	v_cvt_i32_f64_e32 v26, v[14:15]
	v_fma_f64 v[18:19], v[16:17], v[18:19], 1.0
	v_add_f64 v[6:7], v[6:7], s[16:17]
	v_fma_f64 v[24:25], -v[8:9], v[8:9], v[20:21]
	v_fma_f64 v[14:15], v[16:17], v[18:19], 1.0
	v_add_f64 v[6:7], v[6:7], -v[12:13]
	v_fma_f64 v[8:9], v[24:25], v[22:23], v[8:9]
	v_ldexp_f64 v[12:13], v[14:15], v26
	v_mul_f64 v[2:3], v[6:7], 0.5
	v_cndmask_b32_e64 v6, 0, 0xffffff80, vcc_lo
	v_cmp_class_f64_e64 vcc_lo, v[20:21], 0x260
	v_ldexp_f64 v[6:7], v[8:9], v6
	v_cndmask_b32_e64 v9, 0, v13, s0
	v_cndmask_b32_e64 v8, 0, v12, s0
	v_mul_f64 v[2:3], v[8:9], v[2:3]
	v_cndmask_b32_e32 v7, v7, v21, vcc_lo
	v_cndmask_b32_e32 v6, v6, v20, vcc_lo
	v_div_scale_f64 v[8:9], null, v[6:7], v[6:7], v[2:3]
	v_rcp_f64_e32 v[12:13], v[8:9]
	v_fma_f64 v[14:15], -v[8:9], v[12:13], 1.0
	v_fma_f64 v[12:13], v[12:13], v[14:15], v[12:13]
	v_fma_f64 v[14:15], -v[8:9], v[12:13], 1.0
	v_fma_f64 v[12:13], v[12:13], v[14:15], v[12:13]
	v_div_scale_f64 v[14:15], vcc_lo, v[2:3], v[6:7], v[2:3]
	v_mul_f64 v[16:17], v[14:15], v[12:13]
	v_fma_f64 v[8:9], -v[8:9], v[16:17], v[14:15]
	v_div_fmas_f64 v[8:9], v[8:9], v[12:13], v[16:17]
	v_div_fixup_f64 v[8:9], v[8:9], v[6:7], v[2:3]
.LBB8_1471:
	s_or_b32 exec_lo, exec_lo, s1
.LBB8_1472:
	s_or_b32 exec_lo, exec_lo, s14
.LBB8_1473:
	s_or_b32 exec_lo, exec_lo, s13
	v_add_nc_u32_e32 v2, s3, v11
	s_cmp_lt_i32 s6, 11
	v_ashrrev_i32_e32 v3, 31, v2
	v_add_co_u32 v6, vcc_lo, s10, v2
	v_add_co_ci_u32_e64 v7, null, s11, v3, vcc_lo
	s_cbranch_scc1 .LBB8_1480
; %bb.1474:
	s_cmp_gt_i32 s6, 25
	s_mov_b32 s1, 0
	s_cbranch_scc0 .LBB8_1481
; %bb.1475:
	s_cmp_gt_i32 s6, 28
	s_cbranch_scc0 .LBB8_1482
; %bb.1476:
	s_cmp_gt_i32 s6, 43
	;; [unrolled: 3-line block ×3, first 2 shown]
	s_cbranch_scc0 .LBB8_1485
; %bb.1478:
	s_cmp_eq_u32 s6, 46
	s_mov_b32 s10, 0
	s_cbranch_scc0 .LBB8_1486
; %bb.1479:
	global_load_dword v2, v[6:7], off
	s_mov_b32 s0, 0
	s_mov_b32 s3, -1
	s_waitcnt vmcnt(0)
	v_lshlrev_b32_e32 v2, 16, v2
	v_cvt_f64_f32_e32 v[2:3], v2
	s_branch .LBB8_1488
.LBB8_1480:
	s_mov_b32 s0, -1
	s_mov_b32 s3, 0
                                        ; implicit-def: $vgpr2_vgpr3
	s_branch .LBB8_1554
.LBB8_1481:
	s_mov_b32 s10, -1
	s_mov_b32 s3, 0
	s_mov_b32 s0, 0
                                        ; implicit-def: $vgpr2_vgpr3
	s_branch .LBB8_1519
.LBB8_1482:
	s_mov_b32 s10, -1
	s_mov_b32 s3, 0
	s_mov_b32 s0, 0
                                        ; implicit-def: $vgpr2_vgpr3
	s_branch .LBB8_1498
.LBB8_1483:
	s_mov_b32 s10, -1
	s_mov_b32 s3, 0
	s_mov_b32 s0, 0
                                        ; implicit-def: $vgpr2_vgpr3
	s_branch .LBB8_1493
.LBB8_1484:
	s_or_b32 s5, s5, exec_lo
	s_trap 2
	s_cbranch_execz .LBB8_1415
	s_branch .LBB8_1416
.LBB8_1485:
	s_mov_b32 s10, -1
	s_mov_b32 s3, 0
	s_mov_b32 s0, 0
	s_branch .LBB8_1487
.LBB8_1486:
	s_mov_b32 s0, -1
	s_mov_b32 s3, 0
.LBB8_1487:
                                        ; implicit-def: $vgpr2_vgpr3
.LBB8_1488:
	s_and_b32 vcc_lo, exec_lo, s10
	s_cbranch_vccz .LBB8_1492
; %bb.1489:
	s_cmp_eq_u32 s6, 44
	s_cbranch_scc0 .LBB8_1491
; %bb.1490:
	global_load_ubyte v11, v[6:7], off
	s_mov_b32 s0, 0
	s_mov_b32 s3, -1
	s_waitcnt vmcnt(0)
	v_lshlrev_b32_e32 v2, 23, v11
	v_cmp_ne_u32_e32 vcc_lo, 0xff, v11
	v_cvt_f64_f32_e32 v[2:3], v2
	v_cndmask_b32_e32 v2, 0x20000000, v2, vcc_lo
	v_cndmask_b32_e32 v3, 0x7ff80000, v3, vcc_lo
	v_cmp_ne_u32_e32 vcc_lo, 0, v11
	v_cndmask_b32_e32 v3, 0x38000000, v3, vcc_lo
	v_cndmask_b32_e32 v2, 0, v2, vcc_lo
	s_branch .LBB8_1492
.LBB8_1491:
	s_mov_b32 s0, -1
                                        ; implicit-def: $vgpr2_vgpr3
.LBB8_1492:
	s_mov_b32 s10, 0
.LBB8_1493:
	s_and_b32 vcc_lo, exec_lo, s10
	s_cbranch_vccz .LBB8_1497
; %bb.1494:
	s_cmp_eq_u32 s6, 29
	s_cbranch_scc0 .LBB8_1496
; %bb.1495:
	global_load_dwordx2 v[2:3], v[6:7], off
	s_mov_b32 s0, 0
	s_mov_b32 s3, -1
	s_mov_b32 s10, 0
	s_waitcnt vmcnt(0)
	v_cvt_f64_u32_e32 v[11:12], v3
	v_cvt_f64_u32_e32 v[2:3], v2
	v_ldexp_f64 v[11:12], v[11:12], 32
	v_add_f64 v[2:3], v[11:12], v[2:3]
	s_branch .LBB8_1498
.LBB8_1496:
	s_mov_b32 s0, -1
                                        ; implicit-def: $vgpr2_vgpr3
.LBB8_1497:
	s_mov_b32 s10, 0
.LBB8_1498:
	s_and_b32 vcc_lo, exec_lo, s10
	s_cbranch_vccz .LBB8_1518
; %bb.1499:
	s_cmp_lt_i32 s6, 27
	s_cbranch_scc1 .LBB8_1502
; %bb.1500:
	s_cmp_gt_i32 s6, 27
	s_cbranch_scc0 .LBB8_1503
; %bb.1501:
	global_load_dword v2, v[6:7], off
	s_mov_b32 s3, 0
	s_waitcnt vmcnt(0)
	v_cvt_f64_u32_e32 v[2:3], v2
	s_branch .LBB8_1504
.LBB8_1502:
	s_mov_b32 s3, -1
                                        ; implicit-def: $vgpr2_vgpr3
	s_branch .LBB8_1507
.LBB8_1503:
	s_mov_b32 s3, -1
                                        ; implicit-def: $vgpr2_vgpr3
.LBB8_1504:
	s_andn2_b32 vcc_lo, exec_lo, s3
	s_cbranch_vccnz .LBB8_1506
; %bb.1505:
	global_load_ushort v2, v[6:7], off
	s_waitcnt vmcnt(0)
	v_cvt_f64_u32_e32 v[2:3], v2
.LBB8_1506:
	s_mov_b32 s3, 0
.LBB8_1507:
	s_andn2_b32 vcc_lo, exec_lo, s3
	s_cbranch_vccnz .LBB8_1517
; %bb.1508:
	global_load_ubyte v11, v[6:7], off
	s_mov_b32 s3, 0
	s_mov_b32 s10, exec_lo
	s_waitcnt vmcnt(0)
	v_cmpx_lt_i16_e32 0x7f, v11
	s_xor_b32 s10, exec_lo, s10
	s_cbranch_execz .LBB8_1512
; %bb.1509:
	s_mov_b32 s3, -1
	s_mov_b32 s11, exec_lo
	v_cmpx_eq_u16_e32 0x80, v11
; %bb.1510:
	s_xor_b32 s3, exec_lo, -1
; %bb.1511:
	s_or_b32 exec_lo, exec_lo, s11
	s_and_b32 s3, s3, exec_lo
.LBB8_1512:
	s_or_saveexec_b32 s10, s10
	v_bfrev_b32_e32 v2, 4
	v_mov_b32_e32 v3, 0x7ff80000
	s_xor_b32 exec_lo, exec_lo, s10
; %bb.1513:
	v_cmp_ne_u16_e32 vcc_lo, 0, v11
	v_mov_b32_e32 v2, 0
	v_mov_b32_e32 v3, 0
	s_andn2_b32 s3, s3, exec_lo
	s_and_b32 s11, vcc_lo, exec_lo
	s_or_b32 s3, s3, s11
; %bb.1514:
	s_or_b32 exec_lo, exec_lo, s10
	s_and_saveexec_b32 s10, s3
	s_cbranch_execz .LBB8_1516
; %bb.1515:
	v_and_b32_e32 v2, 0xffff, v11
	v_lshlrev_b32_e32 v11, 24, v11
	v_and_b32_e32 v3, 7, v2
	v_bfe_u32 v14, v2, 3, 4
	v_ffbh_u32_e32 v12, v3
	v_cmp_eq_u32_e32 vcc_lo, 0, v14
	v_min_u32_e32 v12, 32, v12
	v_subrev_nc_u32_e32 v13, 28, v12
	v_sub_nc_u32_e32 v12, 29, v12
	v_lshlrev_b32_e32 v2, v13, v2
	v_cndmask_b32_e32 v12, v14, v12, vcc_lo
	v_and_b32_e32 v2, 7, v2
	v_cndmask_b32_e32 v2, v3, v2, vcc_lo
	v_and_b32_e32 v3, 0x80000000, v11
	v_lshl_add_u32 v11, v12, 23, 0x3b800000
	v_lshlrev_b32_e32 v2, 20, v2
	v_or3_b32 v2, v3, v11, v2
	v_cvt_f64_f32_e32 v[2:3], v2
.LBB8_1516:
	s_or_b32 exec_lo, exec_lo, s10
.LBB8_1517:
	s_mov_b32 s3, -1
.LBB8_1518:
	s_mov_b32 s10, 0
.LBB8_1519:
	s_and_b32 vcc_lo, exec_lo, s10
	s_cbranch_vccz .LBB8_1550
; %bb.1520:
	s_cmp_gt_i32 s6, 22
	s_cbranch_scc0 .LBB8_1532
; %bb.1521:
	s_cmp_lt_i32 s6, 24
	s_cbranch_scc1 .LBB8_1533
; %bb.1522:
	s_cmp_gt_i32 s6, 24
	s_cbranch_scc0 .LBB8_1534
; %bb.1523:
	global_load_ubyte v11, v[6:7], off
	s_mov_b32 s3, exec_lo
	s_waitcnt vmcnt(0)
	v_cmpx_lt_i16_e32 0x7f, v11
	s_xor_b32 s3, exec_lo, s3
	s_cbranch_execz .LBB8_1527
; %bb.1524:
	s_mov_b32 s1, -1
	s_mov_b32 s10, exec_lo
	v_cmpx_eq_u16_e32 0x80, v11
; %bb.1525:
	s_xor_b32 s1, exec_lo, -1
; %bb.1526:
	s_or_b32 exec_lo, exec_lo, s10
	s_and_b32 s1, s1, exec_lo
.LBB8_1527:
	s_or_saveexec_b32 s3, s3
	v_bfrev_b32_e32 v2, 4
	v_mov_b32_e32 v3, 0x7ff80000
	s_xor_b32 exec_lo, exec_lo, s3
; %bb.1528:
	v_cmp_ne_u16_e32 vcc_lo, 0, v11
	v_mov_b32_e32 v2, 0
	v_mov_b32_e32 v3, 0
	s_andn2_b32 s1, s1, exec_lo
	s_and_b32 s10, vcc_lo, exec_lo
	s_or_b32 s1, s1, s10
; %bb.1529:
	s_or_b32 exec_lo, exec_lo, s3
	s_and_saveexec_b32 s3, s1
	s_cbranch_execz .LBB8_1531
; %bb.1530:
	v_and_b32_e32 v2, 0xffff, v11
	v_lshlrev_b32_e32 v11, 24, v11
	v_and_b32_e32 v3, 3, v2
	v_bfe_u32 v14, v2, 2, 5
	v_ffbh_u32_e32 v12, v3
	v_cmp_eq_u32_e32 vcc_lo, 0, v14
	v_min_u32_e32 v12, 32, v12
	v_subrev_nc_u32_e32 v13, 29, v12
	v_sub_nc_u32_e32 v12, 30, v12
	v_lshlrev_b32_e32 v2, v13, v2
	v_cndmask_b32_e32 v12, v14, v12, vcc_lo
	v_and_b32_e32 v2, 3, v2
	v_cndmask_b32_e32 v2, v3, v2, vcc_lo
	v_and_b32_e32 v3, 0x80000000, v11
	v_lshl_add_u32 v11, v12, 23, 0x37800000
	v_lshlrev_b32_e32 v2, 21, v2
	v_or3_b32 v2, v3, v11, v2
	v_cvt_f64_f32_e32 v[2:3], v2
.LBB8_1531:
	s_or_b32 exec_lo, exec_lo, s3
	s_mov_b32 s1, 0
	s_branch .LBB8_1535
.LBB8_1532:
	s_mov_b32 s1, -1
                                        ; implicit-def: $vgpr2_vgpr3
	s_branch .LBB8_1541
.LBB8_1533:
	s_mov_b32 s1, -1
                                        ; implicit-def: $vgpr2_vgpr3
	s_branch .LBB8_1538
.LBB8_1534:
	s_mov_b32 s1, -1
                                        ; implicit-def: $vgpr2_vgpr3
.LBB8_1535:
	s_and_b32 vcc_lo, exec_lo, s1
	s_cbranch_vccz .LBB8_1537
; %bb.1536:
	global_load_ubyte v2, v[6:7], off
	s_waitcnt vmcnt(0)
	v_lshlrev_b32_e32 v2, 24, v2
	v_and_b32_e32 v3, 0x7f000000, v2
	v_ffbh_u32_e32 v11, v3
	v_add_nc_u32_e32 v13, 0x1000000, v3
	v_cmp_ne_u32_e32 vcc_lo, 0, v3
	v_min_u32_e32 v11, 32, v11
	v_sub_nc_u32_e64 v11, v11, 4 clamp
	v_lshlrev_b32_e32 v12, v11, v3
	v_lshlrev_b32_e32 v11, 23, v11
	v_lshrrev_b32_e32 v12, 4, v12
	v_sub_nc_u32_e32 v11, v12, v11
	v_ashrrev_i32_e32 v12, 8, v13
	v_add_nc_u32_e32 v11, 0x3c000000, v11
	v_and_or_b32 v11, 0x7f800000, v12, v11
	v_cndmask_b32_e32 v3, 0, v11, vcc_lo
	v_and_or_b32 v2, 0x80000000, v2, v3
	v_cvt_f64_f32_e32 v[2:3], v2
.LBB8_1537:
	s_mov_b32 s1, 0
.LBB8_1538:
	s_andn2_b32 vcc_lo, exec_lo, s1
	s_cbranch_vccnz .LBB8_1540
; %bb.1539:
	global_load_ubyte v2, v[6:7], off
	s_waitcnt vmcnt(0)
	v_lshlrev_b32_e32 v3, 25, v2
	v_lshlrev_b16 v2, 8, v2
	v_lshrrev_b32_e32 v11, 4, v3
	v_and_or_b32 v12, 0x7f00, v2, 0.5
	v_cmp_gt_u32_e32 vcc_lo, 0x8000000, v3
	v_bfe_i32 v2, v2, 0, 16
	v_or_b32_e32 v11, 0x70000000, v11
	v_add_f32_e32 v12, -0.5, v12
	v_mul_f32_e32 v11, 0x7800000, v11
	v_cndmask_b32_e32 v3, v11, v12, vcc_lo
	v_and_or_b32 v2, 0x80000000, v2, v3
	v_cvt_f64_f32_e32 v[2:3], v2
.LBB8_1540:
	s_mov_b32 s1, 0
	s_mov_b32 s3, -1
.LBB8_1541:
	s_andn2_b32 vcc_lo, exec_lo, s1
	s_mov_b32 s1, 0
	s_cbranch_vccnz .LBB8_1550
; %bb.1542:
	s_cmp_gt_i32 s6, 14
	s_cbranch_scc0 .LBB8_1545
; %bb.1543:
	s_cmp_eq_u32 s6, 15
	s_cbranch_scc0 .LBB8_1546
; %bb.1544:
	global_load_ushort v2, v[6:7], off
	s_mov_b32 s0, 0
	s_mov_b32 s3, -1
	s_waitcnt vmcnt(0)
	v_lshlrev_b32_e32 v2, 16, v2
	v_cvt_f64_f32_e32 v[2:3], v2
	s_branch .LBB8_1548
.LBB8_1545:
	s_mov_b32 s1, -1
	s_branch .LBB8_1547
.LBB8_1546:
	s_mov_b32 s0, -1
.LBB8_1547:
                                        ; implicit-def: $vgpr2_vgpr3
.LBB8_1548:
	s_and_b32 vcc_lo, exec_lo, s1
	s_mov_b32 s1, 0
	s_cbranch_vccz .LBB8_1550
; %bb.1549:
	s_cmp_lg_u32 s6, 11
	s_mov_b32 s1, -1
	s_cselect_b32 s0, -1, 0
.LBB8_1550:
	s_and_b32 vcc_lo, exec_lo, s0
	s_cbranch_vccnz .LBB8_2092
; %bb.1551:
	s_andn2_b32 vcc_lo, exec_lo, s1
	s_cbranch_vccnz .LBB8_1553
.LBB8_1552:
	global_load_ubyte v2, v[6:7], off
	s_mov_b32 s3, -1
	s_waitcnt vmcnt(0)
	v_cmp_ne_u16_e32 vcc_lo, 0, v2
	v_mov_b32_e32 v2, 0
	v_cndmask_b32_e64 v3, 0, 0x3ff00000, vcc_lo
.LBB8_1553:
	s_mov_b32 s0, 0
.LBB8_1554:
	s_and_b32 vcc_lo, exec_lo, s0
	s_cbranch_vccz .LBB8_1603
; %bb.1555:
	s_cmp_lt_i32 s6, 5
	s_cbranch_scc1 .LBB8_1560
; %bb.1556:
	s_cmp_lt_i32 s6, 8
	s_cbranch_scc1 .LBB8_1561
	;; [unrolled: 3-line block ×3, first 2 shown]
; %bb.1558:
	s_cmp_gt_i32 s6, 9
	s_cbranch_scc0 .LBB8_1563
; %bb.1559:
	global_load_dwordx2 v[2:3], v[6:7], off
	s_mov_b32 s0, 0
	s_branch .LBB8_1564
.LBB8_1560:
	s_mov_b32 s0, -1
                                        ; implicit-def: $vgpr2_vgpr3
	s_branch .LBB8_1582
.LBB8_1561:
	s_mov_b32 s0, -1
                                        ; implicit-def: $vgpr2_vgpr3
	s_branch .LBB8_1570
.LBB8_1562:
	s_mov_b32 s0, -1
                                        ; implicit-def: $vgpr2_vgpr3
	s_branch .LBB8_1567
.LBB8_1563:
	s_mov_b32 s0, -1
                                        ; implicit-def: $vgpr2_vgpr3
.LBB8_1564:
	s_andn2_b32 vcc_lo, exec_lo, s0
	s_cbranch_vccnz .LBB8_1566
; %bb.1565:
	global_load_dword v2, v[6:7], off
	s_waitcnt vmcnt(0)
	v_cvt_f64_f32_e32 v[2:3], v2
.LBB8_1566:
	s_mov_b32 s0, 0
.LBB8_1567:
	s_andn2_b32 vcc_lo, exec_lo, s0
	s_cbranch_vccnz .LBB8_1569
; %bb.1568:
	global_load_dword v2, v[6:7], off
	s_waitcnt vmcnt(0)
	v_cvt_f32_f16_e32 v2, v2
	v_cvt_f64_f32_e32 v[2:3], v2
.LBB8_1569:
	s_mov_b32 s0, 0
.LBB8_1570:
	s_andn2_b32 vcc_lo, exec_lo, s0
	s_cbranch_vccnz .LBB8_1581
; %bb.1571:
	s_cmp_lt_i32 s6, 6
	s_cbranch_scc1 .LBB8_1574
; %bb.1572:
	s_cmp_gt_i32 s6, 6
	s_cbranch_scc0 .LBB8_1575
; %bb.1573:
	global_load_dwordx2 v[2:3], v[6:7], off
	s_mov_b32 s0, 0
	s_branch .LBB8_1576
.LBB8_1574:
	s_mov_b32 s0, -1
                                        ; implicit-def: $vgpr2_vgpr3
	s_branch .LBB8_1579
.LBB8_1575:
	s_mov_b32 s0, -1
                                        ; implicit-def: $vgpr2_vgpr3
.LBB8_1576:
	s_andn2_b32 vcc_lo, exec_lo, s0
	s_cbranch_vccnz .LBB8_1578
; %bb.1577:
	global_load_dword v2, v[6:7], off
	s_waitcnt vmcnt(0)
	v_cvt_f64_f32_e32 v[2:3], v2
.LBB8_1578:
	s_mov_b32 s0, 0
.LBB8_1579:
	s_andn2_b32 vcc_lo, exec_lo, s0
	s_cbranch_vccnz .LBB8_1581
; %bb.1580:
	global_load_ushort v2, v[6:7], off
	s_waitcnt vmcnt(0)
	v_cvt_f32_f16_e32 v2, v2
	v_cvt_f64_f32_e32 v[2:3], v2
.LBB8_1581:
	s_mov_b32 s0, 0
.LBB8_1582:
	s_andn2_b32 vcc_lo, exec_lo, s0
	s_cbranch_vccnz .LBB8_1602
; %bb.1583:
	s_cmp_lt_i32 s6, 2
	s_cbranch_scc1 .LBB8_1587
; %bb.1584:
	s_cmp_lt_i32 s6, 3
	s_cbranch_scc1 .LBB8_1588
; %bb.1585:
	s_cmp_gt_i32 s6, 3
	s_cbranch_scc0 .LBB8_1589
; %bb.1586:
	global_load_dwordx2 v[2:3], v[6:7], off
	s_mov_b32 s0, 0
	s_waitcnt vmcnt(0)
	v_cvt_f64_i32_e32 v[11:12], v3
	v_cvt_f64_u32_e32 v[2:3], v2
	v_ldexp_f64 v[11:12], v[11:12], 32
	v_add_f64 v[2:3], v[11:12], v[2:3]
	s_branch .LBB8_1590
.LBB8_1587:
	s_mov_b32 s0, -1
                                        ; implicit-def: $vgpr2_vgpr3
	s_branch .LBB8_1596
.LBB8_1588:
	s_mov_b32 s0, -1
                                        ; implicit-def: $vgpr2_vgpr3
	s_branch .LBB8_1593
.LBB8_1589:
	s_mov_b32 s0, -1
                                        ; implicit-def: $vgpr2_vgpr3
.LBB8_1590:
	s_andn2_b32 vcc_lo, exec_lo, s0
	s_cbranch_vccnz .LBB8_1592
; %bb.1591:
	global_load_dword v2, v[6:7], off
	s_waitcnt vmcnt(0)
	v_cvt_f64_i32_e32 v[2:3], v2
.LBB8_1592:
	s_mov_b32 s0, 0
.LBB8_1593:
	s_andn2_b32 vcc_lo, exec_lo, s0
	s_cbranch_vccnz .LBB8_1595
; %bb.1594:
	global_load_sshort v2, v[6:7], off
	s_waitcnt vmcnt(0)
	v_cvt_f64_i32_e32 v[2:3], v2
.LBB8_1595:
	s_mov_b32 s0, 0
.LBB8_1596:
	s_andn2_b32 vcc_lo, exec_lo, s0
	s_cbranch_vccnz .LBB8_1602
; %bb.1597:
	s_cmp_gt_i32 s6, 0
	s_mov_b32 s0, 0
	s_cbranch_scc0 .LBB8_1599
; %bb.1598:
	global_load_sbyte v2, v[6:7], off
	s_waitcnt vmcnt(0)
	v_cvt_f64_i32_e32 v[2:3], v2
	s_branch .LBB8_1600
.LBB8_1599:
	s_mov_b32 s0, -1
                                        ; implicit-def: $vgpr2_vgpr3
.LBB8_1600:
	s_andn2_b32 vcc_lo, exec_lo, s0
	s_cbranch_vccnz .LBB8_1602
; %bb.1601:
	global_load_ubyte v2, v[6:7], off
	s_waitcnt vmcnt(0)
	v_cvt_f64_u32_e32 v[2:3], v2
.LBB8_1602:
	s_mov_b32 s3, -1
.LBB8_1603:
	s_andn2_b32 vcc_lo, exec_lo, s3
	s_cbranch_vccnz .LBB8_1690
; %bb.1604:
	v_mov_b32_e32 v12, 0
	v_mov_b32_e32 v13, 0x7ff00000
	s_mov_b32 s3, exec_lo
	s_waitcnt vmcnt(0)
	v_cmpx_neq_f64_e32 0, v[2:3]
	s_cbranch_execz .LBB8_1612
; %bb.1605:
	v_mov_b32_e32 v12, 0
	v_mov_b32_e32 v13, 0x7ff80000
	s_mov_b32 s6, exec_lo
	v_cmpx_ngt_f64_e32 0, v[2:3]
	s_cbranch_execz .LBB8_1611
; %bb.1606:
                                        ; implicit-def: $vgpr12_vgpr13
	s_mov_b32 s0, exec_lo
	v_cmpx_ge_f64_e32 2.0, v[2:3]
	s_xor_b32 s10, exec_lo, s0
	s_cbranch_execz .LBB8_1608
; %bb.1607:
	v_fma_f64 v[6:7], v[2:3], 0.5, -2.0
	s_mov_b32 s0, 0xc38a0576
	s_mov_b32 s1, 0xbc7857d0
	;; [unrolled: 1-line block ×4, first 2 shown]
	v_mul_f64 v[15:16], v[2:3], 0.5
	v_fma_f64 v[31:32], v[2:3], v[2:3], -2.0
	s_mov_b32 s17, 0xbc603228
	s_mov_b32 s16, 0x3d3cda56
	;; [unrolled: 1-line block ×4, first 2 shown]
	v_fma_f64 v[11:12], v[6:7], s[14:15], s[0:1]
	s_mov_b32 s15, 0xbc499f2a
	s_mov_b32 s0, 0xe593bfac
	;; [unrolled: 1-line block ×3, first 2 shown]
	v_frexp_mant_f64_e32 v[17:18], v[15:16]
	v_frexp_exp_i32_f64_e32 v35, v[15:16]
	v_fma_f64 v[13:14], v[6:7], v[11:12], s[14:15]
	s_mov_b32 s14, 0x97eb07de
	s_mov_b32 s15, 0xbdd25103
	v_add_f64 v[13:14], v[13:14], s[0:1]
	s_mov_b32 s0, 0x7e0d1573
	s_mov_b32 s1, 0xbcd3eaaa
	v_fma_f64 v[11:12], v[6:7], v[13:14], -v[11:12]
	v_add_f64 v[11:12], v[11:12], s[0:1]
	s_mov_b32 s0, 0x615290c
	s_mov_b32 s1, 0x3d011d7f
	v_fma_f64 v[13:14], v[6:7], v[11:12], -v[13:14]
	;; [unrolled: 4-line block ×6, first 2 shown]
	v_add_f64 v[13:14], v[13:14], s[0:1]
	s_mov_b32 s1, 0x3fe55555
	s_mov_b32 s0, 0x55555555
	v_cmp_gt_f64_e32 vcc_lo, s[0:1], v[17:18]
	s_mov_b32 s0, 0x55555780
	v_fma_f64 v[11:12], v[6:7], v[13:14], -v[11:12]
	v_cndmask_b32_e64 v19, 0, 1, vcc_lo
	v_ldexp_f64 v[17:18], v[17:18], v19
	v_add_f64 v[11:12], v[11:12], s[14:15]
	s_mov_b32 s14, 0xb43fdf6c
	s_mov_b32 s15, 0x3df8ea34
	v_add_f64 v[19:20], v[17:18], 1.0
	v_add_f64 v[25:26], v[17:18], -1.0
	v_fma_f64 v[13:14], v[6:7], v[11:12], -v[13:14]
	v_rcp_f64_e32 v[21:22], v[19:20]
	v_add_f64 v[27:28], v[19:20], -1.0
	v_add_f64 v[13:14], v[13:14], s[14:15]
	s_mov_b32 s14, 0x28ea67e6
	s_mov_b32 s15, 0xbe20361b
	v_add_f64 v[17:18], v[17:18], -v[27:28]
	v_fma_f64 v[23:24], -v[19:20], v[21:22], 1.0
	v_fma_f64 v[11:12], v[6:7], v[13:14], -v[11:12]
	v_fma_f64 v[21:22], v[23:24], v[21:22], v[21:22]
	v_add_f64 v[11:12], v[11:12], s[14:15]
	s_mov_b32 s14, 0x2395010
	s_mov_b32 s15, 0x3e44258e
	v_fma_f64 v[23:24], -v[19:20], v[21:22], 1.0
	v_fma_f64 v[13:14], v[6:7], v[11:12], -v[13:14]
	v_fma_f64 v[21:22], v[23:24], v[21:22], v[21:22]
	v_add_f64 v[13:14], v[13:14], s[14:15]
	s_mov_b32 s14, 0x24b8c3e8
	s_mov_b32 s15, 0xbe67dd3e
	v_mul_f64 v[23:24], v[25:26], v[21:22]
	v_fma_f64 v[11:12], v[6:7], v[13:14], -v[11:12]
	v_mul_f64 v[29:30], v[19:20], v[23:24]
	v_add_f64 v[11:12], v[11:12], s[14:15]
	s_mov_b32 s14, 0xb347d108
	s_mov_b32 s15, 0x3e8ae344
	v_fma_f64 v[19:20], v[23:24], v[19:20], -v[29:30]
	v_fma_f64 v[13:14], v[6:7], v[11:12], -v[13:14]
	v_fma_f64 v[17:18], v[23:24], v[17:18], v[19:20]
	v_add_f64 v[13:14], v[13:14], s[14:15]
	s_mov_b32 s14, 0x7a0399e0
	s_mov_b32 s15, 0xbce5dd51
	v_fma_f64 v[33:34], v[31:32], s[16:17], s[14:15]
	s_mov_b32 s17, 0x3c603228
	s_mov_b32 s14, 0xddd0e045
	;; [unrolled: 1-line block ×3, first 2 shown]
	v_add_f64 v[19:20], v[29:30], v[17:18]
	v_fma_f64 v[11:12], v[6:7], v[13:14], -v[11:12]
	v_add_f64 v[27:28], v[25:26], -v[19:20]
	v_add_f64 v[29:30], v[19:20], -v[29:30]
	v_add_f64 v[11:12], v[11:12], s[18:19]
	s_mov_b32 s18, 0xd3d694fe
	s_mov_b32 s19, 0xbf2533ca
	v_add_f64 v[25:26], v[25:26], -v[27:28]
	v_add_f64 v[17:18], v[29:30], -v[17:18]
	v_fma_f64 v[13:14], v[6:7], v[11:12], -v[13:14]
	v_add_f64 v[19:20], v[25:26], -v[19:20]
	v_fma_f64 v[25:26], v[31:32], v[33:34], s[16:17]
	s_mov_b32 s16, 0xd511afc5
	s_mov_b32 s17, 0x3ecd1c4e
	v_add_f64 v[13:14], v[13:14], s[16:17]
	s_mov_b32 s16, 0xb8debbcf
	s_mov_b32 s17, 0xbeebd5f9
	v_add_f64 v[17:18], v[17:18], v[19:20]
	v_add_f64 v[19:20], v[25:26], s[14:15]
	s_mov_b32 s14, 0xb84626ca
	s_mov_b32 s15, 0xbde3663b
	v_fma_f64 v[11:12], v[6:7], v[13:14], -v[11:12]
	v_add_f64 v[17:18], v[27:28], v[17:18]
	v_fma_f64 v[25:26], v[31:32], v[19:20], -v[33:34]
	v_add_f64 v[11:12], v[11:12], s[16:17]
	s_mov_b32 s16, 0x42c70d0b
	s_mov_b32 s17, 0x3f0911b5
	v_mul_f64 v[17:18], v[21:22], v[17:18]
	v_add_f64 v[21:22], v[25:26], s[14:15]
	s_mov_b32 s14, 0x145c31d0
	s_mov_b32 s15, 0xbe57c41d
	v_fma_f64 v[13:14], v[6:7], v[11:12], -v[13:14]
	v_add_f64 v[25:26], v[23:24], v[17:18]
	v_fma_f64 v[19:20], v[31:32], v[21:22], -v[19:20]
	v_add_f64 v[13:14], v[13:14], s[16:17]
	s_mov_b32 s16, 0xbf559e2b
	s_mov_b32 s17, 0x3fc3ab76
	v_mul_f64 v[27:28], v[25:26], v[25:26]
	v_add_f64 v[19:20], v[19:20], s[14:15]
	s_mov_b32 s14, 0x6b47b09a
	s_mov_b32 s15, 0x3fc38538
	v_add_f64 v[23:24], v[25:26], -v[23:24]
	v_fma_f64 v[11:12], v[6:7], v[13:14], -v[11:12]
	v_fma_f64 v[29:30], v[27:28], s[16:17], s[14:15]
	v_fma_f64 v[21:22], v[31:32], v[19:20], -v[21:22]
	s_mov_b32 s14, 0x2c832e3a
	s_mov_b32 s15, 0xbec469b3
	;; [unrolled: 1-line block ×4, first 2 shown]
	v_mul_f64 v[33:34], v[25:26], v[27:28]
	v_add_f64 v[17:18], v[17:18], -v[23:24]
	v_add_f64 v[11:12], v[11:12], s[18:19]
	s_mov_b32 s18, 0xb6c6df7d
	s_mov_b32 s19, 0x3f40c95d
	v_fma_f64 v[29:30], v[27:28], v[29:30], s[16:17]
	v_add_f64 v[21:22], v[21:22], s[14:15]
	s_mov_b32 s14, 0x16291751
	s_mov_b32 s15, 0x3fcc71c0
	;; [unrolled: 1-line block ×4, first 2 shown]
	v_ldexp_f64 v[17:18], v[17:18], 1
	v_fma_f64 v[13:14], v[6:7], v[11:12], -v[13:14]
	v_fma_f64 v[29:30], v[27:28], v[29:30], s[14:15]
	v_fma_f64 v[19:20], v[31:32], v[21:22], -v[19:20]
	s_mov_b32 s14, 0xe5a3bd02
	s_mov_b32 s15, 0xbf26ade2
	v_add_f64 v[13:14], v[13:14], s[18:19]
	s_mov_b32 s18, 0xe7bb2349
	s_mov_b32 s19, 0x3f9951e3
	v_fma_f64 v[29:30], v[27:28], v[29:30], s[16:17]
	v_add_f64 v[19:20], v[19:20], s[14:15]
	s_mov_b32 s14, 0x998ef7b6
	s_mov_b32 s15, 0x3fd99999
	;; [unrolled: 1-line block ×4, first 2 shown]
	v_fma_f64 v[11:12], v[6:7], v[13:14], -v[11:12]
	v_fma_f64 v[29:30], v[27:28], v[29:30], s[14:15]
	v_fma_f64 v[21:22], v[31:32], v[19:20], -v[21:22]
	s_mov_b32 s14, 0x9d7d4192
	s_mov_b32 s15, 0xbf7c9293
	v_add_f64 v[11:12], v[11:12], s[16:17]
	s_mov_b32 s16, 0x49d3a1b4
	s_mov_b32 s17, 0x3f710653
	v_fma_f64 v[27:28], v[27:28], v[29:30], s[0:1]
	v_add_f64 v[21:22], v[21:22], s[14:15]
	v_ldexp_f64 v[29:30], v[25:26], 1
	s_mov_b32 s0, 0x43c1db74
	s_mov_b32 s1, 0xbfbf6372
	;; [unrolled: 1-line block ×4, first 2 shown]
	v_fma_f64 v[13:14], v[6:7], v[11:12], -v[13:14]
	v_mul_f64 v[27:28], v[33:34], v[27:28]
	v_fma_f64 v[19:20], v[31:32], v[21:22], -v[19:20]
	v_subrev_co_ci_u32_e64 v33, null, 0, v35, vcc_lo
	v_mul_f64 v[35:36], v[2:3], s[14:15]
	s_mov_b32 s14, 0x757b0dd4
	s_mov_b32 s15, 0xbfd69a1b
	v_cvt_f64_i32_e32 v[33:34], v33
	v_add_f64 v[13:14], v[13:14], s[16:17]
	s_mov_b32 s16, 0x7913a26a
	s_mov_b32 s17, 0xbf85a29f
	v_add_f64 v[25:26], v[29:30], v[27:28]
	v_add_f64 v[19:20], v[19:20], s[0:1]
	s_mov_b32 s1, 0x3fe62e42
	s_mov_b32 s0, 0xfefa39ef
	v_mul_f64 v[37:38], v[33:34], s[0:1]
	v_fma_f64 v[11:12], v[6:7], v[13:14], -v[11:12]
	v_add_f64 v[23:24], v[25:26], -v[29:30]
	v_fma_f64 v[21:22], v[31:32], v[19:20], -v[21:22]
	v_rndne_f64_e32 v[29:30], v[35:36]
	v_fma_f64 v[35:36], v[33:34], s[0:1], -v[37:38]
	s_mov_b32 s1, 0xbfe62e42
	v_add_f64 v[11:12], v[11:12], s[16:17]
	s_mov_b32 s16, 0x6a5dcb37
	s_mov_b32 s17, 0x3e5ade15
	v_add_f64 v[23:24], v[27:28], -v[23:24]
	v_add_f64 v[21:22], v[21:22], s[14:15]
	v_fma_f64 v[27:28], v[29:30], s[0:1], v[2:3]
	s_mov_b32 s1, 0x3c7abc9e
	s_mov_b32 s0, 0x3b39803f
	;; [unrolled: 1-line block ×4, first 2 shown]
	v_fma_f64 v[33:34], v[33:34], s[0:1], v[35:36]
	s_mov_b32 s1, 0xbc7abc9e
	v_fma_f64 v[13:14], v[6:7], v[11:12], -v[13:14]
	v_add_f64 v[17:18], v[17:18], v[23:24]
	v_fma_f64 v[21:22], v[31:32], v[21:22], -v[19:20]
	v_fma_f64 v[23:24], v[29:30], s[0:1], v[27:28]
	s_mov_b32 s0, 0x361008ca
	s_mov_b32 s1, 0x3ff867a1
	v_add_f64 v[27:28], v[37:38], v[33:34]
	v_add_f64 v[13:14], v[13:14], s[18:19]
	;; [unrolled: 1-line block ×4, first 2 shown]
	v_fma_f64 v[35:36], v[23:24], s[16:17], s[14:15]
	s_mov_b32 s0, 0x623fde64
	s_mov_b32 s1, 0x3ec71dee
	;; [unrolled: 1-line block ×4, first 2 shown]
	v_add_f64 v[37:38], v[27:28], -v[37:38]
	v_fma_f64 v[11:12], v[6:7], v[13:14], -v[11:12]
	v_add_f64 v[39:40], v[27:28], v[31:32]
	v_add_f64 v[19:20], v[21:22], -v[19:20]
	v_fma_f64 v[35:36], v[23:24], v[35:36], s[0:1]
	s_mov_b32 s0, 0x7c89e6b0
	s_mov_b32 s1, 0x3efa0199
	v_add_f64 v[25:26], v[31:32], -v[25:26]
	v_add_f64 v[33:34], v[33:34], -v[37:38]
	v_add_f64 v[11:12], v[11:12], s[14:15]
	s_mov_b32 s14, 0xd536f53c
	s_mov_b32 s15, 0x3fba46da
	v_add_f64 v[21:22], v[39:40], -v[27:28]
	v_mul_f64 v[19:20], v[19:20], 0.5
	v_fma_f64 v[35:36], v[23:24], v[35:36], s[0:1]
	s_mov_b32 s0, 0x14761f6e
	s_mov_b32 s1, 0x3f2a01a0
	v_add_f64 v[17:18], v[17:18], -v[25:26]
	v_fma_f64 v[13:14], v[6:7], v[11:12], -v[13:14]
	v_add_f64 v[41:42], v[39:40], -v[21:22]
	v_div_scale_f64 v[43:44], null, v[2:3], v[2:3], v[19:20]
	v_fma_f64 v[35:36], v[23:24], v[35:36], s[0:1]
	s_mov_b32 s0, 0x1852b7b0
	s_mov_b32 s1, 0x3f56c16c
	v_add_f64 v[21:22], v[31:32], -v[21:22]
	v_add_f64 v[13:14], v[13:14], s[14:15]
	s_mov_b32 s14, 0x469192e
	s_mov_b32 s15, 0xbfc694d1
	v_add_f64 v[25:26], v[27:28], -v[41:42]
	v_rcp_f64_e32 v[31:32], v[43:44]
	v_fma_f64 v[27:28], v[23:24], v[35:36], s[0:1]
	s_mov_b32 s0, 0x11122322
	s_mov_b32 s1, 0x3f811111
	v_add_f64 v[35:36], v[33:34], v[17:18]
	v_fma_f64 v[11:12], v[6:7], v[13:14], -v[11:12]
	v_add_f64 v[21:22], v[21:22], v[25:26]
	v_fma_f64 v[25:26], v[23:24], v[27:28], s[0:1]
	v_fma_f64 v[27:28], -v[43:44], v[31:32], 1.0
	s_mov_b32 s0, 0x555502a1
	s_mov_b32 s1, 0x3fa55555
	v_add_f64 v[37:38], v[35:36], -v[33:34]
	v_add_f64 v[11:12], v[11:12], s[14:15]
	s_mov_b32 s14, 0x724a7ffa
	s_mov_b32 s15, 0x3fd02a63
	v_add_f64 v[21:22], v[35:36], v[21:22]
	v_fma_f64 v[25:26], v[23:24], v[25:26], s[0:1]
	v_fma_f64 v[27:28], v[31:32], v[27:28], v[31:32]
	s_mov_b32 s0, 0x55555511
	s_mov_b32 s1, 0x3fc55555
	v_add_f64 v[31:32], v[35:36], -v[37:38]
	v_add_f64 v[17:18], v[17:18], -v[37:38]
	v_div_scale_f64 v[37:38], vcc_lo, v[19:20], v[2:3], v[19:20]
	v_fma_f64 v[6:7], v[6:7], v[11:12], -v[13:14]
	v_add_f64 v[35:36], v[39:40], v[21:22]
	v_fma_f64 v[25:26], v[23:24], v[25:26], s[0:1]
	v_fma_f64 v[11:12], -v[43:44], v[27:28], 1.0
	s_mov_b32 s0, 11
	s_mov_b32 s1, 0x3fe00000
	v_add_f64 v[31:32], v[33:34], -v[31:32]
	v_add_f64 v[6:7], v[6:7], s[14:15]
	v_add_f64 v[33:34], v[35:36], -v[39:40]
	v_fma_f64 v[25:26], v[23:24], v[25:26], s[0:1]
	v_fma_f64 v[11:12], v[27:28], v[11:12], v[27:28]
	v_cvt_i32_f64_e32 v27, v[29:30]
	v_cmp_neq_f64_e64 s0, 0, v[15:16]
	v_add_f64 v[17:18], v[17:18], v[31:32]
	v_add_f64 v[6:7], v[6:7], -v[13:14]
	v_add_f64 v[21:22], v[21:22], -v[33:34]
	v_fma_f64 v[25:26], v[23:24], v[25:26], 1.0
	v_mul_f64 v[13:14], v[37:38], v[11:12]
	v_mul_f64 v[6:7], v[6:7], 0.5
	v_add_f64 v[17:18], v[17:18], v[21:22]
	v_fma_f64 v[21:22], v[23:24], v[25:26], 1.0
	v_fma_f64 v[23:24], -v[43:44], v[13:14], v[37:38]
	v_mul_f64 v[6:7], v[2:3], v[6:7]
	v_add_f64 v[17:18], v[35:36], v[17:18]
	v_ldexp_f64 v[21:22], v[21:22], v27
	v_div_fmas_f64 v[11:12], v[23:24], v[11:12], v[13:14]
	v_cmp_neq_f64_e32 vcc_lo, 0x7ff00000, v[15:16]
	v_mul_f64 v[6:7], v[21:22], v[6:7]
	v_div_fixup_f64 v[2:3], v[11:12], v[2:3], v[19:20]
	v_cndmask_b32_e32 v13, 0x7ff00000, v18, vcc_lo
	s_and_b32 vcc_lo, s0, vcc_lo
	v_cndmask_b32_e32 v11, 0, v17, vcc_lo
	v_cndmask_b32_e64 v12, 0xfff00000, v13, s0
	v_fma_f64 v[12:13], v[11:12], v[6:7], v[2:3]
                                        ; implicit-def: $vgpr2_vgpr3
.LBB8_1608:
	s_andn2_saveexec_b32 s1, s10
	s_cbranch_execz .LBB8_1610
; %bb.1609:
	v_div_scale_f64 v[6:7], null, v[2:3], v[2:3], 0x40200000
	v_div_scale_f64 v[15:16], vcc_lo, 0x40200000, v[2:3], 0x40200000
	s_mov_b32 s10, 0x838f5ed3
	s_mov_b32 s11, 0x3c74af1a
	s_mov_b32 s15, 0xbc5a8c5d
	s_mov_b32 s14, 0x42c43a08
	v_cmp_nlt_f64_e64 s0, 0x4090cc00, v[2:3]
	v_rcp_f64_e32 v[11:12], v[6:7]
	v_fma_f64 v[13:14], -v[6:7], v[11:12], 1.0
	v_fma_f64 v[11:12], v[11:12], v[13:14], v[11:12]
	v_fma_f64 v[13:14], -v[6:7], v[11:12], 1.0
	v_fma_f64 v[11:12], v[11:12], v[13:14], v[11:12]
	v_mul_f64 v[13:14], v[15:16], v[11:12]
	v_fma_f64 v[6:7], -v[6:7], v[13:14], v[15:16]
	v_div_fmas_f64 v[6:7], v[6:7], v[11:12], v[13:14]
	v_cmp_gt_f64_e32 vcc_lo, 0x10000000, v[2:3]
	v_div_fixup_f64 v[6:7], v[6:7], v[2:3], 0x40200000
	v_cndmask_b32_e64 v21, 0, 0x100, vcc_lo
	v_ldexp_f64 v[21:22], v[2:3], v21
	v_add_f64 v[6:7], v[6:7], -2.0
	v_rsq_f64_e32 v[23:24], v[21:22]
	v_fma_f64 v[11:12], v[6:7], s[14:15], s[10:11]
	s_mov_b32 s15, 0x3c5a8c5d
	s_mov_b32 s10, 0x17771d52
	;; [unrolled: 1-line block ×3, first 2 shown]
	v_mul_f64 v[25:26], v[21:22], v[23:24]
	v_mul_f64 v[23:24], v[23:24], 0.5
	v_fma_f64 v[13:14], v[6:7], v[11:12], s[14:15]
	s_mov_b32 s14, 0x6a5dcb37
	s_mov_b32 s15, 0x3e5ade15
	v_fma_f64 v[27:28], -v[23:24], v[25:26], 0.5
	v_add_f64 v[13:14], v[13:14], s[10:11]
	s_mov_b32 s10, 0x44ee2c0b
	s_mov_b32 s11, 0x3caa7d5e
	v_fma_f64 v[25:26], v[25:26], v[27:28], v[25:26]
	v_fma_f64 v[23:24], v[23:24], v[27:28], v[23:24]
	v_fma_f64 v[11:12], v[6:7], v[13:14], -v[11:12]
	v_fma_f64 v[27:28], -v[25:26], v[25:26], v[21:22]
	v_add_f64 v[11:12], v[11:12], s[10:11]
	s_mov_b32 s10, 0xd8758ef2
	s_mov_b32 s11, 0xbcc5d2a3
	v_fma_f64 v[13:14], v[6:7], v[11:12], -v[13:14]
	v_add_f64 v[13:14], v[13:14], s[10:11]
	s_mov_b32 s10, 0xefee81bd
	s_mov_b32 s11, 0x3ce25ced
	v_fma_f64 v[11:12], v[6:7], v[13:14], -v[11:12]
	;; [unrolled: 4-line block ×14, first 2 shown]
	v_add_f64 v[11:12], v[11:12], s[10:11]
	s_mov_b32 s10, 0x652b82fe
	s_mov_b32 s11, 0xbff71547
	v_mul_f64 v[15:16], v[2:3], s[10:11]
	s_mov_b32 s10, 0x8fada5c6
	s_mov_b32 s11, 0xbe978052
	v_fma_f64 v[13:14], v[6:7], v[11:12], -v[13:14]
	v_rndne_f64_e32 v[15:16], v[15:16]
	v_add_f64 v[13:14], v[13:14], s[10:11]
	s_mov_b32 s10, 0xfefa39ef
	s_mov_b32 s11, 0xbfe62e42
	v_fma_f64 v[17:18], v[15:16], s[10:11], -v[2:3]
	s_mov_b32 s10, 0x3b39803f
	s_mov_b32 s11, 0xbc7abc9e
	v_fma_f64 v[11:12], v[6:7], v[13:14], -v[11:12]
	v_fma_f64 v[17:18], v[15:16], s[10:11], v[17:18]
	s_mov_b32 s10, 0x1752d1b6
	s_mov_b32 s11, 0x3ec42fe3
	v_add_f64 v[11:12], v[11:12], s[10:11]
	s_mov_b32 s10, 0xfca7ab0c
	s_mov_b32 s11, 0x3e928af3
	v_fma_f64 v[19:20], v[17:18], s[14:15], s[10:11]
	s_mov_b32 s10, 0x623fde64
	s_mov_b32 s11, 0x3ec71dee
	v_fma_f64 v[13:14], v[6:7], v[11:12], -v[13:14]
	v_fma_f64 v[19:20], v[17:18], v[19:20], s[10:11]
	s_mov_b32 s10, 0x1dcdb2e5
	s_mov_b32 s11, 0xbef44d71
	v_add_f64 v[13:14], v[13:14], s[10:11]
	s_mov_b32 s10, 0x7c89e6b0
	s_mov_b32 s11, 0x3efa0199
	v_fma_f64 v[19:20], v[17:18], v[19:20], s[10:11]
	;; [unrolled: 10-line block ×5, first 2 shown]
	s_mov_b32 s10, 0xaa062c8a
	s_mov_b32 s11, 0x4005c3d7
	v_fma_f64 v[6:7], v[6:7], v[11:12], -v[13:14]
	v_fma_f64 v[11:12], v[27:28], v[23:24], v[25:26]
	v_cvt_i32_f64_e32 v27, v[15:16]
	v_fma_f64 v[19:20], v[17:18], v[19:20], 1.0
	v_add_f64 v[6:7], v[6:7], s[10:11]
	v_fma_f64 v[25:26], -v[11:12], v[11:12], v[21:22]
	v_fma_f64 v[15:16], v[17:18], v[19:20], 1.0
	v_add_f64 v[6:7], v[6:7], -v[13:14]
	v_fma_f64 v[11:12], v[25:26], v[23:24], v[11:12]
	v_ldexp_f64 v[13:14], v[15:16], v27
	v_mul_f64 v[2:3], v[6:7], 0.5
	v_cndmask_b32_e64 v6, 0, 0xffffff80, vcc_lo
	v_cmp_class_f64_e64 vcc_lo, v[21:22], 0x260
	v_ldexp_f64 v[6:7], v[11:12], v6
	v_cndmask_b32_e64 v12, 0, v14, s0
	v_cndmask_b32_e64 v11, 0, v13, s0
	v_mul_f64 v[2:3], v[11:12], v[2:3]
	v_cndmask_b32_e32 v7, v7, v22, vcc_lo
	v_cndmask_b32_e32 v6, v6, v21, vcc_lo
	v_div_scale_f64 v[11:12], null, v[6:7], v[6:7], v[2:3]
	v_rcp_f64_e32 v[13:14], v[11:12]
	v_fma_f64 v[15:16], -v[11:12], v[13:14], 1.0
	v_fma_f64 v[13:14], v[13:14], v[15:16], v[13:14]
	v_fma_f64 v[15:16], -v[11:12], v[13:14], 1.0
	v_fma_f64 v[13:14], v[13:14], v[15:16], v[13:14]
	v_div_scale_f64 v[15:16], vcc_lo, v[2:3], v[6:7], v[2:3]
	v_mul_f64 v[17:18], v[15:16], v[13:14]
	v_fma_f64 v[11:12], -v[11:12], v[17:18], v[15:16]
	v_div_fmas_f64 v[11:12], v[11:12], v[13:14], v[17:18]
	v_div_fixup_f64 v[12:13], v[11:12], v[6:7], v[2:3]
.LBB8_1610:
	s_or_b32 exec_lo, exec_lo, s1
.LBB8_1611:
	s_or_b32 exec_lo, exec_lo, s6
.LBB8_1612:
	s_or_b32 exec_lo, exec_lo, s3
	v_mul_lo_u32 v10, s2, v10
	s_and_b32 s1, s4, 0xff
	s_cmp_lt_i32 s1, 11
	v_ashrrev_i32_e32 v2, 31, v10
	v_add_co_u32 v6, vcc_lo, s8, v10
	v_add_co_ci_u32_e64 v7, null, s9, v2, vcc_lo
	s_cbranch_scc1 .LBB8_1735
; %bb.1613:
	s_and_b32 s3, 0xffff, s1
	s_mov_b32 s10, -1
	s_mov_b32 s4, 0
	s_cmp_gt_i32 s3, 25
	s_mov_b32 s6, 0
	s_mov_b32 s0, 0
	s_cbranch_scc0 .LBB8_1646
; %bb.1614:
	s_cmp_gt_i32 s3, 28
	s_cbranch_scc0 .LBB8_1629
; %bb.1615:
	s_cmp_gt_i32 s3, 43
	;; [unrolled: 3-line block ×3, first 2 shown]
	s_cbranch_scc0 .LBB8_1619
; %bb.1617:
	s_mov_b32 s0, -1
	s_mov_b32 s10, 0
	s_cmp_eq_u32 s3, 46
	s_cbranch_scc0 .LBB8_1619
; %bb.1618:
	v_cvt_f32_f64_e32 v2, v[0:1]
	s_mov_b32 s0, 0
	s_mov_b32 s6, -1
	v_bfe_u32 v3, v2, 16, 1
	v_cmp_o_f32_e32 vcc_lo, v2, v2
	v_add3_u32 v2, v2, v3, 0x7fff
	v_mov_b32_e32 v3, 0x7fc0
	v_cndmask_b32_sdwa v2, v3, v2, vcc_lo dst_sel:DWORD dst_unused:UNUSED_PAD src0_sel:DWORD src1_sel:WORD_1
	global_store_dword v[6:7], v2, off
.LBB8_1619:
	s_and_b32 vcc_lo, exec_lo, s10
	s_cbranch_vccz .LBB8_1624
; %bb.1620:
	s_cmp_eq_u32 s3, 44
	s_mov_b32 s0, -1
	s_cbranch_scc0 .LBB8_1624
; %bb.1621:
	v_cvt_f32_f64_e32 v2, v[0:1]
	v_mov_b32_e32 v3, 0xff
	s_mov_b32 s6, exec_lo
	v_bfe_u32 v11, v2, 23, 8
	v_cmpx_ne_u32_e32 0xff, v11
	s_cbranch_execz .LBB8_1623
; %bb.1622:
	v_and_b32_e32 v3, 0x400000, v2
	v_and_or_b32 v11, 0x3fffff, v2, v11
	v_lshrrev_b32_e32 v2, 23, v2
	v_cmp_ne_u32_e32 vcc_lo, 0, v3
	v_cmp_ne_u32_e64 s0, 0, v11
	s_and_b32 s0, vcc_lo, s0
	v_cndmask_b32_e64 v3, 0, 1, s0
	v_add_nc_u32_e32 v3, v2, v3
.LBB8_1623:
	s_or_b32 exec_lo, exec_lo, s6
	s_mov_b32 s0, 0
	s_mov_b32 s6, -1
	global_store_byte v[6:7], v3, off
.LBB8_1624:
	s_mov_b32 s10, 0
.LBB8_1625:
	s_and_b32 vcc_lo, exec_lo, s10
	s_cbranch_vccz .LBB8_1628
; %bb.1626:
	s_cmp_eq_u32 s3, 29
	s_mov_b32 s0, -1
	s_cbranch_scc0 .LBB8_1628
; %bb.1627:
	v_trunc_f64_e32 v[2:3], v[0:1]
	s_mov_b32 s0, 0
	s_mov_b32 s6, -1
	v_ldexp_f64 v[14:15], v[2:3], 0xffffffe0
	v_floor_f64_e32 v[14:15], v[14:15]
	v_fma_f64 v[2:3], 0xc1f00000, v[14:15], v[2:3]
	v_cvt_u32_f64_e32 v15, v[14:15]
	v_cvt_u32_f64_e32 v14, v[2:3]
	global_store_dwordx2 v[6:7], v[14:15], off
.LBB8_1628:
	s_mov_b32 s10, 0
.LBB8_1629:
	s_and_b32 vcc_lo, exec_lo, s10
	s_cbranch_vccz .LBB8_1645
; %bb.1630:
	s_cmp_lt_i32 s3, 27
	s_mov_b32 s6, -1
	s_cbranch_scc1 .LBB8_1636
; %bb.1631:
	v_cvt_u32_f64_e32 v2, v[0:1]
	s_cmp_gt_i32 s3, 27
	s_cbranch_scc0 .LBB8_1633
; %bb.1632:
	s_mov_b32 s6, 0
	global_store_dword v[6:7], v2, off
.LBB8_1633:
	s_andn2_b32 vcc_lo, exec_lo, s6
	s_cbranch_vccnz .LBB8_1635
; %bb.1634:
	global_store_short v[6:7], v2, off
.LBB8_1635:
	s_mov_b32 s6, 0
.LBB8_1636:
	s_andn2_b32 vcc_lo, exec_lo, s6
	s_cbranch_vccnz .LBB8_1644
; %bb.1637:
	v_cvt_f32_f64_e32 v2, v[0:1]
	v_mov_b32_e32 v11, 0x80
	s_mov_b32 s6, exec_lo
	v_and_b32_e32 v3, 0x7fffffff, v2
	v_cmpx_gt_u32_e32 0x43800000, v3
	s_cbranch_execz .LBB8_1643
; %bb.1638:
	v_cmp_lt_u32_e32 vcc_lo, 0x3bffffff, v3
	s_mov_b32 s10, 0
                                        ; implicit-def: $vgpr3
	s_and_saveexec_b32 s11, vcc_lo
	s_xor_b32 s11, exec_lo, s11
	s_cbranch_execz .LBB8_2093
; %bb.1639:
	v_bfe_u32 v3, v2, 20, 1
	s_mov_b32 s10, exec_lo
	v_add3_u32 v3, v2, v3, 0x487ffff
	v_lshrrev_b32_e32 v3, 20, v3
	s_andn2_saveexec_b32 s11, s11
	s_cbranch_execnz .LBB8_2094
.LBB8_1640:
	s_or_b32 exec_lo, exec_lo, s11
	v_mov_b32_e32 v11, 0
	s_and_saveexec_b32 s11, s10
.LBB8_1641:
	v_lshrrev_b32_e32 v2, 24, v2
	v_and_or_b32 v11, 0x80, v2, v3
.LBB8_1642:
	s_or_b32 exec_lo, exec_lo, s11
.LBB8_1643:
	s_or_b32 exec_lo, exec_lo, s6
	global_store_byte v[6:7], v11, off
.LBB8_1644:
	s_mov_b32 s6, -1
.LBB8_1645:
	s_mov_b32 s10, 0
.LBB8_1646:
	s_and_b32 vcc_lo, exec_lo, s10
	s_cbranch_vccz .LBB8_1686
; %bb.1647:
	s_cmp_gt_i32 s3, 22
	s_mov_b32 s4, -1
	s_cbranch_scc0 .LBB8_1679
; %bb.1648:
	s_cmp_lt_i32 s3, 24
	s_cbranch_scc1 .LBB8_1668
; %bb.1649:
	s_cmp_gt_i32 s3, 24
	s_cbranch_scc0 .LBB8_1657
; %bb.1650:
	v_cvt_f32_f64_e32 v2, v[0:1]
	v_mov_b32_e32 v11, 0x80
	s_mov_b32 s4, exec_lo
	v_and_b32_e32 v3, 0x7fffffff, v2
	v_cmpx_gt_u32_e32 0x47800000, v3
	s_cbranch_execz .LBB8_1656
; %bb.1651:
	v_cmp_lt_u32_e32 vcc_lo, 0x37ffffff, v3
	s_mov_b32 s6, 0
                                        ; implicit-def: $vgpr3
	s_and_saveexec_b32 s10, vcc_lo
	s_xor_b32 s10, exec_lo, s10
	s_cbranch_execz .LBB8_2096
; %bb.1652:
	v_bfe_u32 v3, v2, 21, 1
	s_mov_b32 s6, exec_lo
	v_add3_u32 v3, v2, v3, 0x88fffff
	v_lshrrev_b32_e32 v3, 21, v3
	s_andn2_saveexec_b32 s10, s10
	s_cbranch_execnz .LBB8_2097
.LBB8_1653:
	s_or_b32 exec_lo, exec_lo, s10
	v_mov_b32_e32 v11, 0
	s_and_saveexec_b32 s10, s6
.LBB8_1654:
	v_lshrrev_b32_e32 v2, 24, v2
	v_and_or_b32 v11, 0x80, v2, v3
.LBB8_1655:
	s_or_b32 exec_lo, exec_lo, s10
.LBB8_1656:
	s_or_b32 exec_lo, exec_lo, s4
	s_mov_b32 s4, 0
	global_store_byte v[6:7], v11, off
.LBB8_1657:
	s_and_b32 vcc_lo, exec_lo, s4
	s_cbranch_vccz .LBB8_1667
; %bb.1658:
	v_cvt_f32_f64_e32 v2, v[0:1]
	s_mov_b32 s4, exec_lo
                                        ; implicit-def: $vgpr3
	v_and_b32_e32 v11, 0x7fffffff, v2
	v_cmpx_gt_u32_e32 0x43f00000, v11
	s_xor_b32 s4, exec_lo, s4
	s_cbranch_execz .LBB8_1664
; %bb.1659:
	s_mov_b32 s6, exec_lo
                                        ; implicit-def: $vgpr3
	v_cmpx_lt_u32_e32 0x3c7fffff, v11
	s_xor_b32 s6, exec_lo, s6
; %bb.1660:
	v_bfe_u32 v3, v2, 20, 1
	v_add3_u32 v3, v2, v3, 0x407ffff
	v_and_b32_e32 v11, 0xff00000, v3
	v_lshrrev_b32_e32 v3, 20, v3
	v_cmp_ne_u32_e32 vcc_lo, 0x7f00000, v11
	v_cndmask_b32_e32 v3, 0x7e, v3, vcc_lo
; %bb.1661:
	s_andn2_saveexec_b32 s6, s6
; %bb.1662:
	v_add_f32_e64 v3, 0x46800000, |v2|
; %bb.1663:
	s_or_b32 exec_lo, exec_lo, s6
                                        ; implicit-def: $vgpr11
.LBB8_1664:
	s_andn2_saveexec_b32 s4, s4
; %bb.1665:
	v_mov_b32_e32 v3, 0x7f
	v_cmp_lt_u32_e32 vcc_lo, 0x7f800000, v11
	v_cndmask_b32_e32 v3, 0x7e, v3, vcc_lo
; %bb.1666:
	s_or_b32 exec_lo, exec_lo, s4
	v_lshrrev_b32_e32 v2, 24, v2
	v_and_or_b32 v2, 0x80, v2, v3
	global_store_byte v[6:7], v2, off
.LBB8_1667:
	s_mov_b32 s4, 0
.LBB8_1668:
	s_andn2_b32 vcc_lo, exec_lo, s4
	s_cbranch_vccnz .LBB8_1678
; %bb.1669:
	v_cvt_f32_f64_e32 v2, v[0:1]
	s_mov_b32 s4, exec_lo
                                        ; implicit-def: $vgpr3
	v_and_b32_e32 v11, 0x7fffffff, v2
	v_cmpx_gt_u32_e32 0x47800000, v11
	s_xor_b32 s4, exec_lo, s4
	s_cbranch_execz .LBB8_1675
; %bb.1670:
	s_mov_b32 s6, exec_lo
                                        ; implicit-def: $vgpr3
	v_cmpx_lt_u32_e32 0x387fffff, v11
	s_xor_b32 s6, exec_lo, s6
; %bb.1671:
	v_bfe_u32 v3, v2, 21, 1
	v_add3_u32 v3, v2, v3, 0x80fffff
	v_lshrrev_b32_e32 v3, 21, v3
; %bb.1672:
	s_andn2_saveexec_b32 s6, s6
; %bb.1673:
	v_add_f32_e64 v3, 0x43000000, |v2|
; %bb.1674:
	s_or_b32 exec_lo, exec_lo, s6
                                        ; implicit-def: $vgpr11
.LBB8_1675:
	s_andn2_saveexec_b32 s4, s4
; %bb.1676:
	v_mov_b32_e32 v3, 0x7f
	v_cmp_lt_u32_e32 vcc_lo, 0x7f800000, v11
	v_cndmask_b32_e32 v3, 0x7c, v3, vcc_lo
; %bb.1677:
	s_or_b32 exec_lo, exec_lo, s4
	v_lshrrev_b32_e32 v2, 24, v2
	v_and_or_b32 v2, 0x80, v2, v3
	global_store_byte v[6:7], v2, off
.LBB8_1678:
	s_mov_b32 s4, 0
	s_mov_b32 s6, -1
.LBB8_1679:
	s_andn2_b32 vcc_lo, exec_lo, s4
	s_mov_b32 s4, 0
	s_cbranch_vccnz .LBB8_1686
; %bb.1680:
	s_cmp_gt_i32 s3, 14
	s_mov_b32 s4, -1
	s_cbranch_scc0 .LBB8_1684
; %bb.1681:
	s_cmp_eq_u32 s3, 15
	s_mov_b32 s0, -1
	s_cbranch_scc0 .LBB8_1683
; %bb.1682:
	v_cvt_f32_f64_e32 v2, v[0:1]
	s_mov_b32 s0, 0
	s_mov_b32 s6, -1
	v_bfe_u32 v3, v2, 16, 1
	v_cmp_o_f32_e32 vcc_lo, v2, v2
	v_add3_u32 v2, v2, v3, 0x7fff
	v_mov_b32_e32 v3, 0x7fc0
	v_cndmask_b32_sdwa v2, v3, v2, vcc_lo dst_sel:DWORD dst_unused:UNUSED_PAD src0_sel:DWORD src1_sel:WORD_1
	global_store_short v[6:7], v2, off
.LBB8_1683:
	s_mov_b32 s4, 0
.LBB8_1684:
	s_and_b32 vcc_lo, exec_lo, s4
	s_mov_b32 s4, 0
	s_cbranch_vccz .LBB8_1686
; %bb.1685:
	s_cmp_lg_u32 s3, 11
	s_mov_b32 s4, -1
	s_cselect_b32 s0, -1, 0
.LBB8_1686:
	s_and_b32 vcc_lo, exec_lo, s0
	s_cbranch_vccnz .LBB8_2095
; %bb.1687:
	s_andn2_b32 vcc_lo, exec_lo, s4
	s_cbranch_vccnz .LBB8_1689
.LBB8_1688:
	v_cmp_neq_f64_e32 vcc_lo, 0, v[0:1]
	s_mov_b32 s6, -1
	v_cndmask_b32_e64 v2, 0, 1, vcc_lo
	global_store_byte v[6:7], v2, off
.LBB8_1689:
	s_mov_b32 s0, 0
	s_branch .LBB8_1736
.LBB8_1690:
	s_mov_b32 s0, 0
	s_mov_b32 s3, 0
                                        ; implicit-def: $sgpr1
                                        ; implicit-def: $vgpr0_vgpr1
                                        ; implicit-def: $vgpr12_vgpr13
.LBB8_1691:
	s_andn2_b32 s2, s12, exec_lo
	s_and_b32 s4, s5, exec_lo
	s_and_b32 s0, s0, exec_lo
	;; [unrolled: 1-line block ×3, first 2 shown]
	s_or_b32 s12, s2, s4
.LBB8_1692:
	s_or_b32 exec_lo, exec_lo, s7
	s_and_saveexec_b32 s2, s12
	s_cbranch_execz .LBB8_1695
; %bb.1693:
	; divergent unreachable
	s_or_b32 exec_lo, exec_lo, s2
	s_and_saveexec_b32 s2, s5
	s_xor_b32 s2, exec_lo, s2
	s_cbranch_execnz .LBB8_1696
.LBB8_1694:
	s_or_b32 exec_lo, exec_lo, s2
	s_and_saveexec_b32 s2, s0
	s_cbranch_execnz .LBB8_1697
	s_branch .LBB8_1734
.LBB8_1695:
	s_or_b32 exec_lo, exec_lo, s2
	s_and_saveexec_b32 s2, s5
	s_xor_b32 s2, exec_lo, s2
	s_cbranch_execz .LBB8_1694
.LBB8_1696:
	v_cmp_neq_f64_e32 vcc_lo, 0, v[12:13]
	s_waitcnt vmcnt(0)
	v_cndmask_b32_e64 v2, 0, 1, vcc_lo
	global_store_byte v[0:1], v2, off
	s_or_b32 exec_lo, exec_lo, s2
	s_and_saveexec_b32 s2, s0
	s_cbranch_execz .LBB8_1734
.LBB8_1697:
	s_sext_i32_i16 s2, s1
	s_mov_b32 s0, -1
	s_cmp_lt_i32 s2, 5
	s_cbranch_scc1 .LBB8_1718
; %bb.1698:
	s_cmp_lt_i32 s2, 8
	s_cbranch_scc1 .LBB8_1708
; %bb.1699:
	;; [unrolled: 3-line block ×3, first 2 shown]
	s_cmp_gt_i32 s2, 9
	s_cbranch_scc0 .LBB8_1702
; %bb.1701:
	v_mov_b32_e32 v14, 0
	s_mov_b32 s0, 0
	v_mov_b32_e32 v15, v14
	global_store_dwordx4 v[0:1], v[12:15], off
.LBB8_1702:
	s_andn2_b32 vcc_lo, exec_lo, s0
	s_cbranch_vccnz .LBB8_1704
; %bb.1703:
	s_waitcnt vmcnt(0)
	v_cvt_f32_f64_e32 v2, v[12:13]
	v_mov_b32_e32 v3, 0
	global_store_dwordx2 v[0:1], v[2:3], off
.LBB8_1704:
	s_mov_b32 s0, 0
.LBB8_1705:
	s_andn2_b32 vcc_lo, exec_lo, s0
	s_cbranch_vccnz .LBB8_1707
; %bb.1706:
	s_waitcnt vmcnt(0)
	v_and_or_b32 v2, 0x1ff, v13, v12
	v_lshrrev_b32_e32 v3, 8, v13
	v_bfe_u32 v4, v13, 20, 11
	v_cmp_ne_u32_e32 vcc_lo, 0, v2
	v_sub_nc_u32_e32 v5, 0x3f1, v4
	v_add_nc_u32_e32 v4, 0xfffffc10, v4
	v_cndmask_b32_e64 v2, 0, 1, vcc_lo
	v_and_or_b32 v2, 0xffe, v3, v2
	v_med3_i32 v3, v5, 0, 13
	v_or_b32_e32 v5, 0x1000, v2
	v_lshrrev_b32_e32 v6, v3, v5
	v_lshlrev_b32_e32 v3, v3, v6
	v_cmp_ne_u32_e32 vcc_lo, v3, v5
	v_lshl_or_b32 v5, v4, 12, v2
	v_cndmask_b32_e64 v3, 0, 1, vcc_lo
	v_cmp_gt_i32_e32 vcc_lo, 1, v4
	v_or_b32_e32 v3, v6, v3
	v_cndmask_b32_e32 v3, v5, v3, vcc_lo
	v_and_b32_e32 v5, 7, v3
	v_lshrrev_b32_e32 v3, 2, v3
	v_cmp_lt_i32_e32 vcc_lo, 5, v5
	v_cndmask_b32_e64 v6, 0, 1, vcc_lo
	v_cmp_eq_u32_e32 vcc_lo, 3, v5
	v_cndmask_b32_e64 v5, 0, 1, vcc_lo
	v_cmp_ne_u32_e32 vcc_lo, 0, v2
	v_or_b32_e32 v5, v5, v6
	v_mov_b32_e32 v6, 0x7e00
	v_add_nc_u32_e32 v3, v3, v5
	v_cndmask_b32_e32 v2, 0x7c00, v6, vcc_lo
	v_cmp_gt_i32_e32 vcc_lo, 31, v4
	v_cndmask_b32_e32 v3, 0x7c00, v3, vcc_lo
	v_cmp_eq_u32_e32 vcc_lo, 0x40f, v4
	v_cndmask_b32_e32 v2, v3, v2, vcc_lo
	v_lshrrev_b32_e32 v3, 16, v13
	v_and_or_b32 v2, 0x8000, v3, v2
	v_and_b32_e32 v2, 0xffff, v2
	global_store_dword v[0:1], v2, off
.LBB8_1707:
	s_mov_b32 s0, 0
.LBB8_1708:
	s_andn2_b32 vcc_lo, exec_lo, s0
	s_cbranch_vccnz .LBB8_1717
; %bb.1709:
	s_sext_i32_i16 s2, s1
	s_mov_b32 s0, -1
	s_cmp_lt_i32 s2, 6
	s_cbranch_scc1 .LBB8_1715
; %bb.1710:
	s_cmp_gt_i32 s2, 6
	s_cbranch_scc0 .LBB8_1712
; %bb.1711:
	s_mov_b32 s0, 0
	global_store_dwordx2 v[0:1], v[12:13], off
.LBB8_1712:
	s_andn2_b32 vcc_lo, exec_lo, s0
	s_cbranch_vccnz .LBB8_1714
; %bb.1713:
	s_waitcnt vmcnt(0)
	v_cvt_f32_f64_e32 v2, v[12:13]
	global_store_dword v[0:1], v2, off
.LBB8_1714:
	s_mov_b32 s0, 0
.LBB8_1715:
	s_andn2_b32 vcc_lo, exec_lo, s0
	s_cbranch_vccnz .LBB8_1717
; %bb.1716:
	s_waitcnt vmcnt(0)
	v_and_or_b32 v2, 0x1ff, v13, v12
	v_lshrrev_b32_e32 v3, 8, v13
	v_bfe_u32 v4, v13, 20, 11
	v_cmp_ne_u32_e32 vcc_lo, 0, v2
	v_sub_nc_u32_e32 v5, 0x3f1, v4
	v_add_nc_u32_e32 v4, 0xfffffc10, v4
	v_cndmask_b32_e64 v2, 0, 1, vcc_lo
	v_and_or_b32 v2, 0xffe, v3, v2
	v_med3_i32 v3, v5, 0, 13
	v_or_b32_e32 v5, 0x1000, v2
	v_lshrrev_b32_e32 v6, v3, v5
	v_lshlrev_b32_e32 v3, v3, v6
	v_cmp_ne_u32_e32 vcc_lo, v3, v5
	v_lshl_or_b32 v5, v4, 12, v2
	v_cndmask_b32_e64 v3, 0, 1, vcc_lo
	v_cmp_gt_i32_e32 vcc_lo, 1, v4
	v_or_b32_e32 v3, v6, v3
	v_cndmask_b32_e32 v3, v5, v3, vcc_lo
	v_and_b32_e32 v5, 7, v3
	v_lshrrev_b32_e32 v3, 2, v3
	v_cmp_lt_i32_e32 vcc_lo, 5, v5
	v_cndmask_b32_e64 v6, 0, 1, vcc_lo
	v_cmp_eq_u32_e32 vcc_lo, 3, v5
	v_cndmask_b32_e64 v5, 0, 1, vcc_lo
	v_cmp_ne_u32_e32 vcc_lo, 0, v2
	v_or_b32_e32 v5, v5, v6
	v_mov_b32_e32 v6, 0x7e00
	v_add_nc_u32_e32 v3, v3, v5
	v_cndmask_b32_e32 v2, 0x7c00, v6, vcc_lo
	v_cmp_gt_i32_e32 vcc_lo, 31, v4
	v_cndmask_b32_e32 v3, 0x7c00, v3, vcc_lo
	v_cmp_eq_u32_e32 vcc_lo, 0x40f, v4
	v_cndmask_b32_e32 v2, v3, v2, vcc_lo
	v_lshrrev_b32_e32 v3, 16, v13
	v_and_or_b32 v2, 0x8000, v3, v2
	global_store_short v[0:1], v2, off
.LBB8_1717:
	s_mov_b32 s0, 0
.LBB8_1718:
	s_andn2_b32 vcc_lo, exec_lo, s0
	s_cbranch_vccnz .LBB8_1734
; %bb.1719:
	s_sext_i32_i16 s2, s1
	s_mov_b32 s0, -1
	s_cmp_lt_i32 s2, 2
	s_cbranch_scc1 .LBB8_1729
; %bb.1720:
	s_cmp_lt_i32 s2, 3
	s_cbranch_scc1 .LBB8_1726
; %bb.1721:
	s_cmp_gt_i32 s2, 3
	s_cbranch_scc0 .LBB8_1723
; %bb.1722:
	s_waitcnt vmcnt(0)
	v_trunc_f64_e32 v[2:3], v[12:13]
	s_mov_b32 s0, 0
	v_ldexp_f64 v[4:5], v[2:3], 0xffffffe0
	v_floor_f64_e32 v[4:5], v[4:5]
	v_fma_f64 v[2:3], 0xc1f00000, v[4:5], v[2:3]
	v_cvt_i32_f64_e32 v4, v[4:5]
	v_cvt_u32_f64_e32 v3, v[2:3]
	global_store_dwordx2 v[0:1], v[3:4], off
.LBB8_1723:
	s_andn2_b32 vcc_lo, exec_lo, s0
	s_cbranch_vccnz .LBB8_1725
; %bb.1724:
	s_waitcnt vmcnt(0)
	v_cvt_i32_f64_e32 v2, v[12:13]
	global_store_dword v[0:1], v2, off
.LBB8_1725:
	s_mov_b32 s0, 0
.LBB8_1726:
	s_andn2_b32 vcc_lo, exec_lo, s0
	s_cbranch_vccnz .LBB8_1728
; %bb.1727:
	s_waitcnt vmcnt(0)
	v_cvt_i32_f64_e32 v2, v[12:13]
	global_store_short v[0:1], v2, off
.LBB8_1728:
	s_mov_b32 s0, 0
.LBB8_1729:
	s_andn2_b32 vcc_lo, exec_lo, s0
	s_cbranch_vccnz .LBB8_1734
; %bb.1730:
	s_sext_i32_i16 s0, s1
	s_cmp_gt_i32 s0, 0
	s_mov_b32 s0, -1
	s_cbranch_scc0 .LBB8_1732
; %bb.1731:
	s_waitcnt vmcnt(0)
	v_cvt_i32_f64_e32 v2, v[12:13]
	s_mov_b32 s0, 0
	global_store_byte v[0:1], v2, off
.LBB8_1732:
	s_andn2_b32 vcc_lo, exec_lo, s0
	s_cbranch_vccnz .LBB8_1734
; %bb.1733:
	s_waitcnt vmcnt(0)
	v_trunc_f64_e32 v[2:3], v[12:13]
	v_ldexp_f64 v[4:5], v[2:3], 0xffffffe0
	v_floor_f64_e32 v[4:5], v[4:5]
	v_fma_f64 v[2:3], 0xc1f00000, v[4:5], v[2:3]
	v_cvt_u32_f64_e32 v2, v[2:3]
	global_store_byte v[0:1], v2, off
	s_endpgm
.LBB8_1734:
	s_endpgm
.LBB8_1735:
	s_mov_b32 s0, -1
	s_mov_b32 s6, 0
.LBB8_1736:
	s_and_b32 vcc_lo, exec_lo, s0
	s_cbranch_vccz .LBB8_1775
; %bb.1737:
	s_and_b32 s0, 0xffff, s1
	s_mov_b32 s3, -1
	s_cmp_lt_i32 s0, 5
	s_cbranch_scc1 .LBB8_1758
; %bb.1738:
	s_cmp_lt_i32 s0, 8
	s_cbranch_scc1 .LBB8_1748
; %bb.1739:
	;; [unrolled: 3-line block ×3, first 2 shown]
	s_cmp_gt_i32 s0, 9
	s_cbranch_scc0 .LBB8_1742
; %bb.1741:
	v_mov_b32_e32 v2, 0
	s_mov_b32 s3, 0
	v_mov_b32_e32 v3, v2
	global_store_dwordx4 v[6:7], v[0:3], off
.LBB8_1742:
	s_andn2_b32 vcc_lo, exec_lo, s3
	s_cbranch_vccnz .LBB8_1744
; %bb.1743:
	v_cvt_f32_f64_e32 v2, v[0:1]
	v_mov_b32_e32 v3, 0
	global_store_dwordx2 v[6:7], v[2:3], off
.LBB8_1744:
	s_mov_b32 s3, 0
.LBB8_1745:
	s_andn2_b32 vcc_lo, exec_lo, s3
	s_cbranch_vccnz .LBB8_1747
; %bb.1746:
	v_and_or_b32 v2, 0x1ff, v1, v0
	v_lshrrev_b32_e32 v3, 8, v1
	v_bfe_u32 v11, v1, 20, 11
	v_cmp_ne_u32_e32 vcc_lo, 0, v2
	v_sub_nc_u32_e32 v14, 0x3f1, v11
	v_add_nc_u32_e32 v11, 0xfffffc10, v11
	v_cndmask_b32_e64 v2, 0, 1, vcc_lo
	v_and_or_b32 v2, 0xffe, v3, v2
	v_med3_i32 v3, v14, 0, 13
	v_or_b32_e32 v14, 0x1000, v2
	v_lshrrev_b32_e32 v15, v3, v14
	v_lshlrev_b32_e32 v3, v3, v15
	v_cmp_ne_u32_e32 vcc_lo, v3, v14
	v_lshl_or_b32 v14, v11, 12, v2
	v_cndmask_b32_e64 v3, 0, 1, vcc_lo
	v_cmp_gt_i32_e32 vcc_lo, 1, v11
	v_or_b32_e32 v3, v15, v3
	v_cndmask_b32_e32 v3, v14, v3, vcc_lo
	v_and_b32_e32 v14, 7, v3
	v_lshrrev_b32_e32 v3, 2, v3
	v_cmp_lt_i32_e32 vcc_lo, 5, v14
	v_cndmask_b32_e64 v15, 0, 1, vcc_lo
	v_cmp_eq_u32_e32 vcc_lo, 3, v14
	v_cndmask_b32_e64 v14, 0, 1, vcc_lo
	v_cmp_ne_u32_e32 vcc_lo, 0, v2
	v_or_b32_e32 v14, v14, v15
	v_mov_b32_e32 v15, 0x7e00
	v_add_nc_u32_e32 v3, v3, v14
	v_cndmask_b32_e32 v2, 0x7c00, v15, vcc_lo
	v_cmp_gt_i32_e32 vcc_lo, 31, v11
	v_cndmask_b32_e32 v3, 0x7c00, v3, vcc_lo
	v_cmp_eq_u32_e32 vcc_lo, 0x40f, v11
	v_cndmask_b32_e32 v2, v3, v2, vcc_lo
	v_lshrrev_b32_e32 v3, 16, v1
	v_and_or_b32 v2, 0x8000, v3, v2
	v_and_b32_e32 v2, 0xffff, v2
	global_store_dword v[6:7], v2, off
.LBB8_1747:
	s_mov_b32 s3, 0
.LBB8_1748:
	s_andn2_b32 vcc_lo, exec_lo, s3
	s_cbranch_vccnz .LBB8_1757
; %bb.1749:
	s_cmp_lt_i32 s0, 6
	s_mov_b32 s3, -1
	s_cbranch_scc1 .LBB8_1755
; %bb.1750:
	s_cmp_gt_i32 s0, 6
	s_cbranch_scc0 .LBB8_1752
; %bb.1751:
	s_mov_b32 s3, 0
	global_store_dwordx2 v[6:7], v[0:1], off
.LBB8_1752:
	s_andn2_b32 vcc_lo, exec_lo, s3
	s_cbranch_vccnz .LBB8_1754
; %bb.1753:
	v_cvt_f32_f64_e32 v2, v[0:1]
	global_store_dword v[6:7], v2, off
.LBB8_1754:
	s_mov_b32 s3, 0
.LBB8_1755:
	s_andn2_b32 vcc_lo, exec_lo, s3
	s_cbranch_vccnz .LBB8_1757
; %bb.1756:
	v_and_or_b32 v2, 0x1ff, v1, v0
	v_lshrrev_b32_e32 v3, 8, v1
	v_bfe_u32 v11, v1, 20, 11
	v_cmp_ne_u32_e32 vcc_lo, 0, v2
	v_sub_nc_u32_e32 v14, 0x3f1, v11
	v_add_nc_u32_e32 v11, 0xfffffc10, v11
	v_cndmask_b32_e64 v2, 0, 1, vcc_lo
	v_and_or_b32 v2, 0xffe, v3, v2
	v_med3_i32 v3, v14, 0, 13
	v_or_b32_e32 v14, 0x1000, v2
	v_lshrrev_b32_e32 v15, v3, v14
	v_lshlrev_b32_e32 v3, v3, v15
	v_cmp_ne_u32_e32 vcc_lo, v3, v14
	v_lshl_or_b32 v14, v11, 12, v2
	v_cndmask_b32_e64 v3, 0, 1, vcc_lo
	v_cmp_gt_i32_e32 vcc_lo, 1, v11
	v_or_b32_e32 v3, v15, v3
	v_cndmask_b32_e32 v3, v14, v3, vcc_lo
	v_and_b32_e32 v14, 7, v3
	v_lshrrev_b32_e32 v3, 2, v3
	v_cmp_lt_i32_e32 vcc_lo, 5, v14
	v_cndmask_b32_e64 v15, 0, 1, vcc_lo
	v_cmp_eq_u32_e32 vcc_lo, 3, v14
	v_cndmask_b32_e64 v14, 0, 1, vcc_lo
	v_cmp_ne_u32_e32 vcc_lo, 0, v2
	v_or_b32_e32 v14, v14, v15
	v_mov_b32_e32 v15, 0x7e00
	v_add_nc_u32_e32 v3, v3, v14
	v_cndmask_b32_e32 v2, 0x7c00, v15, vcc_lo
	v_cmp_gt_i32_e32 vcc_lo, 31, v11
	v_cndmask_b32_e32 v3, 0x7c00, v3, vcc_lo
	v_cmp_eq_u32_e32 vcc_lo, 0x40f, v11
	v_cndmask_b32_e32 v2, v3, v2, vcc_lo
	v_lshrrev_b32_e32 v3, 16, v1
	v_and_or_b32 v2, 0x8000, v3, v2
	global_store_short v[6:7], v2, off
.LBB8_1757:
	s_mov_b32 s3, 0
.LBB8_1758:
	s_andn2_b32 vcc_lo, exec_lo, s3
	s_cbranch_vccnz .LBB8_1774
; %bb.1759:
	s_cmp_lt_i32 s0, 2
	s_mov_b32 s3, -1
	s_cbranch_scc1 .LBB8_1769
; %bb.1760:
	s_cmp_lt_i32 s0, 3
	s_cbranch_scc1 .LBB8_1766
; %bb.1761:
	s_cmp_gt_i32 s0, 3
	s_cbranch_scc0 .LBB8_1763
; %bb.1762:
	v_trunc_f64_e32 v[2:3], v[0:1]
	s_mov_b32 s3, 0
	v_ldexp_f64 v[14:15], v[2:3], 0xffffffe0
	v_floor_f64_e32 v[14:15], v[14:15]
	v_fma_f64 v[2:3], 0xc1f00000, v[14:15], v[2:3]
	v_cvt_i32_f64_e32 v15, v[14:15]
	v_cvt_u32_f64_e32 v14, v[2:3]
	global_store_dwordx2 v[6:7], v[14:15], off
.LBB8_1763:
	s_andn2_b32 vcc_lo, exec_lo, s3
	s_cbranch_vccnz .LBB8_1765
; %bb.1764:
	v_cvt_i32_f64_e32 v2, v[0:1]
	global_store_dword v[6:7], v2, off
.LBB8_1765:
	s_mov_b32 s3, 0
.LBB8_1766:
	s_andn2_b32 vcc_lo, exec_lo, s3
	s_cbranch_vccnz .LBB8_1768
; %bb.1767:
	v_cvt_i32_f64_e32 v2, v[0:1]
	global_store_short v[6:7], v2, off
.LBB8_1768:
	s_mov_b32 s3, 0
.LBB8_1769:
	s_andn2_b32 vcc_lo, exec_lo, s3
	s_cbranch_vccnz .LBB8_1774
; %bb.1770:
	s_cmp_gt_i32 s0, 0
	s_mov_b32 s0, -1
	s_cbranch_scc0 .LBB8_1772
; %bb.1771:
	v_cvt_i32_f64_e32 v2, v[0:1]
	s_mov_b32 s0, 0
	global_store_byte v[6:7], v2, off
.LBB8_1772:
	s_andn2_b32 vcc_lo, exec_lo, s0
	s_cbranch_vccnz .LBB8_1774
; %bb.1773:
	v_trunc_f64_e32 v[0:1], v[0:1]
	v_ldexp_f64 v[2:3], v[0:1], 0xffffffe0
	v_floor_f64_e32 v[2:3], v[2:3]
	v_fma_f64 v[0:1], 0xc1f00000, v[2:3], v[0:1]
	v_cvt_u32_f64_e32 v0, v[0:1]
	global_store_byte v[6:7], v0, off
.LBB8_1774:
	s_mov_b32 s6, -1
.LBB8_1775:
	s_andn2_b32 vcc_lo, exec_lo, s6
	s_cbranch_vccnz .LBB8_2090
; %bb.1776:
	s_lshl_b32 s2, s2, 7
	s_cmp_lt_i32 s1, 11
	v_add_nc_u32_e32 v2, s2, v10
	v_ashrrev_i32_e32 v1, 31, v2
	v_add_co_u32 v0, vcc_lo, s8, v2
	v_add_co_ci_u32_e64 v1, null, s9, v1, vcc_lo
	s_cbranch_scc1 .LBB8_1854
; %bb.1777:
	s_and_b32 s3, 0xffff, s1
	s_mov_b32 s10, -1
	s_mov_b32 s4, 0
	s_cmp_gt_i32 s3, 25
	s_mov_b32 s6, 0
	s_mov_b32 s0, 0
	s_cbranch_scc0 .LBB8_1810
; %bb.1778:
	s_cmp_gt_i32 s3, 28
	s_cbranch_scc0 .LBB8_1793
; %bb.1779:
	s_cmp_gt_i32 s3, 43
	;; [unrolled: 3-line block ×3, first 2 shown]
	s_cbranch_scc0 .LBB8_1783
; %bb.1781:
	s_mov_b32 s0, -1
	s_mov_b32 s10, 0
	s_cmp_eq_u32 s3, 46
	s_cbranch_scc0 .LBB8_1783
; %bb.1782:
	v_cvt_f32_f64_e32 v3, v[4:5]
	s_mov_b32 s0, 0
	s_mov_b32 s6, -1
	v_bfe_u32 v6, v3, 16, 1
	v_cmp_o_f32_e32 vcc_lo, v3, v3
	v_add3_u32 v3, v3, v6, 0x7fff
	v_mov_b32_e32 v6, 0x7fc0
	v_cndmask_b32_sdwa v3, v6, v3, vcc_lo dst_sel:DWORD dst_unused:UNUSED_PAD src0_sel:DWORD src1_sel:WORD_1
	global_store_dword v[0:1], v3, off
.LBB8_1783:
	s_and_b32 vcc_lo, exec_lo, s10
	s_cbranch_vccz .LBB8_1788
; %bb.1784:
	s_cmp_eq_u32 s3, 44
	s_mov_b32 s0, -1
	s_cbranch_scc0 .LBB8_1788
; %bb.1785:
	v_cvt_f32_f64_e32 v3, v[4:5]
	v_mov_b32_e32 v6, 0xff
	s_mov_b32 s6, exec_lo
	v_bfe_u32 v7, v3, 23, 8
	v_cmpx_ne_u32_e32 0xff, v7
	s_cbranch_execz .LBB8_1787
; %bb.1786:
	v_and_b32_e32 v6, 0x400000, v3
	v_and_or_b32 v7, 0x3fffff, v3, v7
	v_lshrrev_b32_e32 v3, 23, v3
	v_cmp_ne_u32_e32 vcc_lo, 0, v6
	v_cmp_ne_u32_e64 s0, 0, v7
	s_and_b32 s0, vcc_lo, s0
	v_cndmask_b32_e64 v6, 0, 1, s0
	v_add_nc_u32_e32 v6, v3, v6
.LBB8_1787:
	s_or_b32 exec_lo, exec_lo, s6
	s_mov_b32 s0, 0
	s_mov_b32 s6, -1
	global_store_byte v[0:1], v6, off
.LBB8_1788:
	s_mov_b32 s10, 0
.LBB8_1789:
	s_and_b32 vcc_lo, exec_lo, s10
	s_cbranch_vccz .LBB8_1792
; %bb.1790:
	s_cmp_eq_u32 s3, 29
	s_mov_b32 s0, -1
	s_cbranch_scc0 .LBB8_1792
; %bb.1791:
	v_trunc_f64_e32 v[6:7], v[4:5]
	s_mov_b32 s0, 0
	s_mov_b32 s6, -1
	v_ldexp_f64 v[10:11], v[6:7], 0xffffffe0
	v_floor_f64_e32 v[10:11], v[10:11]
	v_fma_f64 v[6:7], 0xc1f00000, v[10:11], v[6:7]
	v_cvt_u32_f64_e32 v11, v[10:11]
	v_cvt_u32_f64_e32 v10, v[6:7]
	global_store_dwordx2 v[0:1], v[10:11], off
.LBB8_1792:
	s_mov_b32 s10, 0
.LBB8_1793:
	s_and_b32 vcc_lo, exec_lo, s10
	s_cbranch_vccz .LBB8_1809
; %bb.1794:
	s_cmp_lt_i32 s3, 27
	s_mov_b32 s6, -1
	s_cbranch_scc1 .LBB8_1800
; %bb.1795:
	v_cvt_u32_f64_e32 v3, v[4:5]
	s_cmp_gt_i32 s3, 27
	s_cbranch_scc0 .LBB8_1797
; %bb.1796:
	s_mov_b32 s6, 0
	global_store_dword v[0:1], v3, off
.LBB8_1797:
	s_andn2_b32 vcc_lo, exec_lo, s6
	s_cbranch_vccnz .LBB8_1799
; %bb.1798:
	global_store_short v[0:1], v3, off
.LBB8_1799:
	s_mov_b32 s6, 0
.LBB8_1800:
	s_andn2_b32 vcc_lo, exec_lo, s6
	s_cbranch_vccnz .LBB8_1808
; %bb.1801:
	v_cvt_f32_f64_e32 v3, v[4:5]
	v_mov_b32_e32 v7, 0x80
	s_mov_b32 s6, exec_lo
	v_and_b32_e32 v6, 0x7fffffff, v3
	v_cmpx_gt_u32_e32 0x43800000, v6
	s_cbranch_execz .LBB8_1807
; %bb.1802:
	v_cmp_lt_u32_e32 vcc_lo, 0x3bffffff, v6
	s_mov_b32 s10, 0
                                        ; implicit-def: $vgpr6
	s_and_saveexec_b32 s11, vcc_lo
	s_xor_b32 s11, exec_lo, s11
	s_cbranch_execz .LBB8_2098
; %bb.1803:
	v_bfe_u32 v6, v3, 20, 1
	s_mov_b32 s10, exec_lo
	v_add3_u32 v6, v3, v6, 0x487ffff
	v_lshrrev_b32_e32 v6, 20, v6
	s_andn2_saveexec_b32 s11, s11
	s_cbranch_execnz .LBB8_2099
.LBB8_1804:
	s_or_b32 exec_lo, exec_lo, s11
	v_mov_b32_e32 v7, 0
	s_and_saveexec_b32 s11, s10
.LBB8_1805:
	v_lshrrev_b32_e32 v3, 24, v3
	v_and_or_b32 v7, 0x80, v3, v6
.LBB8_1806:
	s_or_b32 exec_lo, exec_lo, s11
.LBB8_1807:
	s_or_b32 exec_lo, exec_lo, s6
	global_store_byte v[0:1], v7, off
.LBB8_1808:
	s_mov_b32 s6, -1
.LBB8_1809:
	s_mov_b32 s10, 0
.LBB8_1810:
	s_and_b32 vcc_lo, exec_lo, s10
	s_cbranch_vccz .LBB8_1850
; %bb.1811:
	s_cmp_gt_i32 s3, 22
	s_mov_b32 s4, -1
	s_cbranch_scc0 .LBB8_1843
; %bb.1812:
	s_cmp_lt_i32 s3, 24
	s_cbranch_scc1 .LBB8_1832
; %bb.1813:
	s_cmp_gt_i32 s3, 24
	s_cbranch_scc0 .LBB8_1821
; %bb.1814:
	v_cvt_f32_f64_e32 v3, v[4:5]
	v_mov_b32_e32 v7, 0x80
	s_mov_b32 s4, exec_lo
	v_and_b32_e32 v6, 0x7fffffff, v3
	v_cmpx_gt_u32_e32 0x47800000, v6
	s_cbranch_execz .LBB8_1820
; %bb.1815:
	v_cmp_lt_u32_e32 vcc_lo, 0x37ffffff, v6
	s_mov_b32 s6, 0
                                        ; implicit-def: $vgpr6
	s_and_saveexec_b32 s10, vcc_lo
	s_xor_b32 s10, exec_lo, s10
	s_cbranch_execz .LBB8_2101
; %bb.1816:
	v_bfe_u32 v6, v3, 21, 1
	s_mov_b32 s6, exec_lo
	v_add3_u32 v6, v3, v6, 0x88fffff
	v_lshrrev_b32_e32 v6, 21, v6
	s_andn2_saveexec_b32 s10, s10
	s_cbranch_execnz .LBB8_2102
.LBB8_1817:
	s_or_b32 exec_lo, exec_lo, s10
	v_mov_b32_e32 v7, 0
	s_and_saveexec_b32 s10, s6
.LBB8_1818:
	v_lshrrev_b32_e32 v3, 24, v3
	v_and_or_b32 v7, 0x80, v3, v6
.LBB8_1819:
	s_or_b32 exec_lo, exec_lo, s10
.LBB8_1820:
	s_or_b32 exec_lo, exec_lo, s4
	s_mov_b32 s4, 0
	global_store_byte v[0:1], v7, off
.LBB8_1821:
	s_and_b32 vcc_lo, exec_lo, s4
	s_cbranch_vccz .LBB8_1831
; %bb.1822:
	v_cvt_f32_f64_e32 v3, v[4:5]
	s_mov_b32 s4, exec_lo
                                        ; implicit-def: $vgpr6
	v_and_b32_e32 v7, 0x7fffffff, v3
	v_cmpx_gt_u32_e32 0x43f00000, v7
	s_xor_b32 s4, exec_lo, s4
	s_cbranch_execz .LBB8_1828
; %bb.1823:
	s_mov_b32 s6, exec_lo
                                        ; implicit-def: $vgpr6
	v_cmpx_lt_u32_e32 0x3c7fffff, v7
	s_xor_b32 s6, exec_lo, s6
; %bb.1824:
	v_bfe_u32 v6, v3, 20, 1
	v_add3_u32 v6, v3, v6, 0x407ffff
	v_and_b32_e32 v7, 0xff00000, v6
	v_lshrrev_b32_e32 v6, 20, v6
	v_cmp_ne_u32_e32 vcc_lo, 0x7f00000, v7
	v_cndmask_b32_e32 v6, 0x7e, v6, vcc_lo
; %bb.1825:
	s_andn2_saveexec_b32 s6, s6
; %bb.1826:
	v_add_f32_e64 v6, 0x46800000, |v3|
; %bb.1827:
	s_or_b32 exec_lo, exec_lo, s6
                                        ; implicit-def: $vgpr7
.LBB8_1828:
	s_andn2_saveexec_b32 s4, s4
; %bb.1829:
	v_mov_b32_e32 v6, 0x7f
	v_cmp_lt_u32_e32 vcc_lo, 0x7f800000, v7
	v_cndmask_b32_e32 v6, 0x7e, v6, vcc_lo
; %bb.1830:
	s_or_b32 exec_lo, exec_lo, s4
	v_lshrrev_b32_e32 v3, 24, v3
	v_and_or_b32 v3, 0x80, v3, v6
	global_store_byte v[0:1], v3, off
.LBB8_1831:
	s_mov_b32 s4, 0
.LBB8_1832:
	s_andn2_b32 vcc_lo, exec_lo, s4
	s_cbranch_vccnz .LBB8_1842
; %bb.1833:
	v_cvt_f32_f64_e32 v3, v[4:5]
	s_mov_b32 s4, exec_lo
                                        ; implicit-def: $vgpr6
	v_and_b32_e32 v7, 0x7fffffff, v3
	v_cmpx_gt_u32_e32 0x47800000, v7
	s_xor_b32 s4, exec_lo, s4
	s_cbranch_execz .LBB8_1839
; %bb.1834:
	s_mov_b32 s6, exec_lo
                                        ; implicit-def: $vgpr6
	v_cmpx_lt_u32_e32 0x387fffff, v7
	s_xor_b32 s6, exec_lo, s6
; %bb.1835:
	v_bfe_u32 v6, v3, 21, 1
	v_add3_u32 v6, v3, v6, 0x80fffff
	v_lshrrev_b32_e32 v6, 21, v6
; %bb.1836:
	s_andn2_saveexec_b32 s6, s6
; %bb.1837:
	v_add_f32_e64 v6, 0x43000000, |v3|
; %bb.1838:
	s_or_b32 exec_lo, exec_lo, s6
                                        ; implicit-def: $vgpr7
.LBB8_1839:
	s_andn2_saveexec_b32 s4, s4
; %bb.1840:
	v_mov_b32_e32 v6, 0x7f
	v_cmp_lt_u32_e32 vcc_lo, 0x7f800000, v7
	v_cndmask_b32_e32 v6, 0x7c, v6, vcc_lo
; %bb.1841:
	s_or_b32 exec_lo, exec_lo, s4
	v_lshrrev_b32_e32 v3, 24, v3
	v_and_or_b32 v3, 0x80, v3, v6
	global_store_byte v[0:1], v3, off
.LBB8_1842:
	s_mov_b32 s4, 0
	s_mov_b32 s6, -1
.LBB8_1843:
	s_andn2_b32 vcc_lo, exec_lo, s4
	s_mov_b32 s4, 0
	s_cbranch_vccnz .LBB8_1850
; %bb.1844:
	s_cmp_gt_i32 s3, 14
	s_mov_b32 s4, -1
	s_cbranch_scc0 .LBB8_1848
; %bb.1845:
	s_cmp_eq_u32 s3, 15
	s_mov_b32 s0, -1
	s_cbranch_scc0 .LBB8_1847
; %bb.1846:
	v_cvt_f32_f64_e32 v3, v[4:5]
	s_mov_b32 s0, 0
	s_mov_b32 s6, -1
	v_bfe_u32 v6, v3, 16, 1
	v_cmp_o_f32_e32 vcc_lo, v3, v3
	v_add3_u32 v3, v3, v6, 0x7fff
	v_mov_b32_e32 v6, 0x7fc0
	v_cndmask_b32_sdwa v3, v6, v3, vcc_lo dst_sel:DWORD dst_unused:UNUSED_PAD src0_sel:DWORD src1_sel:WORD_1
	global_store_short v[0:1], v3, off
.LBB8_1847:
	s_mov_b32 s4, 0
.LBB8_1848:
	s_and_b32 vcc_lo, exec_lo, s4
	s_mov_b32 s4, 0
	s_cbranch_vccz .LBB8_1850
; %bb.1849:
	s_cmp_lg_u32 s3, 11
	s_mov_b32 s4, -1
	s_cselect_b32 s0, -1, 0
.LBB8_1850:
	s_and_b32 vcc_lo, exec_lo, s0
	s_cbranch_vccnz .LBB8_2100
; %bb.1851:
	s_andn2_b32 vcc_lo, exec_lo, s4
	s_cbranch_vccnz .LBB8_1853
.LBB8_1852:
	v_cmp_neq_f64_e32 vcc_lo, 0, v[4:5]
	s_mov_b32 s6, -1
	v_cndmask_b32_e64 v3, 0, 1, vcc_lo
	global_store_byte v[0:1], v3, off
.LBB8_1853:
	s_mov_b32 s0, 0
	s_branch .LBB8_1855
.LBB8_1854:
	s_mov_b32 s0, -1
	s_mov_b32 s6, 0
.LBB8_1855:
	s_and_b32 vcc_lo, exec_lo, s0
	s_cbranch_vccz .LBB8_1894
; %bb.1856:
	s_and_b32 s0, 0xffff, s1
	s_mov_b32 s3, -1
	s_cmp_lt_i32 s0, 5
	s_cbranch_scc1 .LBB8_1877
; %bb.1857:
	s_cmp_lt_i32 s0, 8
	s_cbranch_scc1 .LBB8_1867
; %bb.1858:
	;; [unrolled: 3-line block ×3, first 2 shown]
	s_cmp_gt_i32 s0, 9
	s_cbranch_scc0 .LBB8_1861
; %bb.1860:
	v_mov_b32_e32 v6, 0
	s_mov_b32 s3, 0
	v_mov_b32_e32 v7, v6
	global_store_dwordx4 v[0:1], v[4:7], off
.LBB8_1861:
	s_andn2_b32 vcc_lo, exec_lo, s3
	s_cbranch_vccnz .LBB8_1863
; %bb.1862:
	v_cvt_f32_f64_e32 v6, v[4:5]
	v_mov_b32_e32 v7, 0
	global_store_dwordx2 v[0:1], v[6:7], off
.LBB8_1863:
	s_mov_b32 s3, 0
.LBB8_1864:
	s_andn2_b32 vcc_lo, exec_lo, s3
	s_cbranch_vccnz .LBB8_1866
; %bb.1865:
	v_and_or_b32 v3, 0x1ff, v5, v4
	v_lshrrev_b32_e32 v6, 8, v5
	v_bfe_u32 v7, v5, 20, 11
	v_cmp_ne_u32_e32 vcc_lo, 0, v3
	v_sub_nc_u32_e32 v10, 0x3f1, v7
	v_add_nc_u32_e32 v7, 0xfffffc10, v7
	v_cndmask_b32_e64 v3, 0, 1, vcc_lo
	v_and_or_b32 v3, 0xffe, v6, v3
	v_med3_i32 v6, v10, 0, 13
	v_or_b32_e32 v10, 0x1000, v3
	v_lshrrev_b32_e32 v11, v6, v10
	v_lshlrev_b32_e32 v6, v6, v11
	v_cmp_ne_u32_e32 vcc_lo, v6, v10
	v_lshl_or_b32 v10, v7, 12, v3
	v_cndmask_b32_e64 v6, 0, 1, vcc_lo
	v_cmp_gt_i32_e32 vcc_lo, 1, v7
	v_or_b32_e32 v6, v11, v6
	v_cndmask_b32_e32 v6, v10, v6, vcc_lo
	v_and_b32_e32 v10, 7, v6
	v_lshrrev_b32_e32 v6, 2, v6
	v_cmp_lt_i32_e32 vcc_lo, 5, v10
	v_cndmask_b32_e64 v11, 0, 1, vcc_lo
	v_cmp_eq_u32_e32 vcc_lo, 3, v10
	v_cndmask_b32_e64 v10, 0, 1, vcc_lo
	v_cmp_ne_u32_e32 vcc_lo, 0, v3
	v_or_b32_e32 v10, v10, v11
	v_mov_b32_e32 v11, 0x7e00
	v_add_nc_u32_e32 v6, v6, v10
	v_cndmask_b32_e32 v3, 0x7c00, v11, vcc_lo
	v_cmp_gt_i32_e32 vcc_lo, 31, v7
	v_cndmask_b32_e32 v6, 0x7c00, v6, vcc_lo
	v_cmp_eq_u32_e32 vcc_lo, 0x40f, v7
	v_cndmask_b32_e32 v3, v6, v3, vcc_lo
	v_lshrrev_b32_e32 v6, 16, v5
	v_and_or_b32 v3, 0x8000, v6, v3
	v_and_b32_e32 v3, 0xffff, v3
	global_store_dword v[0:1], v3, off
.LBB8_1866:
	s_mov_b32 s3, 0
.LBB8_1867:
	s_andn2_b32 vcc_lo, exec_lo, s3
	s_cbranch_vccnz .LBB8_1876
; %bb.1868:
	s_cmp_lt_i32 s0, 6
	s_mov_b32 s3, -1
	s_cbranch_scc1 .LBB8_1874
; %bb.1869:
	s_cmp_gt_i32 s0, 6
	s_cbranch_scc0 .LBB8_1871
; %bb.1870:
	s_mov_b32 s3, 0
	global_store_dwordx2 v[0:1], v[4:5], off
.LBB8_1871:
	s_andn2_b32 vcc_lo, exec_lo, s3
	s_cbranch_vccnz .LBB8_1873
; %bb.1872:
	v_cvt_f32_f64_e32 v3, v[4:5]
	global_store_dword v[0:1], v3, off
.LBB8_1873:
	s_mov_b32 s3, 0
.LBB8_1874:
	s_andn2_b32 vcc_lo, exec_lo, s3
	s_cbranch_vccnz .LBB8_1876
; %bb.1875:
	v_and_or_b32 v3, 0x1ff, v5, v4
	v_lshrrev_b32_e32 v6, 8, v5
	v_bfe_u32 v7, v5, 20, 11
	v_cmp_ne_u32_e32 vcc_lo, 0, v3
	v_sub_nc_u32_e32 v10, 0x3f1, v7
	v_add_nc_u32_e32 v7, 0xfffffc10, v7
	v_cndmask_b32_e64 v3, 0, 1, vcc_lo
	v_and_or_b32 v3, 0xffe, v6, v3
	v_med3_i32 v6, v10, 0, 13
	v_or_b32_e32 v10, 0x1000, v3
	v_lshrrev_b32_e32 v11, v6, v10
	v_lshlrev_b32_e32 v6, v6, v11
	v_cmp_ne_u32_e32 vcc_lo, v6, v10
	v_lshl_or_b32 v10, v7, 12, v3
	v_cndmask_b32_e64 v6, 0, 1, vcc_lo
	v_cmp_gt_i32_e32 vcc_lo, 1, v7
	v_or_b32_e32 v6, v11, v6
	v_cndmask_b32_e32 v6, v10, v6, vcc_lo
	v_and_b32_e32 v10, 7, v6
	v_lshrrev_b32_e32 v6, 2, v6
	v_cmp_lt_i32_e32 vcc_lo, 5, v10
	v_cndmask_b32_e64 v11, 0, 1, vcc_lo
	v_cmp_eq_u32_e32 vcc_lo, 3, v10
	v_cndmask_b32_e64 v10, 0, 1, vcc_lo
	v_cmp_ne_u32_e32 vcc_lo, 0, v3
	v_or_b32_e32 v10, v10, v11
	v_mov_b32_e32 v11, 0x7e00
	v_add_nc_u32_e32 v6, v6, v10
	v_cndmask_b32_e32 v3, 0x7c00, v11, vcc_lo
	v_cmp_gt_i32_e32 vcc_lo, 31, v7
	v_cndmask_b32_e32 v6, 0x7c00, v6, vcc_lo
	v_cmp_eq_u32_e32 vcc_lo, 0x40f, v7
	v_cndmask_b32_e32 v3, v6, v3, vcc_lo
	v_lshrrev_b32_e32 v6, 16, v5
	v_and_or_b32 v3, 0x8000, v6, v3
	global_store_short v[0:1], v3, off
.LBB8_1876:
	s_mov_b32 s3, 0
.LBB8_1877:
	s_andn2_b32 vcc_lo, exec_lo, s3
	s_cbranch_vccnz .LBB8_1893
; %bb.1878:
	s_cmp_lt_i32 s0, 2
	s_mov_b32 s3, -1
	s_cbranch_scc1 .LBB8_1888
; %bb.1879:
	s_cmp_lt_i32 s0, 3
	s_cbranch_scc1 .LBB8_1885
; %bb.1880:
	s_cmp_gt_i32 s0, 3
	s_cbranch_scc0 .LBB8_1882
; %bb.1881:
	v_trunc_f64_e32 v[6:7], v[4:5]
	s_mov_b32 s3, 0
	v_ldexp_f64 v[10:11], v[6:7], 0xffffffe0
	v_floor_f64_e32 v[10:11], v[10:11]
	v_fma_f64 v[6:7], 0xc1f00000, v[10:11], v[6:7]
	v_cvt_i32_f64_e32 v11, v[10:11]
	v_cvt_u32_f64_e32 v10, v[6:7]
	global_store_dwordx2 v[0:1], v[10:11], off
.LBB8_1882:
	s_andn2_b32 vcc_lo, exec_lo, s3
	s_cbranch_vccnz .LBB8_1884
; %bb.1883:
	v_cvt_i32_f64_e32 v3, v[4:5]
	global_store_dword v[0:1], v3, off
.LBB8_1884:
	s_mov_b32 s3, 0
.LBB8_1885:
	s_andn2_b32 vcc_lo, exec_lo, s3
	s_cbranch_vccnz .LBB8_1887
; %bb.1886:
	v_cvt_i32_f64_e32 v3, v[4:5]
	global_store_short v[0:1], v3, off
.LBB8_1887:
	s_mov_b32 s3, 0
.LBB8_1888:
	s_andn2_b32 vcc_lo, exec_lo, s3
	s_cbranch_vccnz .LBB8_1893
; %bb.1889:
	s_cmp_gt_i32 s0, 0
	s_mov_b32 s0, -1
	s_cbranch_scc0 .LBB8_1891
; %bb.1890:
	v_cvt_i32_f64_e32 v3, v[4:5]
	s_mov_b32 s0, 0
	global_store_byte v[0:1], v3, off
.LBB8_1891:
	s_andn2_b32 vcc_lo, exec_lo, s0
	s_cbranch_vccnz .LBB8_1893
; %bb.1892:
	v_trunc_f64_e32 v[3:4], v[4:5]
	v_ldexp_f64 v[5:6], v[3:4], 0xffffffe0
	v_floor_f64_e32 v[5:6], v[5:6]
	v_fma_f64 v[3:4], 0xc1f00000, v[5:6], v[3:4]
	v_cvt_u32_f64_e32 v3, v[3:4]
	global_store_byte v[0:1], v3, off
.LBB8_1893:
	s_mov_b32 s6, -1
.LBB8_1894:
	s_andn2_b32 vcc_lo, exec_lo, s6
	s_cbranch_vccnz .LBB8_2090
; %bb.1895:
	v_add_nc_u32_e32 v2, s2, v2
	s_cmp_lt_i32 s1, 11
	v_ashrrev_i32_e32 v1, 31, v2
	v_add_co_u32 v0, vcc_lo, s8, v2
	v_add_co_ci_u32_e64 v1, null, s9, v1, vcc_lo
	s_cbranch_scc1 .LBB8_1973
; %bb.1896:
	s_and_b32 s3, 0xffff, s1
	s_mov_b32 s10, -1
	s_mov_b32 s4, 0
	s_cmp_gt_i32 s3, 25
	s_mov_b32 s6, 0
	s_mov_b32 s0, 0
	s_cbranch_scc0 .LBB8_1929
; %bb.1897:
	s_cmp_gt_i32 s3, 28
	s_cbranch_scc0 .LBB8_1912
; %bb.1898:
	s_cmp_gt_i32 s3, 43
	;; [unrolled: 3-line block ×3, first 2 shown]
	s_cbranch_scc0 .LBB8_1902
; %bb.1900:
	s_mov_b32 s0, -1
	s_mov_b32 s10, 0
	s_cmp_eq_u32 s3, 46
	s_cbranch_scc0 .LBB8_1902
; %bb.1901:
	v_cvt_f32_f64_e32 v3, v[8:9]
	s_mov_b32 s0, 0
	s_mov_b32 s6, -1
	v_bfe_u32 v4, v3, 16, 1
	v_cmp_o_f32_e32 vcc_lo, v3, v3
	v_add3_u32 v3, v3, v4, 0x7fff
	v_mov_b32_e32 v4, 0x7fc0
	v_cndmask_b32_sdwa v3, v4, v3, vcc_lo dst_sel:DWORD dst_unused:UNUSED_PAD src0_sel:DWORD src1_sel:WORD_1
	global_store_dword v[0:1], v3, off
.LBB8_1902:
	s_and_b32 vcc_lo, exec_lo, s10
	s_cbranch_vccz .LBB8_1907
; %bb.1903:
	s_cmp_eq_u32 s3, 44
	s_mov_b32 s0, -1
	s_cbranch_scc0 .LBB8_1907
; %bb.1904:
	v_cvt_f32_f64_e32 v3, v[8:9]
	v_mov_b32_e32 v4, 0xff
	s_mov_b32 s6, exec_lo
	v_bfe_u32 v5, v3, 23, 8
	v_cmpx_ne_u32_e32 0xff, v5
	s_cbranch_execz .LBB8_1906
; %bb.1905:
	v_and_b32_e32 v4, 0x400000, v3
	v_and_or_b32 v5, 0x3fffff, v3, v5
	v_lshrrev_b32_e32 v3, 23, v3
	v_cmp_ne_u32_e32 vcc_lo, 0, v4
	v_cmp_ne_u32_e64 s0, 0, v5
	s_and_b32 s0, vcc_lo, s0
	v_cndmask_b32_e64 v4, 0, 1, s0
	v_add_nc_u32_e32 v4, v3, v4
.LBB8_1906:
	s_or_b32 exec_lo, exec_lo, s6
	s_mov_b32 s0, 0
	s_mov_b32 s6, -1
	global_store_byte v[0:1], v4, off
.LBB8_1907:
	s_mov_b32 s10, 0
.LBB8_1908:
	s_and_b32 vcc_lo, exec_lo, s10
	s_cbranch_vccz .LBB8_1911
; %bb.1909:
	s_cmp_eq_u32 s3, 29
	s_mov_b32 s0, -1
	s_cbranch_scc0 .LBB8_1911
; %bb.1910:
	v_trunc_f64_e32 v[3:4], v[8:9]
	s_mov_b32 s0, 0
	s_mov_b32 s6, -1
	v_ldexp_f64 v[5:6], v[3:4], 0xffffffe0
	v_floor_f64_e32 v[5:6], v[5:6]
	v_fma_f64 v[3:4], 0xc1f00000, v[5:6], v[3:4]
	v_cvt_u32_f64_e32 v5, v[5:6]
	v_cvt_u32_f64_e32 v4, v[3:4]
	global_store_dwordx2 v[0:1], v[4:5], off
.LBB8_1911:
	s_mov_b32 s10, 0
.LBB8_1912:
	s_and_b32 vcc_lo, exec_lo, s10
	s_cbranch_vccz .LBB8_1928
; %bb.1913:
	s_cmp_lt_i32 s3, 27
	s_mov_b32 s6, -1
	s_cbranch_scc1 .LBB8_1919
; %bb.1914:
	v_cvt_u32_f64_e32 v3, v[8:9]
	s_cmp_gt_i32 s3, 27
	s_cbranch_scc0 .LBB8_1916
; %bb.1915:
	s_mov_b32 s6, 0
	global_store_dword v[0:1], v3, off
.LBB8_1916:
	s_andn2_b32 vcc_lo, exec_lo, s6
	s_cbranch_vccnz .LBB8_1918
; %bb.1917:
	global_store_short v[0:1], v3, off
.LBB8_1918:
	s_mov_b32 s6, 0
.LBB8_1919:
	s_andn2_b32 vcc_lo, exec_lo, s6
	s_cbranch_vccnz .LBB8_1927
; %bb.1920:
	v_cvt_f32_f64_e32 v3, v[8:9]
	v_mov_b32_e32 v5, 0x80
	s_mov_b32 s6, exec_lo
	v_and_b32_e32 v4, 0x7fffffff, v3
	v_cmpx_gt_u32_e32 0x43800000, v4
	s_cbranch_execz .LBB8_1926
; %bb.1921:
	v_cmp_lt_u32_e32 vcc_lo, 0x3bffffff, v4
	s_mov_b32 s10, 0
                                        ; implicit-def: $vgpr4
	s_and_saveexec_b32 s11, vcc_lo
	s_xor_b32 s11, exec_lo, s11
	s_cbranch_execz .LBB8_2103
; %bb.1922:
	v_bfe_u32 v4, v3, 20, 1
	s_mov_b32 s10, exec_lo
	v_add3_u32 v4, v3, v4, 0x487ffff
	v_lshrrev_b32_e32 v4, 20, v4
	s_andn2_saveexec_b32 s11, s11
	s_cbranch_execnz .LBB8_2104
.LBB8_1923:
	s_or_b32 exec_lo, exec_lo, s11
	v_mov_b32_e32 v5, 0
	s_and_saveexec_b32 s11, s10
.LBB8_1924:
	v_lshrrev_b32_e32 v3, 24, v3
	v_and_or_b32 v5, 0x80, v3, v4
.LBB8_1925:
	s_or_b32 exec_lo, exec_lo, s11
.LBB8_1926:
	s_or_b32 exec_lo, exec_lo, s6
	global_store_byte v[0:1], v5, off
.LBB8_1927:
	s_mov_b32 s6, -1
.LBB8_1928:
	s_mov_b32 s10, 0
.LBB8_1929:
	s_and_b32 vcc_lo, exec_lo, s10
	s_cbranch_vccz .LBB8_1969
; %bb.1930:
	s_cmp_gt_i32 s3, 22
	s_mov_b32 s4, -1
	s_cbranch_scc0 .LBB8_1962
; %bb.1931:
	s_cmp_lt_i32 s3, 24
	s_cbranch_scc1 .LBB8_1951
; %bb.1932:
	s_cmp_gt_i32 s3, 24
	s_cbranch_scc0 .LBB8_1940
; %bb.1933:
	v_cvt_f32_f64_e32 v3, v[8:9]
	v_mov_b32_e32 v5, 0x80
	s_mov_b32 s4, exec_lo
	v_and_b32_e32 v4, 0x7fffffff, v3
	v_cmpx_gt_u32_e32 0x47800000, v4
	s_cbranch_execz .LBB8_1939
; %bb.1934:
	v_cmp_lt_u32_e32 vcc_lo, 0x37ffffff, v4
	s_mov_b32 s6, 0
                                        ; implicit-def: $vgpr4
	s_and_saveexec_b32 s10, vcc_lo
	s_xor_b32 s10, exec_lo, s10
	s_cbranch_execz .LBB8_2106
; %bb.1935:
	v_bfe_u32 v4, v3, 21, 1
	s_mov_b32 s6, exec_lo
	v_add3_u32 v4, v3, v4, 0x88fffff
	v_lshrrev_b32_e32 v4, 21, v4
	s_andn2_saveexec_b32 s10, s10
	s_cbranch_execnz .LBB8_2107
.LBB8_1936:
	s_or_b32 exec_lo, exec_lo, s10
	v_mov_b32_e32 v5, 0
	s_and_saveexec_b32 s10, s6
.LBB8_1937:
	v_lshrrev_b32_e32 v3, 24, v3
	v_and_or_b32 v5, 0x80, v3, v4
.LBB8_1938:
	s_or_b32 exec_lo, exec_lo, s10
.LBB8_1939:
	s_or_b32 exec_lo, exec_lo, s4
	s_mov_b32 s4, 0
	global_store_byte v[0:1], v5, off
.LBB8_1940:
	s_and_b32 vcc_lo, exec_lo, s4
	s_cbranch_vccz .LBB8_1950
; %bb.1941:
	v_cvt_f32_f64_e32 v3, v[8:9]
	s_mov_b32 s4, exec_lo
                                        ; implicit-def: $vgpr4
	v_and_b32_e32 v5, 0x7fffffff, v3
	v_cmpx_gt_u32_e32 0x43f00000, v5
	s_xor_b32 s4, exec_lo, s4
	s_cbranch_execz .LBB8_1947
; %bb.1942:
	s_mov_b32 s6, exec_lo
                                        ; implicit-def: $vgpr4
	v_cmpx_lt_u32_e32 0x3c7fffff, v5
	s_xor_b32 s6, exec_lo, s6
; %bb.1943:
	v_bfe_u32 v4, v3, 20, 1
	v_add3_u32 v4, v3, v4, 0x407ffff
	v_and_b32_e32 v5, 0xff00000, v4
	v_lshrrev_b32_e32 v4, 20, v4
	v_cmp_ne_u32_e32 vcc_lo, 0x7f00000, v5
	v_cndmask_b32_e32 v4, 0x7e, v4, vcc_lo
; %bb.1944:
	s_andn2_saveexec_b32 s6, s6
; %bb.1945:
	v_add_f32_e64 v4, 0x46800000, |v3|
; %bb.1946:
	s_or_b32 exec_lo, exec_lo, s6
                                        ; implicit-def: $vgpr5
.LBB8_1947:
	s_andn2_saveexec_b32 s4, s4
; %bb.1948:
	v_mov_b32_e32 v4, 0x7f
	v_cmp_lt_u32_e32 vcc_lo, 0x7f800000, v5
	v_cndmask_b32_e32 v4, 0x7e, v4, vcc_lo
; %bb.1949:
	s_or_b32 exec_lo, exec_lo, s4
	v_lshrrev_b32_e32 v3, 24, v3
	v_and_or_b32 v3, 0x80, v3, v4
	global_store_byte v[0:1], v3, off
.LBB8_1950:
	s_mov_b32 s4, 0
.LBB8_1951:
	s_andn2_b32 vcc_lo, exec_lo, s4
	s_cbranch_vccnz .LBB8_1961
; %bb.1952:
	v_cvt_f32_f64_e32 v3, v[8:9]
	s_mov_b32 s4, exec_lo
                                        ; implicit-def: $vgpr4
	v_and_b32_e32 v5, 0x7fffffff, v3
	v_cmpx_gt_u32_e32 0x47800000, v5
	s_xor_b32 s4, exec_lo, s4
	s_cbranch_execz .LBB8_1958
; %bb.1953:
	s_mov_b32 s6, exec_lo
                                        ; implicit-def: $vgpr4
	v_cmpx_lt_u32_e32 0x387fffff, v5
	s_xor_b32 s6, exec_lo, s6
; %bb.1954:
	v_bfe_u32 v4, v3, 21, 1
	v_add3_u32 v4, v3, v4, 0x80fffff
	v_lshrrev_b32_e32 v4, 21, v4
; %bb.1955:
	s_andn2_saveexec_b32 s6, s6
; %bb.1956:
	v_add_f32_e64 v4, 0x43000000, |v3|
; %bb.1957:
	s_or_b32 exec_lo, exec_lo, s6
                                        ; implicit-def: $vgpr5
.LBB8_1958:
	s_andn2_saveexec_b32 s4, s4
; %bb.1959:
	v_mov_b32_e32 v4, 0x7f
	v_cmp_lt_u32_e32 vcc_lo, 0x7f800000, v5
	v_cndmask_b32_e32 v4, 0x7c, v4, vcc_lo
; %bb.1960:
	s_or_b32 exec_lo, exec_lo, s4
	v_lshrrev_b32_e32 v3, 24, v3
	v_and_or_b32 v3, 0x80, v3, v4
	global_store_byte v[0:1], v3, off
.LBB8_1961:
	s_mov_b32 s4, 0
	s_mov_b32 s6, -1
.LBB8_1962:
	s_andn2_b32 vcc_lo, exec_lo, s4
	s_mov_b32 s4, 0
	s_cbranch_vccnz .LBB8_1969
; %bb.1963:
	s_cmp_gt_i32 s3, 14
	s_mov_b32 s4, -1
	s_cbranch_scc0 .LBB8_1967
; %bb.1964:
	s_cmp_eq_u32 s3, 15
	s_mov_b32 s0, -1
	s_cbranch_scc0 .LBB8_1966
; %bb.1965:
	v_cvt_f32_f64_e32 v3, v[8:9]
	s_mov_b32 s0, 0
	s_mov_b32 s6, -1
	v_bfe_u32 v4, v3, 16, 1
	v_cmp_o_f32_e32 vcc_lo, v3, v3
	v_add3_u32 v3, v3, v4, 0x7fff
	v_mov_b32_e32 v4, 0x7fc0
	v_cndmask_b32_sdwa v3, v4, v3, vcc_lo dst_sel:DWORD dst_unused:UNUSED_PAD src0_sel:DWORD src1_sel:WORD_1
	global_store_short v[0:1], v3, off
.LBB8_1966:
	s_mov_b32 s4, 0
.LBB8_1967:
	s_and_b32 vcc_lo, exec_lo, s4
	s_mov_b32 s4, 0
	s_cbranch_vccz .LBB8_1969
; %bb.1968:
	s_cmp_lg_u32 s3, 11
	s_mov_b32 s4, -1
	s_cselect_b32 s0, -1, 0
.LBB8_1969:
	s_and_b32 vcc_lo, exec_lo, s0
	s_cbranch_vccnz .LBB8_2105
; %bb.1970:
	s_andn2_b32 vcc_lo, exec_lo, s4
	s_cbranch_vccnz .LBB8_1972
.LBB8_1971:
	v_cmp_neq_f64_e32 vcc_lo, 0, v[8:9]
	s_mov_b32 s6, -1
	v_cndmask_b32_e64 v3, 0, 1, vcc_lo
	global_store_byte v[0:1], v3, off
.LBB8_1972:
	s_mov_b32 s0, 0
	s_branch .LBB8_1974
.LBB8_1973:
	s_mov_b32 s0, -1
	s_mov_b32 s6, 0
.LBB8_1974:
	s_and_b32 vcc_lo, exec_lo, s0
	s_cbranch_vccz .LBB8_2013
; %bb.1975:
	s_and_b32 s0, 0xffff, s1
	s_mov_b32 s3, -1
	s_cmp_lt_i32 s0, 5
	s_cbranch_scc1 .LBB8_1996
; %bb.1976:
	s_cmp_lt_i32 s0, 8
	s_cbranch_scc1 .LBB8_1986
; %bb.1977:
	;; [unrolled: 3-line block ×3, first 2 shown]
	s_cmp_gt_i32 s0, 9
	s_cbranch_scc0 .LBB8_1980
; %bb.1979:
	v_mov_b32_e32 v10, 0
	s_mov_b32 s3, 0
	v_mov_b32_e32 v11, v10
	global_store_dwordx4 v[0:1], v[8:11], off
.LBB8_1980:
	s_andn2_b32 vcc_lo, exec_lo, s3
	s_cbranch_vccnz .LBB8_1982
; %bb.1981:
	v_cvt_f32_f64_e32 v3, v[8:9]
	v_mov_b32_e32 v4, 0
	global_store_dwordx2 v[0:1], v[3:4], off
.LBB8_1982:
	s_mov_b32 s3, 0
.LBB8_1983:
	s_andn2_b32 vcc_lo, exec_lo, s3
	s_cbranch_vccnz .LBB8_1985
; %bb.1984:
	v_and_or_b32 v3, 0x1ff, v9, v8
	v_lshrrev_b32_e32 v4, 8, v9
	v_bfe_u32 v5, v9, 20, 11
	v_cmp_ne_u32_e32 vcc_lo, 0, v3
	v_sub_nc_u32_e32 v6, 0x3f1, v5
	v_add_nc_u32_e32 v5, 0xfffffc10, v5
	v_cndmask_b32_e64 v3, 0, 1, vcc_lo
	v_and_or_b32 v3, 0xffe, v4, v3
	v_med3_i32 v4, v6, 0, 13
	v_or_b32_e32 v6, 0x1000, v3
	v_lshrrev_b32_e32 v7, v4, v6
	v_lshlrev_b32_e32 v4, v4, v7
	v_cmp_ne_u32_e32 vcc_lo, v4, v6
	v_lshl_or_b32 v6, v5, 12, v3
	v_cndmask_b32_e64 v4, 0, 1, vcc_lo
	v_cmp_gt_i32_e32 vcc_lo, 1, v5
	v_or_b32_e32 v4, v7, v4
	v_cndmask_b32_e32 v4, v6, v4, vcc_lo
	v_and_b32_e32 v6, 7, v4
	v_lshrrev_b32_e32 v4, 2, v4
	v_cmp_lt_i32_e32 vcc_lo, 5, v6
	v_cndmask_b32_e64 v7, 0, 1, vcc_lo
	v_cmp_eq_u32_e32 vcc_lo, 3, v6
	v_cndmask_b32_e64 v6, 0, 1, vcc_lo
	v_cmp_ne_u32_e32 vcc_lo, 0, v3
	v_or_b32_e32 v6, v6, v7
	v_mov_b32_e32 v7, 0x7e00
	v_add_nc_u32_e32 v4, v4, v6
	v_cndmask_b32_e32 v3, 0x7c00, v7, vcc_lo
	v_cmp_gt_i32_e32 vcc_lo, 31, v5
	v_cndmask_b32_e32 v4, 0x7c00, v4, vcc_lo
	v_cmp_eq_u32_e32 vcc_lo, 0x40f, v5
	v_cndmask_b32_e32 v3, v4, v3, vcc_lo
	v_lshrrev_b32_e32 v4, 16, v9
	v_and_or_b32 v3, 0x8000, v4, v3
	v_and_b32_e32 v3, 0xffff, v3
	global_store_dword v[0:1], v3, off
.LBB8_1985:
	s_mov_b32 s3, 0
.LBB8_1986:
	s_andn2_b32 vcc_lo, exec_lo, s3
	s_cbranch_vccnz .LBB8_1995
; %bb.1987:
	s_cmp_lt_i32 s0, 6
	s_mov_b32 s3, -1
	s_cbranch_scc1 .LBB8_1993
; %bb.1988:
	s_cmp_gt_i32 s0, 6
	s_cbranch_scc0 .LBB8_1990
; %bb.1989:
	s_mov_b32 s3, 0
	global_store_dwordx2 v[0:1], v[8:9], off
.LBB8_1990:
	s_andn2_b32 vcc_lo, exec_lo, s3
	s_cbranch_vccnz .LBB8_1992
; %bb.1991:
	v_cvt_f32_f64_e32 v3, v[8:9]
	global_store_dword v[0:1], v3, off
.LBB8_1992:
	s_mov_b32 s3, 0
.LBB8_1993:
	s_andn2_b32 vcc_lo, exec_lo, s3
	s_cbranch_vccnz .LBB8_1995
; %bb.1994:
	v_and_or_b32 v3, 0x1ff, v9, v8
	v_lshrrev_b32_e32 v4, 8, v9
	v_bfe_u32 v5, v9, 20, 11
	v_cmp_ne_u32_e32 vcc_lo, 0, v3
	v_sub_nc_u32_e32 v6, 0x3f1, v5
	v_add_nc_u32_e32 v5, 0xfffffc10, v5
	v_cndmask_b32_e64 v3, 0, 1, vcc_lo
	v_and_or_b32 v3, 0xffe, v4, v3
	v_med3_i32 v4, v6, 0, 13
	v_or_b32_e32 v6, 0x1000, v3
	v_lshrrev_b32_e32 v7, v4, v6
	v_lshlrev_b32_e32 v4, v4, v7
	v_cmp_ne_u32_e32 vcc_lo, v4, v6
	v_lshl_or_b32 v6, v5, 12, v3
	v_cndmask_b32_e64 v4, 0, 1, vcc_lo
	v_cmp_gt_i32_e32 vcc_lo, 1, v5
	v_or_b32_e32 v4, v7, v4
	v_cndmask_b32_e32 v4, v6, v4, vcc_lo
	v_and_b32_e32 v6, 7, v4
	v_lshrrev_b32_e32 v4, 2, v4
	v_cmp_lt_i32_e32 vcc_lo, 5, v6
	v_cndmask_b32_e64 v7, 0, 1, vcc_lo
	v_cmp_eq_u32_e32 vcc_lo, 3, v6
	v_cndmask_b32_e64 v6, 0, 1, vcc_lo
	v_cmp_ne_u32_e32 vcc_lo, 0, v3
	v_or_b32_e32 v6, v6, v7
	v_mov_b32_e32 v7, 0x7e00
	v_add_nc_u32_e32 v4, v4, v6
	v_cndmask_b32_e32 v3, 0x7c00, v7, vcc_lo
	v_cmp_gt_i32_e32 vcc_lo, 31, v5
	v_cndmask_b32_e32 v4, 0x7c00, v4, vcc_lo
	v_cmp_eq_u32_e32 vcc_lo, 0x40f, v5
	v_cndmask_b32_e32 v3, v4, v3, vcc_lo
	v_lshrrev_b32_e32 v4, 16, v9
	v_and_or_b32 v3, 0x8000, v4, v3
	global_store_short v[0:1], v3, off
.LBB8_1995:
	s_mov_b32 s3, 0
.LBB8_1996:
	s_andn2_b32 vcc_lo, exec_lo, s3
	s_cbranch_vccnz .LBB8_2012
; %bb.1997:
	s_cmp_lt_i32 s0, 2
	s_mov_b32 s3, -1
	s_cbranch_scc1 .LBB8_2007
; %bb.1998:
	s_cmp_lt_i32 s0, 3
	s_cbranch_scc1 .LBB8_2004
; %bb.1999:
	s_cmp_gt_i32 s0, 3
	s_cbranch_scc0 .LBB8_2001
; %bb.2000:
	v_trunc_f64_e32 v[3:4], v[8:9]
	s_mov_b32 s3, 0
	v_ldexp_f64 v[5:6], v[3:4], 0xffffffe0
	v_floor_f64_e32 v[5:6], v[5:6]
	v_fma_f64 v[3:4], 0xc1f00000, v[5:6], v[3:4]
	v_cvt_i32_f64_e32 v5, v[5:6]
	v_cvt_u32_f64_e32 v4, v[3:4]
	global_store_dwordx2 v[0:1], v[4:5], off
.LBB8_2001:
	s_andn2_b32 vcc_lo, exec_lo, s3
	s_cbranch_vccnz .LBB8_2003
; %bb.2002:
	v_cvt_i32_f64_e32 v3, v[8:9]
	global_store_dword v[0:1], v3, off
.LBB8_2003:
	s_mov_b32 s3, 0
.LBB8_2004:
	s_andn2_b32 vcc_lo, exec_lo, s3
	s_cbranch_vccnz .LBB8_2006
; %bb.2005:
	v_cvt_i32_f64_e32 v3, v[8:9]
	global_store_short v[0:1], v3, off
.LBB8_2006:
	s_mov_b32 s3, 0
.LBB8_2007:
	s_andn2_b32 vcc_lo, exec_lo, s3
	s_cbranch_vccnz .LBB8_2012
; %bb.2008:
	s_cmp_gt_i32 s0, 0
	s_mov_b32 s0, -1
	s_cbranch_scc0 .LBB8_2010
; %bb.2009:
	v_cvt_i32_f64_e32 v3, v[8:9]
	s_mov_b32 s0, 0
	global_store_byte v[0:1], v3, off
.LBB8_2010:
	s_andn2_b32 vcc_lo, exec_lo, s0
	s_cbranch_vccnz .LBB8_2012
; %bb.2011:
	v_trunc_f64_e32 v[3:4], v[8:9]
	v_ldexp_f64 v[5:6], v[3:4], 0xffffffe0
	v_floor_f64_e32 v[5:6], v[5:6]
	v_fma_f64 v[3:4], 0xc1f00000, v[5:6], v[3:4]
	v_cvt_u32_f64_e32 v3, v[3:4]
	global_store_byte v[0:1], v3, off
.LBB8_2012:
	s_mov_b32 s6, -1
.LBB8_2013:
	s_andn2_b32 vcc_lo, exec_lo, s6
	s_cbranch_vccnz .LBB8_2090
; %bb.2014:
	v_add_nc_u32_e32 v0, s2, v2
	s_cmp_lt_i32 s1, 11
	v_ashrrev_i32_e32 v1, 31, v0
	v_add_co_u32 v0, vcc_lo, s8, v0
	v_add_co_ci_u32_e64 v1, null, s9, v1, vcc_lo
	s_cbranch_scc1 .LBB8_2091
; %bb.2015:
	s_and_b32 s2, 0xffff, s1
	s_mov_b32 s4, -1
	s_mov_b32 s3, 0
	s_cmp_gt_i32 s2, 25
	s_mov_b32 s0, 0
	s_cbranch_scc0 .LBB8_2048
; %bb.2016:
	s_cmp_gt_i32 s2, 28
	s_cbranch_scc0 .LBB8_2032
; %bb.2017:
	s_cmp_gt_i32 s2, 43
	;; [unrolled: 3-line block ×3, first 2 shown]
	s_cbranch_scc0 .LBB8_2022
; %bb.2019:
	s_cmp_eq_u32 s2, 46
	s_mov_b32 s0, -1
	s_cbranch_scc0 .LBB8_2021
; %bb.2020:
	v_cvt_f32_f64_e32 v2, v[12:13]
	s_mov_b32 s0, 0
	v_bfe_u32 v3, v2, 16, 1
	v_cmp_o_f32_e32 vcc_lo, v2, v2
	v_add3_u32 v2, v2, v3, 0x7fff
	v_mov_b32_e32 v3, 0x7fc0
	v_cndmask_b32_sdwa v2, v3, v2, vcc_lo dst_sel:DWORD dst_unused:UNUSED_PAD src0_sel:DWORD src1_sel:WORD_1
	global_store_dword v[0:1], v2, off
.LBB8_2021:
	s_mov_b32 s4, 0
.LBB8_2022:
	s_and_b32 vcc_lo, exec_lo, s4
	s_cbranch_vccz .LBB8_2027
; %bb.2023:
	s_cmp_eq_u32 s2, 44
	s_mov_b32 s0, -1
	s_cbranch_scc0 .LBB8_2027
; %bb.2024:
	v_cvt_f32_f64_e32 v2, v[12:13]
	v_mov_b32_e32 v3, 0xff
	s_mov_b32 s4, exec_lo
	v_bfe_u32 v4, v2, 23, 8
	v_cmpx_ne_u32_e32 0xff, v4
	s_cbranch_execz .LBB8_2026
; %bb.2025:
	v_and_b32_e32 v3, 0x400000, v2
	v_and_or_b32 v4, 0x3fffff, v2, v4
	v_lshrrev_b32_e32 v2, 23, v2
	v_cmp_ne_u32_e32 vcc_lo, 0, v3
	v_cmp_ne_u32_e64 s0, 0, v4
	s_and_b32 s0, vcc_lo, s0
	v_cndmask_b32_e64 v3, 0, 1, s0
	v_add_nc_u32_e32 v3, v2, v3
.LBB8_2026:
	s_or_b32 exec_lo, exec_lo, s4
	s_mov_b32 s0, 0
	global_store_byte v[0:1], v3, off
.LBB8_2027:
	s_mov_b32 s4, 0
.LBB8_2028:
	s_and_b32 vcc_lo, exec_lo, s4
	s_cbranch_vccz .LBB8_2031
; %bb.2029:
	s_cmp_eq_u32 s2, 29
	s_mov_b32 s0, -1
	s_cbranch_scc0 .LBB8_2031
; %bb.2030:
	v_trunc_f64_e32 v[2:3], v[12:13]
	s_mov_b32 s0, 0
	v_ldexp_f64 v[4:5], v[2:3], 0xffffffe0
	v_floor_f64_e32 v[4:5], v[4:5]
	v_fma_f64 v[2:3], 0xc1f00000, v[4:5], v[2:3]
	v_cvt_u32_f64_e32 v4, v[4:5]
	v_cvt_u32_f64_e32 v3, v[2:3]
	global_store_dwordx2 v[0:1], v[3:4], off
.LBB8_2031:
	s_mov_b32 s4, 0
.LBB8_2032:
	s_and_b32 vcc_lo, exec_lo, s4
	s_cbranch_vccz .LBB8_2047
; %bb.2033:
	s_cmp_lt_i32 s2, 27
	s_mov_b32 s4, -1
	s_cbranch_scc1 .LBB8_2039
; %bb.2034:
	v_cvt_u32_f64_e32 v2, v[12:13]
	s_cmp_gt_i32 s2, 27
	s_cbranch_scc0 .LBB8_2036
; %bb.2035:
	s_mov_b32 s4, 0
	global_store_dword v[0:1], v2, off
.LBB8_2036:
	s_andn2_b32 vcc_lo, exec_lo, s4
	s_cbranch_vccnz .LBB8_2038
; %bb.2037:
	global_store_short v[0:1], v2, off
.LBB8_2038:
	s_mov_b32 s4, 0
.LBB8_2039:
	s_andn2_b32 vcc_lo, exec_lo, s4
	s_cbranch_vccnz .LBB8_2047
; %bb.2040:
	v_cvt_f32_f64_e32 v2, v[12:13]
	v_mov_b32_e32 v4, 0x80
	s_mov_b32 s4, exec_lo
	v_and_b32_e32 v3, 0x7fffffff, v2
	v_cmpx_gt_u32_e32 0x43800000, v3
	s_cbranch_execz .LBB8_2046
; %bb.2041:
	v_cmp_lt_u32_e32 vcc_lo, 0x3bffffff, v3
	s_mov_b32 s6, 0
                                        ; implicit-def: $vgpr3
	s_and_saveexec_b32 s8, vcc_lo
	s_xor_b32 s8, exec_lo, s8
	s_cbranch_execz .LBB8_2108
; %bb.2042:
	v_bfe_u32 v3, v2, 20, 1
	s_mov_b32 s6, exec_lo
	v_add3_u32 v3, v2, v3, 0x487ffff
	v_lshrrev_b32_e32 v3, 20, v3
	s_andn2_saveexec_b32 s8, s8
	s_cbranch_execnz .LBB8_2109
.LBB8_2043:
	s_or_b32 exec_lo, exec_lo, s8
	v_mov_b32_e32 v4, 0
	s_and_saveexec_b32 s8, s6
.LBB8_2044:
	v_lshrrev_b32_e32 v2, 24, v2
	v_and_or_b32 v4, 0x80, v2, v3
.LBB8_2045:
	s_or_b32 exec_lo, exec_lo, s8
.LBB8_2046:
	s_or_b32 exec_lo, exec_lo, s4
	global_store_byte v[0:1], v4, off
.LBB8_2047:
	s_mov_b32 s4, 0
.LBB8_2048:
	s_and_b32 vcc_lo, exec_lo, s4
	s_cbranch_vccz .LBB8_2088
; %bb.2049:
	s_cmp_gt_i32 s2, 22
	s_mov_b32 s3, -1
	s_cbranch_scc0 .LBB8_2081
; %bb.2050:
	s_cmp_lt_i32 s2, 24
	s_cbranch_scc1 .LBB8_2070
; %bb.2051:
	s_cmp_gt_i32 s2, 24
	s_cbranch_scc0 .LBB8_2059
; %bb.2052:
	v_cvt_f32_f64_e32 v2, v[12:13]
	v_mov_b32_e32 v4, 0x80
	s_mov_b32 s3, exec_lo
	v_and_b32_e32 v3, 0x7fffffff, v2
	v_cmpx_gt_u32_e32 0x47800000, v3
	s_cbranch_execz .LBB8_2058
; %bb.2053:
	v_cmp_lt_u32_e32 vcc_lo, 0x37ffffff, v3
	s_mov_b32 s4, 0
                                        ; implicit-def: $vgpr3
	s_and_saveexec_b32 s6, vcc_lo
	s_xor_b32 s6, exec_lo, s6
	s_cbranch_execz .LBB8_2111
; %bb.2054:
	v_bfe_u32 v3, v2, 21, 1
	s_mov_b32 s4, exec_lo
	v_add3_u32 v3, v2, v3, 0x88fffff
	v_lshrrev_b32_e32 v3, 21, v3
	s_andn2_saveexec_b32 s6, s6
	s_cbranch_execnz .LBB8_2112
.LBB8_2055:
	s_or_b32 exec_lo, exec_lo, s6
	v_mov_b32_e32 v4, 0
	s_and_saveexec_b32 s6, s4
.LBB8_2056:
	v_lshrrev_b32_e32 v2, 24, v2
	v_and_or_b32 v4, 0x80, v2, v3
.LBB8_2057:
	s_or_b32 exec_lo, exec_lo, s6
.LBB8_2058:
	s_or_b32 exec_lo, exec_lo, s3
	s_mov_b32 s3, 0
	global_store_byte v[0:1], v4, off
.LBB8_2059:
	s_and_b32 vcc_lo, exec_lo, s3
	s_cbranch_vccz .LBB8_2069
; %bb.2060:
	v_cvt_f32_f64_e32 v2, v[12:13]
	s_mov_b32 s3, exec_lo
                                        ; implicit-def: $vgpr3
	v_and_b32_e32 v4, 0x7fffffff, v2
	v_cmpx_gt_u32_e32 0x43f00000, v4
	s_xor_b32 s3, exec_lo, s3
	s_cbranch_execz .LBB8_2066
; %bb.2061:
	s_mov_b32 s4, exec_lo
                                        ; implicit-def: $vgpr3
	v_cmpx_lt_u32_e32 0x3c7fffff, v4
	s_xor_b32 s4, exec_lo, s4
; %bb.2062:
	v_bfe_u32 v3, v2, 20, 1
	v_add3_u32 v3, v2, v3, 0x407ffff
	v_and_b32_e32 v4, 0xff00000, v3
	v_lshrrev_b32_e32 v3, 20, v3
	v_cmp_ne_u32_e32 vcc_lo, 0x7f00000, v4
	v_cndmask_b32_e32 v3, 0x7e, v3, vcc_lo
; %bb.2063:
	s_andn2_saveexec_b32 s4, s4
; %bb.2064:
	v_add_f32_e64 v3, 0x46800000, |v2|
; %bb.2065:
	s_or_b32 exec_lo, exec_lo, s4
                                        ; implicit-def: $vgpr4
.LBB8_2066:
	s_andn2_saveexec_b32 s3, s3
; %bb.2067:
	v_mov_b32_e32 v3, 0x7f
	v_cmp_lt_u32_e32 vcc_lo, 0x7f800000, v4
	v_cndmask_b32_e32 v3, 0x7e, v3, vcc_lo
; %bb.2068:
	s_or_b32 exec_lo, exec_lo, s3
	v_lshrrev_b32_e32 v2, 24, v2
	v_and_or_b32 v2, 0x80, v2, v3
	global_store_byte v[0:1], v2, off
.LBB8_2069:
	s_mov_b32 s3, 0
.LBB8_2070:
	s_andn2_b32 vcc_lo, exec_lo, s3
	s_cbranch_vccnz .LBB8_2080
; %bb.2071:
	v_cvt_f32_f64_e32 v2, v[12:13]
	s_mov_b32 s3, exec_lo
                                        ; implicit-def: $vgpr3
	v_and_b32_e32 v4, 0x7fffffff, v2
	v_cmpx_gt_u32_e32 0x47800000, v4
	s_xor_b32 s3, exec_lo, s3
	s_cbranch_execz .LBB8_2077
; %bb.2072:
	s_mov_b32 s4, exec_lo
                                        ; implicit-def: $vgpr3
	v_cmpx_lt_u32_e32 0x387fffff, v4
	s_xor_b32 s4, exec_lo, s4
; %bb.2073:
	v_bfe_u32 v3, v2, 21, 1
	v_add3_u32 v3, v2, v3, 0x80fffff
	v_lshrrev_b32_e32 v3, 21, v3
; %bb.2074:
	s_andn2_saveexec_b32 s4, s4
; %bb.2075:
	v_add_f32_e64 v3, 0x43000000, |v2|
; %bb.2076:
	s_or_b32 exec_lo, exec_lo, s4
                                        ; implicit-def: $vgpr4
.LBB8_2077:
	s_andn2_saveexec_b32 s3, s3
; %bb.2078:
	v_mov_b32_e32 v3, 0x7f
	v_cmp_lt_u32_e32 vcc_lo, 0x7f800000, v4
	v_cndmask_b32_e32 v3, 0x7c, v3, vcc_lo
; %bb.2079:
	s_or_b32 exec_lo, exec_lo, s3
	v_lshrrev_b32_e32 v2, 24, v2
	v_and_or_b32 v2, 0x80, v2, v3
	global_store_byte v[0:1], v2, off
.LBB8_2080:
	s_mov_b32 s3, 0
.LBB8_2081:
	s_andn2_b32 vcc_lo, exec_lo, s3
	s_mov_b32 s3, 0
	s_cbranch_vccnz .LBB8_2088
; %bb.2082:
	s_cmp_gt_i32 s2, 14
	s_mov_b32 s3, -1
	s_cbranch_scc0 .LBB8_2086
; %bb.2083:
	s_cmp_eq_u32 s2, 15
	s_mov_b32 s0, -1
	s_cbranch_scc0 .LBB8_2085
; %bb.2084:
	v_cvt_f32_f64_e32 v2, v[12:13]
	s_mov_b32 s0, 0
	v_bfe_u32 v3, v2, 16, 1
	v_cmp_o_f32_e32 vcc_lo, v2, v2
	v_add3_u32 v2, v2, v3, 0x7fff
	v_mov_b32_e32 v3, 0x7fc0
	v_cndmask_b32_sdwa v2, v3, v2, vcc_lo dst_sel:DWORD dst_unused:UNUSED_PAD src0_sel:DWORD src1_sel:WORD_1
	global_store_short v[0:1], v2, off
.LBB8_2085:
	s_mov_b32 s3, 0
.LBB8_2086:
	s_and_b32 vcc_lo, exec_lo, s3
	s_mov_b32 s3, 0
	s_cbranch_vccz .LBB8_2088
; %bb.2087:
	s_cmp_lg_u32 s2, 11
	s_mov_b32 s3, -1
	s_cselect_b32 s0, -1, 0
.LBB8_2088:
	s_and_b32 vcc_lo, exec_lo, s0
	s_cbranch_vccnz .LBB8_2110
.LBB8_2089:
	s_mov_b32 s0, 0
	s_branch .LBB8_1691
.LBB8_2090:
	s_mov_b32 s0, 0
	s_mov_b32 s3, 0
                                        ; implicit-def: $sgpr1
                                        ; implicit-def: $vgpr0_vgpr1
	s_branch .LBB8_1691
.LBB8_2091:
	s_mov_b32 s3, 0
	s_mov_b32 s0, -1
	s_branch .LBB8_1691
.LBB8_2092:
	s_or_b32 s5, s5, exec_lo
	s_trap 2
	s_cbranch_execz .LBB8_1552
	s_branch .LBB8_1553
.LBB8_2093:
	s_andn2_saveexec_b32 s11, s11
	s_cbranch_execz .LBB8_1640
.LBB8_2094:
	v_add_f32_e64 v3, 0x46000000, |v2|
	s_andn2_b32 s10, s10, exec_lo
	v_and_b32_e32 v3, 0xff, v3
	v_cmp_ne_u32_e32 vcc_lo, 0, v3
	s_and_b32 s13, vcc_lo, exec_lo
	s_or_b32 s10, s10, s13
	s_or_b32 exec_lo, exec_lo, s11
	v_mov_b32_e32 v11, 0
	s_and_saveexec_b32 s11, s10
	s_cbranch_execnz .LBB8_1641
	s_branch .LBB8_1642
.LBB8_2095:
	s_or_b32 s5, s5, exec_lo
	s_trap 2
	s_cbranch_execz .LBB8_1688
	s_branch .LBB8_1689
.LBB8_2096:
	s_andn2_saveexec_b32 s10, s10
	s_cbranch_execz .LBB8_1653
.LBB8_2097:
	v_add_f32_e64 v3, 0x42800000, |v2|
	s_andn2_b32 s6, s6, exec_lo
	v_and_b32_e32 v3, 0xff, v3
	v_cmp_ne_u32_e32 vcc_lo, 0, v3
	s_and_b32 s11, vcc_lo, exec_lo
	s_or_b32 s6, s6, s11
	s_or_b32 exec_lo, exec_lo, s10
	v_mov_b32_e32 v11, 0
	s_and_saveexec_b32 s10, s6
	s_cbranch_execnz .LBB8_1654
	s_branch .LBB8_1655
.LBB8_2098:
	s_andn2_saveexec_b32 s11, s11
	s_cbranch_execz .LBB8_1804
.LBB8_2099:
	v_add_f32_e64 v6, 0x46000000, |v3|
	s_andn2_b32 s10, s10, exec_lo
	v_and_b32_e32 v6, 0xff, v6
	v_cmp_ne_u32_e32 vcc_lo, 0, v6
	s_and_b32 s13, vcc_lo, exec_lo
	s_or_b32 s10, s10, s13
	s_or_b32 exec_lo, exec_lo, s11
	v_mov_b32_e32 v7, 0
	s_and_saveexec_b32 s11, s10
	s_cbranch_execnz .LBB8_1805
	s_branch .LBB8_1806
.LBB8_2100:
	s_or_b32 s5, s5, exec_lo
	s_trap 2
	s_cbranch_execz .LBB8_1852
	s_branch .LBB8_1853
.LBB8_2101:
	s_andn2_saveexec_b32 s10, s10
	s_cbranch_execz .LBB8_1817
.LBB8_2102:
	v_add_f32_e64 v6, 0x42800000, |v3|
	s_andn2_b32 s6, s6, exec_lo
	v_and_b32_e32 v6, 0xff, v6
	v_cmp_ne_u32_e32 vcc_lo, 0, v6
	s_and_b32 s11, vcc_lo, exec_lo
	s_or_b32 s6, s6, s11
	s_or_b32 exec_lo, exec_lo, s10
	v_mov_b32_e32 v7, 0
	s_and_saveexec_b32 s10, s6
	s_cbranch_execnz .LBB8_1818
	s_branch .LBB8_1819
.LBB8_2103:
	s_andn2_saveexec_b32 s11, s11
	s_cbranch_execz .LBB8_1923
.LBB8_2104:
	v_add_f32_e64 v4, 0x46000000, |v3|
	s_andn2_b32 s10, s10, exec_lo
	v_and_b32_e32 v4, 0xff, v4
	v_cmp_ne_u32_e32 vcc_lo, 0, v4
	s_and_b32 s13, vcc_lo, exec_lo
	s_or_b32 s10, s10, s13
	s_or_b32 exec_lo, exec_lo, s11
	v_mov_b32_e32 v5, 0
	s_and_saveexec_b32 s11, s10
	s_cbranch_execnz .LBB8_1924
	s_branch .LBB8_1925
.LBB8_2105:
	s_or_b32 s5, s5, exec_lo
	s_trap 2
	s_cbranch_execz .LBB8_1971
	s_branch .LBB8_1972
.LBB8_2106:
	s_andn2_saveexec_b32 s10, s10
	s_cbranch_execz .LBB8_1936
.LBB8_2107:
	v_add_f32_e64 v4, 0x42800000, |v3|
	s_andn2_b32 s6, s6, exec_lo
	v_and_b32_e32 v4, 0xff, v4
	v_cmp_ne_u32_e32 vcc_lo, 0, v4
	s_and_b32 s11, vcc_lo, exec_lo
	s_or_b32 s6, s6, s11
	s_or_b32 exec_lo, exec_lo, s10
	v_mov_b32_e32 v5, 0
	s_and_saveexec_b32 s10, s6
	s_cbranch_execnz .LBB8_1937
	s_branch .LBB8_1938
.LBB8_2108:
	s_andn2_saveexec_b32 s8, s8
	s_cbranch_execz .LBB8_2043
.LBB8_2109:
	v_add_f32_e64 v3, 0x46000000, |v2|
	s_andn2_b32 s6, s6, exec_lo
	v_and_b32_e32 v3, 0xff, v3
	v_cmp_ne_u32_e32 vcc_lo, 0, v3
	s_and_b32 s9, vcc_lo, exec_lo
	s_or_b32 s6, s6, s9
	s_or_b32 exec_lo, exec_lo, s8
	v_mov_b32_e32 v4, 0
	s_and_saveexec_b32 s8, s6
	s_cbranch_execnz .LBB8_2044
	s_branch .LBB8_2045
.LBB8_2110:
	s_mov_b32 s3, 0
	s_or_b32 s5, s5, exec_lo
	s_trap 2
	s_branch .LBB8_2089
.LBB8_2111:
	s_andn2_saveexec_b32 s6, s6
	s_cbranch_execz .LBB8_2055
.LBB8_2112:
	v_add_f32_e64 v3, 0x42800000, |v2|
	s_andn2_b32 s4, s4, exec_lo
	v_and_b32_e32 v3, 0xff, v3
	v_cmp_ne_u32_e32 vcc_lo, 0, v3
	s_and_b32 s8, vcc_lo, exec_lo
	s_or_b32 s4, s4, s8
	s_or_b32 exec_lo, exec_lo, s6
	v_mov_b32_e32 v4, 0
	s_and_saveexec_b32 s6, s4
	s_cbranch_execnz .LBB8_2056
	s_branch .LBB8_2057
	.section	.rodata,"a",@progbits
	.p2align	6, 0x0
	.amdhsa_kernel _ZN2at6native32elementwise_kernel_manual_unrollILi128ELi4EZNS0_15gpu_kernel_implIZZZNS0_12_GLOBAL__N_130modified_bessel_k1_kernel_cudaERNS_18TensorIteratorBaseEENKUlvE_clEvENKUlvE_clEvEUldE_EEvS5_RKT_EUlibE_EEviT1_
		.amdhsa_group_segment_fixed_size 0
		.amdhsa_private_segment_fixed_size 0
		.amdhsa_kernarg_size 40
		.amdhsa_user_sgpr_count 6
		.amdhsa_user_sgpr_private_segment_buffer 1
		.amdhsa_user_sgpr_dispatch_ptr 0
		.amdhsa_user_sgpr_queue_ptr 0
		.amdhsa_user_sgpr_kernarg_segment_ptr 1
		.amdhsa_user_sgpr_dispatch_id 0
		.amdhsa_user_sgpr_flat_scratch_init 0
		.amdhsa_user_sgpr_private_segment_size 0
		.amdhsa_wavefront_size32 1
		.amdhsa_uses_dynamic_stack 0
		.amdhsa_system_sgpr_private_segment_wavefront_offset 0
		.amdhsa_system_sgpr_workgroup_id_x 1
		.amdhsa_system_sgpr_workgroup_id_y 0
		.amdhsa_system_sgpr_workgroup_id_z 0
		.amdhsa_system_sgpr_workgroup_info 0
		.amdhsa_system_vgpr_workitem_id 0
		.amdhsa_next_free_vgpr 45
		.amdhsa_next_free_sgpr 30
		.amdhsa_reserve_vcc 1
		.amdhsa_reserve_flat_scratch 0
		.amdhsa_float_round_mode_32 0
		.amdhsa_float_round_mode_16_64 0
		.amdhsa_float_denorm_mode_32 3
		.amdhsa_float_denorm_mode_16_64 3
		.amdhsa_dx10_clamp 1
		.amdhsa_ieee_mode 1
		.amdhsa_fp16_overflow 0
		.amdhsa_workgroup_processor_mode 1
		.amdhsa_memory_ordered 1
		.amdhsa_forward_progress 1
		.amdhsa_shared_vgpr_count 0
		.amdhsa_exception_fp_ieee_invalid_op 0
		.amdhsa_exception_fp_denorm_src 0
		.amdhsa_exception_fp_ieee_div_zero 0
		.amdhsa_exception_fp_ieee_overflow 0
		.amdhsa_exception_fp_ieee_underflow 0
		.amdhsa_exception_fp_ieee_inexact 0
		.amdhsa_exception_int_div_zero 0
	.end_amdhsa_kernel
	.section	.text._ZN2at6native32elementwise_kernel_manual_unrollILi128ELi4EZNS0_15gpu_kernel_implIZZZNS0_12_GLOBAL__N_130modified_bessel_k1_kernel_cudaERNS_18TensorIteratorBaseEENKUlvE_clEvENKUlvE_clEvEUldE_EEvS5_RKT_EUlibE_EEviT1_,"axG",@progbits,_ZN2at6native32elementwise_kernel_manual_unrollILi128ELi4EZNS0_15gpu_kernel_implIZZZNS0_12_GLOBAL__N_130modified_bessel_k1_kernel_cudaERNS_18TensorIteratorBaseEENKUlvE_clEvENKUlvE_clEvEUldE_EEvS5_RKT_EUlibE_EEviT1_,comdat
.Lfunc_end8:
	.size	_ZN2at6native32elementwise_kernel_manual_unrollILi128ELi4EZNS0_15gpu_kernel_implIZZZNS0_12_GLOBAL__N_130modified_bessel_k1_kernel_cudaERNS_18TensorIteratorBaseEENKUlvE_clEvENKUlvE_clEvEUldE_EEvS5_RKT_EUlibE_EEviT1_, .Lfunc_end8-_ZN2at6native32elementwise_kernel_manual_unrollILi128ELi4EZNS0_15gpu_kernel_implIZZZNS0_12_GLOBAL__N_130modified_bessel_k1_kernel_cudaERNS_18TensorIteratorBaseEENKUlvE_clEvENKUlvE_clEvEUldE_EEvS5_RKT_EUlibE_EEviT1_
                                        ; -- End function
	.set _ZN2at6native32elementwise_kernel_manual_unrollILi128ELi4EZNS0_15gpu_kernel_implIZZZNS0_12_GLOBAL__N_130modified_bessel_k1_kernel_cudaERNS_18TensorIteratorBaseEENKUlvE_clEvENKUlvE_clEvEUldE_EEvS5_RKT_EUlibE_EEviT1_.num_vgpr, 45
	.set _ZN2at6native32elementwise_kernel_manual_unrollILi128ELi4EZNS0_15gpu_kernel_implIZZZNS0_12_GLOBAL__N_130modified_bessel_k1_kernel_cudaERNS_18TensorIteratorBaseEENKUlvE_clEvENKUlvE_clEvEUldE_EEvS5_RKT_EUlibE_EEviT1_.num_agpr, 0
	.set _ZN2at6native32elementwise_kernel_manual_unrollILi128ELi4EZNS0_15gpu_kernel_implIZZZNS0_12_GLOBAL__N_130modified_bessel_k1_kernel_cudaERNS_18TensorIteratorBaseEENKUlvE_clEvENKUlvE_clEvEUldE_EEvS5_RKT_EUlibE_EEviT1_.numbered_sgpr, 30
	.set _ZN2at6native32elementwise_kernel_manual_unrollILi128ELi4EZNS0_15gpu_kernel_implIZZZNS0_12_GLOBAL__N_130modified_bessel_k1_kernel_cudaERNS_18TensorIteratorBaseEENKUlvE_clEvENKUlvE_clEvEUldE_EEvS5_RKT_EUlibE_EEviT1_.num_named_barrier, 0
	.set _ZN2at6native32elementwise_kernel_manual_unrollILi128ELi4EZNS0_15gpu_kernel_implIZZZNS0_12_GLOBAL__N_130modified_bessel_k1_kernel_cudaERNS_18TensorIteratorBaseEENKUlvE_clEvENKUlvE_clEvEUldE_EEvS5_RKT_EUlibE_EEviT1_.private_seg_size, 0
	.set _ZN2at6native32elementwise_kernel_manual_unrollILi128ELi4EZNS0_15gpu_kernel_implIZZZNS0_12_GLOBAL__N_130modified_bessel_k1_kernel_cudaERNS_18TensorIteratorBaseEENKUlvE_clEvENKUlvE_clEvEUldE_EEvS5_RKT_EUlibE_EEviT1_.uses_vcc, 1
	.set _ZN2at6native32elementwise_kernel_manual_unrollILi128ELi4EZNS0_15gpu_kernel_implIZZZNS0_12_GLOBAL__N_130modified_bessel_k1_kernel_cudaERNS_18TensorIteratorBaseEENKUlvE_clEvENKUlvE_clEvEUldE_EEvS5_RKT_EUlibE_EEviT1_.uses_flat_scratch, 0
	.set _ZN2at6native32elementwise_kernel_manual_unrollILi128ELi4EZNS0_15gpu_kernel_implIZZZNS0_12_GLOBAL__N_130modified_bessel_k1_kernel_cudaERNS_18TensorIteratorBaseEENKUlvE_clEvENKUlvE_clEvEUldE_EEvS5_RKT_EUlibE_EEviT1_.has_dyn_sized_stack, 0
	.set _ZN2at6native32elementwise_kernel_manual_unrollILi128ELi4EZNS0_15gpu_kernel_implIZZZNS0_12_GLOBAL__N_130modified_bessel_k1_kernel_cudaERNS_18TensorIteratorBaseEENKUlvE_clEvENKUlvE_clEvEUldE_EEvS5_RKT_EUlibE_EEviT1_.has_recursion, 0
	.set _ZN2at6native32elementwise_kernel_manual_unrollILi128ELi4EZNS0_15gpu_kernel_implIZZZNS0_12_GLOBAL__N_130modified_bessel_k1_kernel_cudaERNS_18TensorIteratorBaseEENKUlvE_clEvENKUlvE_clEvEUldE_EEvS5_RKT_EUlibE_EEviT1_.has_indirect_call, 0
	.section	.AMDGPU.csdata,"",@progbits
; Kernel info:
; codeLenInByte = 67048
; TotalNumSgprs: 32
; NumVgprs: 45
; ScratchSize: 0
; MemoryBound: 1
; FloatMode: 240
; IeeeMode: 1
; LDSByteSize: 0 bytes/workgroup (compile time only)
; SGPRBlocks: 0
; VGPRBlocks: 5
; NumSGPRsForWavesPerEU: 32
; NumVGPRsForWavesPerEU: 45
; Occupancy: 16
; WaveLimiterHint : 0
; COMPUTE_PGM_RSRC2:SCRATCH_EN: 0
; COMPUTE_PGM_RSRC2:USER_SGPR: 6
; COMPUTE_PGM_RSRC2:TRAP_HANDLER: 0
; COMPUTE_PGM_RSRC2:TGID_X_EN: 1
; COMPUTE_PGM_RSRC2:TGID_Y_EN: 0
; COMPUTE_PGM_RSRC2:TGID_Z_EN: 0
; COMPUTE_PGM_RSRC2:TIDIG_COMP_CNT: 0
	.section	.text._ZN2at6native32elementwise_kernel_manual_unrollILi128ELi4EZNS0_15gpu_kernel_implIZZZNS0_12_GLOBAL__N_130modified_bessel_k1_kernel_cudaERNS_18TensorIteratorBaseEENKUlvE_clEvENKUlvE_clEvEUldE_EEvS5_RKT_EUlibE0_EEviT1_,"axG",@progbits,_ZN2at6native32elementwise_kernel_manual_unrollILi128ELi4EZNS0_15gpu_kernel_implIZZZNS0_12_GLOBAL__N_130modified_bessel_k1_kernel_cudaERNS_18TensorIteratorBaseEENKUlvE_clEvENKUlvE_clEvEUldE_EEvS5_RKT_EUlibE0_EEviT1_,comdat
	.globl	_ZN2at6native32elementwise_kernel_manual_unrollILi128ELi4EZNS0_15gpu_kernel_implIZZZNS0_12_GLOBAL__N_130modified_bessel_k1_kernel_cudaERNS_18TensorIteratorBaseEENKUlvE_clEvENKUlvE_clEvEUldE_EEvS5_RKT_EUlibE0_EEviT1_ ; -- Begin function _ZN2at6native32elementwise_kernel_manual_unrollILi128ELi4EZNS0_15gpu_kernel_implIZZZNS0_12_GLOBAL__N_130modified_bessel_k1_kernel_cudaERNS_18TensorIteratorBaseEENKUlvE_clEvENKUlvE_clEvEUldE_EEvS5_RKT_EUlibE0_EEviT1_
	.p2align	8
	.type	_ZN2at6native32elementwise_kernel_manual_unrollILi128ELi4EZNS0_15gpu_kernel_implIZZZNS0_12_GLOBAL__N_130modified_bessel_k1_kernel_cudaERNS_18TensorIteratorBaseEENKUlvE_clEvENKUlvE_clEvEUldE_EEvS5_RKT_EUlibE0_EEviT1_,@function
_ZN2at6native32elementwise_kernel_manual_unrollILi128ELi4EZNS0_15gpu_kernel_implIZZZNS0_12_GLOBAL__N_130modified_bessel_k1_kernel_cudaERNS_18TensorIteratorBaseEENKUlvE_clEvENKUlvE_clEvEUldE_EEvS5_RKT_EUlibE0_EEviT1_: ; @_ZN2at6native32elementwise_kernel_manual_unrollILi128ELi4EZNS0_15gpu_kernel_implIZZZNS0_12_GLOBAL__N_130modified_bessel_k1_kernel_cudaERNS_18TensorIteratorBaseEENKUlvE_clEvENKUlvE_clEvEUldE_EEvS5_RKT_EUlibE0_EEviT1_
; %bb.0:
	s_clause 0x1
	s_load_dword s24, s[4:5], 0x8
	s_load_dword s33, s[4:5], 0x0
	v_lshl_or_b32 v8, s6, 9, v0
	s_add_u32 s2, s4, 8
	s_addc_u32 s3, s5, 0
	s_mov_b32 s1, -1
	s_mov_b32 s26, 0
	v_or_b32_e32 v5, 0x180, v8
	s_mov_b32 s12, 0
	s_mov_b32 s0, exec_lo
	s_waitcnt lgkmcnt(0)
	s_add_i32 s25, s24, -1
	s_cmp_gt_u32 s25, 1
	s_cselect_b32 s27, -1, 0
	v_cmpx_le_i32_e64 s33, v5
	s_xor_b32 s28, exec_lo, s0
	s_cbranch_execz .LBB9_1121
; %bb.1:
	v_mov_b32_e32 v0, 0
	s_clause 0x3
	s_load_dwordx4 s[16:19], s[2:3], 0x4
	s_load_dwordx2 s[6:7], s[2:3], 0x14
	s_load_dwordx4 s[12:15], s[2:3], 0xc4
	s_load_dwordx4 s[8:11], s[2:3], 0x148
	s_cmp_lg_u32 s24, 0
	s_mov_b32 s39, 0
	s_cselect_b32 s34, -1, 0
	global_load_ushort v0, v0, s[2:3] offset:345
	s_add_u32 s20, s2, 0xc4
	s_addc_u32 s21, s3, 0
	s_min_u32 s35, s25, 15
	s_cmp_gt_u32 s24, 1
	s_mov_b32 s37, 0
	s_cselect_b32 s31, -1, 0
	s_mov_b32 s36, 0
	s_mov_b32 s38, exec_lo
	s_waitcnt vmcnt(0)
	v_readfirstlane_b32 s29, v0
	s_and_b32 s0, 0xffff, s29
	s_lshr_b32 s30, s0, 8
	v_cmpx_gt_i32_e64 s33, v8
	s_cbranch_execz .LBB9_274
; %bb.2:
	s_andn2_b32 vcc_lo, exec_lo, s27
	s_cbranch_vccnz .LBB9_7
; %bb.3:
	s_andn2_b32 vcc_lo, exec_lo, s34
	s_cbranch_vccnz .LBB9_8
; %bb.4:
	s_add_i32 s37, s35, 1
	s_cmp_eq_u32 s25, 2
	s_cbranch_scc1 .LBB9_9
; %bb.5:
	v_mov_b32_e32 v0, 0
	v_mov_b32_e32 v2, 0
	v_mov_b32_e32 v1, v8
	s_and_b32 s36, s37, 28
	s_mov_b32 s40, 0
	s_mov_b64 s[0:1], s[2:3]
	s_mov_b64 s[22:23], s[20:21]
.LBB9_6:                                ; =>This Inner Loop Header: Depth=1
	s_clause 0x1
	s_load_dwordx8 s[44:51], s[0:1], 0x4
	s_load_dwordx4 s[60:63], s[0:1], 0x24
	s_load_dwordx8 s[52:59], s[22:23], 0x0
	s_add_u32 s0, s0, 48
	s_addc_u32 s1, s1, 0
	s_add_i32 s40, s40, 4
	s_add_u32 s22, s22, 32
	s_addc_u32 s23, s23, 0
	s_cmp_lg_u32 s36, s40
	s_waitcnt lgkmcnt(0)
	v_mul_hi_u32 v3, s45, v1
	v_add_nc_u32_e32 v3, v1, v3
	v_lshrrev_b32_e32 v3, s46, v3
	v_mul_hi_u32 v4, s48, v3
	v_mul_lo_u32 v6, v3, s44
	v_add_nc_u32_e32 v4, v3, v4
	v_sub_nc_u32_e32 v1, v1, v6
	v_lshrrev_b32_e32 v4, s49, v4
	v_mul_lo_u32 v6, v1, s52
	v_mul_lo_u32 v9, v1, s53
	v_mul_hi_u32 v5, s51, v4
	v_add_nc_u32_e32 v5, v4, v5
	v_lshrrev_b32_e32 v5, s60, v5
	v_mul_hi_u32 v7, s62, v5
	v_mul_lo_u32 v10, v5, s50
	v_add_nc_u32_e32 v1, v5, v7
	v_mul_lo_u32 v7, v4, s47
	v_sub_nc_u32_e32 v4, v4, v10
	v_lshrrev_b32_e32 v1, s63, v1
	v_mul_lo_u32 v10, v4, s56
	v_mul_lo_u32 v4, v4, s57
	v_sub_nc_u32_e32 v3, v3, v7
	v_mul_lo_u32 v11, v1, s61
	v_mul_lo_u32 v7, v3, s54
	;; [unrolled: 1-line block ×3, first 2 shown]
	v_sub_nc_u32_e32 v5, v5, v11
	v_add3_u32 v2, v6, v2, v7
	v_mul_lo_u32 v11, v5, s58
	v_mul_lo_u32 v5, v5, s59
	v_add3_u32 v0, v9, v0, v3
	v_add3_u32 v2, v10, v2, v11
	;; [unrolled: 1-line block ×3, first 2 shown]
	s_cbranch_scc1 .LBB9_6
	s_branch .LBB9_10
.LBB9_7:
                                        ; implicit-def: $vgpr2
                                        ; implicit-def: $vgpr0
	s_branch .LBB9_14
.LBB9_8:
	v_mov_b32_e32 v2, 0
	v_mov_b32_e32 v0, 0
	s_branch .LBB9_13
.LBB9_9:
	v_mov_b32_e32 v2, 0
	v_mov_b32_e32 v0, 0
	;; [unrolled: 1-line block ×3, first 2 shown]
.LBB9_10:
	s_and_b32 s37, s37, 3
	s_cmp_eq_u32 s37, 0
	s_cbranch_scc1 .LBB9_13
; %bb.11:
	s_lshl_b32 s0, s36, 3
	s_mul_i32 s22, s36, 12
	s_add_u32 s0, s2, s0
	s_addc_u32 s1, s3, 0
	s_add_u32 s0, s0, 0xc4
	s_addc_u32 s1, s1, 0
	;; [unrolled: 2-line block ×3, first 2 shown]
	.p2align	6
.LBB9_12:                               ; =>This Inner Loop Header: Depth=1
	s_clause 0x1
	s_load_dwordx2 s[40:41], s[22:23], 0x4
	s_load_dword s36, s[22:23], 0xc
	s_load_dwordx2 s[42:43], s[0:1], 0x0
	s_add_u32 s22, s22, 12
	s_addc_u32 s23, s23, 0
	s_add_u32 s0, s0, 8
	s_addc_u32 s1, s1, 0
	s_add_i32 s37, s37, -1
	s_cmp_lg_u32 s37, 0
	s_waitcnt lgkmcnt(0)
	v_mul_hi_u32 v3, s41, v1
	v_add_nc_u32_e32 v3, v1, v3
	v_lshrrev_b32_e32 v4, s36, v3
	v_mul_lo_u32 v3, v4, s40
	v_sub_nc_u32_e32 v1, v1, v3
	v_mad_u64_u32 v[2:3], null, v1, s42, v[2:3]
	v_mad_u64_u32 v[0:1], null, v1, s43, v[0:1]
	v_mov_b32_e32 v1, v4
	s_cbranch_scc1 .LBB9_12
.LBB9_13:
	s_cbranch_execnz .LBB9_16
.LBB9_14:
	s_waitcnt lgkmcnt(0)
	v_mul_hi_u32 v0, s17, v8
	s_andn2_b32 vcc_lo, exec_lo, s31
	v_add_nc_u32_e32 v0, v8, v0
	v_lshrrev_b32_e32 v1, s18, v0
	v_mul_lo_u32 v0, v1, s16
	v_sub_nc_u32_e32 v0, v8, v0
	v_mul_lo_u32 v2, v0, s12
	v_mul_lo_u32 v0, v0, s13
	s_cbranch_vccnz .LBB9_16
; %bb.15:
	v_mul_hi_u32 v3, s6, v1
	v_add_nc_u32_e32 v3, v1, v3
	v_lshrrev_b32_e32 v3, s7, v3
	v_mul_lo_u32 v3, v3, s19
	v_sub_nc_u32_e32 v1, v1, v3
	v_mad_u64_u32 v[2:3], null, v1, s14, v[2:3]
	v_mad_u64_u32 v[0:1], null, v1, s15, v[0:1]
.LBB9_16:
	s_waitcnt lgkmcnt(0)
	v_add_co_u32 v0, s0, s10, v0
	v_add_co_ci_u32_e64 v1, null, s11, 0, s0
	s_and_b32 s0, 0xffff, s30
	s_cmp_lt_i32 s0, 11
	s_cbranch_scc1 .LBB9_23
; %bb.17:
	s_cmp_gt_i32 s0, 25
	s_cbranch_scc0 .LBB9_40
; %bb.18:
	s_cmp_gt_i32 s0, 28
	s_cbranch_scc0 .LBB9_43
	;; [unrolled: 3-line block ×4, first 2 shown]
; %bb.21:
	s_cmp_eq_u32 s0, 46
	s_mov_b32 s23, 0
	s_cbranch_scc0 .LBB9_49
; %bb.22:
	global_load_dword v3, v[0:1], off
	s_mov_b32 s1, -1
	s_mov_b32 s22, 0
	s_waitcnt vmcnt(0)
	v_lshlrev_b32_e32 v3, 16, v3
	v_cvt_f64_f32_e32 v[3:4], v3
	s_branch .LBB9_51
.LBB9_23:
	s_mov_b32 s22, 0
	s_mov_b32 s1, 0
                                        ; implicit-def: $vgpr3_vgpr4
	s_cbranch_execnz .LBB9_224
.LBB9_24:
	s_andn2_b32 vcc_lo, exec_lo, s1
	s_cbranch_vccnz .LBB9_271
.LBB9_25:
	v_mov_b32_e32 v0, 0
	v_mov_b32_e32 v1, 0x7ff00000
	s_mov_b32 s23, exec_lo
	s_waitcnt vmcnt(0)
	v_cmpx_neq_f64_e32 0, v[3:4]
	s_cbranch_execz .LBB9_33
; %bb.26:
	v_mov_b32_e32 v0, 0
	v_mov_b32_e32 v1, 0x7ff80000
	s_mov_b32 s36, exec_lo
	v_cmpx_ngt_f64_e32 0, v[3:4]
	s_cbranch_execz .LBB9_32
; %bb.27:
                                        ; implicit-def: $vgpr0_vgpr1
	s_mov_b32 s0, exec_lo
	v_cmpx_ge_f64_e32 2.0, v[3:4]
	s_xor_b32 s37, exec_lo, s0
	s_cbranch_execz .LBB9_29
; %bb.28:
	v_fma_f64 v[0:1], v[3:4], 0.5, -2.0
	s_mov_b32 s0, 0xc38a0576
	s_mov_b32 s1, 0xbc7857d0
	;; [unrolled: 1-line block ×4, first 2 shown]
	v_mul_f64 v[11:12], v[3:4], 0.5
	v_fma_f64 v[27:28], v[3:4], v[3:4], -2.0
	s_mov_b32 s43, 0xbc603228
	s_mov_b32 s42, 0x3d3cda56
	;; [unrolled: 1-line block ×4, first 2 shown]
	v_fma_f64 v[5:6], v[0:1], s[40:41], s[0:1]
	s_mov_b32 s41, 0xbc499f2a
	s_mov_b32 s0, 0xe593bfac
	;; [unrolled: 1-line block ×3, first 2 shown]
	v_frexp_mant_f64_e32 v[13:14], v[11:12]
	v_fma_f64 v[9:10], v[0:1], v[5:6], s[40:41]
	s_mov_b32 s40, 0x97eb07de
	s_mov_b32 s41, 0xbdd25103
	v_add_f64 v[9:10], v[9:10], s[0:1]
	s_mov_b32 s0, 0x7e0d1573
	s_mov_b32 s1, 0xbcd3eaaa
	v_fma_f64 v[5:6], v[0:1], v[9:10], -v[5:6]
	v_add_f64 v[5:6], v[5:6], s[0:1]
	s_mov_b32 s0, 0x615290c
	s_mov_b32 s1, 0x3d011d7f
	v_fma_f64 v[9:10], v[0:1], v[5:6], -v[9:10]
	;; [unrolled: 4-line block ×6, first 2 shown]
	v_add_f64 v[9:10], v[9:10], s[0:1]
	s_mov_b32 s1, 0x3fe55555
	s_mov_b32 s0, 0x55555555
	v_cmp_gt_f64_e32 vcc_lo, s[0:1], v[13:14]
	s_mov_b32 s0, 0x55555780
	v_fma_f64 v[5:6], v[0:1], v[9:10], -v[5:6]
	v_cndmask_b32_e64 v7, 0, 1, vcc_lo
	v_ldexp_f64 v[13:14], v[13:14], v7
	v_frexp_exp_i32_f64_e32 v7, v[11:12]
	v_add_f64 v[5:6], v[5:6], s[40:41]
	s_mov_b32 s40, 0xb43fdf6c
	s_mov_b32 s41, 0x3df8ea34
	v_add_f64 v[15:16], v[13:14], 1.0
	v_add_f64 v[21:22], v[13:14], -1.0
	v_subrev_co_ci_u32_e64 v7, null, 0, v7, vcc_lo
	v_fma_f64 v[9:10], v[0:1], v[5:6], -v[9:10]
	v_rcp_f64_e32 v[17:18], v[15:16]
	v_add_f64 v[23:24], v[15:16], -1.0
	v_add_f64 v[9:10], v[9:10], s[40:41]
	s_mov_b32 s40, 0x28ea67e6
	s_mov_b32 s41, 0xbe20361b
	v_add_f64 v[13:14], v[13:14], -v[23:24]
	v_fma_f64 v[19:20], -v[15:16], v[17:18], 1.0
	v_fma_f64 v[5:6], v[0:1], v[9:10], -v[5:6]
	v_fma_f64 v[17:18], v[19:20], v[17:18], v[17:18]
	v_add_f64 v[5:6], v[5:6], s[40:41]
	s_mov_b32 s40, 0x2395010
	s_mov_b32 s41, 0x3e44258e
	v_fma_f64 v[19:20], -v[15:16], v[17:18], 1.0
	v_fma_f64 v[9:10], v[0:1], v[5:6], -v[9:10]
	v_fma_f64 v[17:18], v[19:20], v[17:18], v[17:18]
	v_add_f64 v[9:10], v[9:10], s[40:41]
	s_mov_b32 s40, 0x24b8c3e8
	s_mov_b32 s41, 0xbe67dd3e
	v_mul_f64 v[19:20], v[21:22], v[17:18]
	v_fma_f64 v[5:6], v[0:1], v[9:10], -v[5:6]
	v_mul_f64 v[25:26], v[15:16], v[19:20]
	v_add_f64 v[5:6], v[5:6], s[40:41]
	s_mov_b32 s40, 0xb347d108
	s_mov_b32 s41, 0x3e8ae344
	v_fma_f64 v[15:16], v[19:20], v[15:16], -v[25:26]
	v_fma_f64 v[9:10], v[0:1], v[5:6], -v[9:10]
	v_fma_f64 v[13:14], v[19:20], v[13:14], v[15:16]
	v_add_f64 v[9:10], v[9:10], s[40:41]
	s_mov_b32 s40, 0x7a0399e0
	s_mov_b32 s41, 0xbce5dd51
	v_fma_f64 v[29:30], v[27:28], s[42:43], s[40:41]
	s_mov_b32 s43, 0x3c603228
	s_mov_b32 s40, 0xddd0e045
	;; [unrolled: 1-line block ×3, first 2 shown]
	v_add_f64 v[15:16], v[25:26], v[13:14]
	v_fma_f64 v[5:6], v[0:1], v[9:10], -v[5:6]
	v_add_f64 v[23:24], v[21:22], -v[15:16]
	v_add_f64 v[25:26], v[15:16], -v[25:26]
	v_add_f64 v[5:6], v[5:6], s[44:45]
	s_mov_b32 s44, 0xd3d694fe
	s_mov_b32 s45, 0xbf2533ca
	v_add_f64 v[21:22], v[21:22], -v[23:24]
	v_add_f64 v[13:14], v[25:26], -v[13:14]
	v_fma_f64 v[9:10], v[0:1], v[5:6], -v[9:10]
	v_add_f64 v[15:16], v[21:22], -v[15:16]
	v_fma_f64 v[21:22], v[27:28], v[29:30], s[42:43]
	s_mov_b32 s42, 0xd511afc5
	s_mov_b32 s43, 0x3ecd1c4e
	v_add_f64 v[9:10], v[9:10], s[42:43]
	s_mov_b32 s42, 0xb8debbcf
	s_mov_b32 s43, 0xbeebd5f9
	v_add_f64 v[13:14], v[13:14], v[15:16]
	v_add_f64 v[15:16], v[21:22], s[40:41]
	s_mov_b32 s40, 0xb84626ca
	s_mov_b32 s41, 0xbde3663b
	v_fma_f64 v[5:6], v[0:1], v[9:10], -v[5:6]
	v_add_f64 v[13:14], v[23:24], v[13:14]
	v_fma_f64 v[21:22], v[27:28], v[15:16], -v[29:30]
	v_add_f64 v[5:6], v[5:6], s[42:43]
	s_mov_b32 s42, 0x42c70d0b
	s_mov_b32 s43, 0x3f0911b5
	v_mul_f64 v[13:14], v[17:18], v[13:14]
	v_add_f64 v[17:18], v[21:22], s[40:41]
	s_mov_b32 s40, 0x145c31d0
	s_mov_b32 s41, 0xbe57c41d
	v_fma_f64 v[9:10], v[0:1], v[5:6], -v[9:10]
	v_add_f64 v[21:22], v[19:20], v[13:14]
	v_fma_f64 v[15:16], v[27:28], v[17:18], -v[15:16]
	v_add_f64 v[9:10], v[9:10], s[42:43]
	s_mov_b32 s42, 0xbf559e2b
	s_mov_b32 s43, 0x3fc3ab76
	v_mul_f64 v[23:24], v[21:22], v[21:22]
	v_add_f64 v[15:16], v[15:16], s[40:41]
	s_mov_b32 s40, 0x6b47b09a
	s_mov_b32 s41, 0x3fc38538
	v_add_f64 v[19:20], v[21:22], -v[19:20]
	v_fma_f64 v[5:6], v[0:1], v[9:10], -v[5:6]
	v_fma_f64 v[25:26], v[23:24], s[42:43], s[40:41]
	v_fma_f64 v[17:18], v[27:28], v[15:16], -v[17:18]
	s_mov_b32 s40, 0x2c832e3a
	s_mov_b32 s41, 0xbec469b3
	;; [unrolled: 1-line block ×4, first 2 shown]
	v_mul_f64 v[29:30], v[21:22], v[23:24]
	v_add_f64 v[13:14], v[13:14], -v[19:20]
	v_add_f64 v[5:6], v[5:6], s[44:45]
	s_mov_b32 s44, 0xb6c6df7d
	s_mov_b32 s45, 0x3f40c95d
	v_fma_f64 v[25:26], v[23:24], v[25:26], s[42:43]
	v_add_f64 v[17:18], v[17:18], s[40:41]
	s_mov_b32 s40, 0x16291751
	s_mov_b32 s41, 0x3fcc71c0
	;; [unrolled: 1-line block ×4, first 2 shown]
	v_ldexp_f64 v[13:14], v[13:14], 1
	v_fma_f64 v[9:10], v[0:1], v[5:6], -v[9:10]
	v_fma_f64 v[25:26], v[23:24], v[25:26], s[40:41]
	v_fma_f64 v[15:16], v[27:28], v[17:18], -v[15:16]
	s_mov_b32 s40, 0xe5a3bd02
	s_mov_b32 s41, 0xbf26ade2
	v_add_f64 v[9:10], v[9:10], s[44:45]
	s_mov_b32 s44, 0xe7bb2349
	s_mov_b32 s45, 0x3f9951e3
	v_fma_f64 v[25:26], v[23:24], v[25:26], s[42:43]
	v_add_f64 v[15:16], v[15:16], s[40:41]
	s_mov_b32 s40, 0x998ef7b6
	s_mov_b32 s41, 0x3fd99999
	;; [unrolled: 1-line block ×4, first 2 shown]
	v_fma_f64 v[5:6], v[0:1], v[9:10], -v[5:6]
	v_fma_f64 v[25:26], v[23:24], v[25:26], s[40:41]
	v_fma_f64 v[17:18], v[27:28], v[15:16], -v[17:18]
	s_mov_b32 s40, 0x9d7d4192
	s_mov_b32 s41, 0xbf7c9293
	v_add_f64 v[5:6], v[5:6], s[42:43]
	s_mov_b32 s42, 0x49d3a1b4
	s_mov_b32 s43, 0x3f710653
	v_fma_f64 v[23:24], v[23:24], v[25:26], s[0:1]
	v_add_f64 v[17:18], v[17:18], s[40:41]
	v_ldexp_f64 v[25:26], v[21:22], 1
	s_mov_b32 s0, 0x43c1db74
	s_mov_b32 s1, 0xbfbf6372
	;; [unrolled: 1-line block ×4, first 2 shown]
	v_mul_f64 v[31:32], v[3:4], s[40:41]
	s_mov_b32 s40, 0x757b0dd4
	s_mov_b32 s41, 0xbfd69a1b
	v_fma_f64 v[9:10], v[0:1], v[5:6], -v[9:10]
	v_mul_f64 v[23:24], v[29:30], v[23:24]
	v_fma_f64 v[15:16], v[27:28], v[17:18], -v[15:16]
	v_cvt_f64_i32_e32 v[29:30], v7
	v_add_f64 v[9:10], v[9:10], s[42:43]
	s_mov_b32 s42, 0x7913a26a
	s_mov_b32 s43, 0xbf85a29f
	v_add_f64 v[21:22], v[25:26], v[23:24]
	v_add_f64 v[15:16], v[15:16], s[0:1]
	s_mov_b32 s1, 0x3fe62e42
	s_mov_b32 s0, 0xfefa39ef
	v_mul_f64 v[33:34], v[29:30], s[0:1]
	v_fma_f64 v[5:6], v[0:1], v[9:10], -v[5:6]
	v_add_f64 v[19:20], v[21:22], -v[25:26]
	v_fma_f64 v[17:18], v[27:28], v[15:16], -v[17:18]
	v_rndne_f64_e32 v[25:26], v[31:32]
	v_fma_f64 v[31:32], v[29:30], s[0:1], -v[33:34]
	s_mov_b32 s1, 0xbfe62e42
	v_add_f64 v[5:6], v[5:6], s[42:43]
	s_mov_b32 s42, 0x6a5dcb37
	s_mov_b32 s43, 0x3e5ade15
	v_add_f64 v[19:20], v[23:24], -v[19:20]
	v_add_f64 v[17:18], v[17:18], s[40:41]
	v_fma_f64 v[23:24], v[25:26], s[0:1], v[3:4]
	s_mov_b32 s1, 0x3c7abc9e
	s_mov_b32 s0, 0x3b39803f
	s_mov_b32 s40, 0xfca7ab0c
	v_fma_f64 v[29:30], v[29:30], s[0:1], v[31:32]
	s_mov_b32 s1, 0xbc7abc9e
	s_mov_b32 s41, 0x3e928af3
	v_cvt_i32_f64_e32 v7, v[25:26]
	v_fma_f64 v[9:10], v[0:1], v[5:6], -v[9:10]
	v_add_f64 v[13:14], v[13:14], v[19:20]
	v_fma_f64 v[17:18], v[27:28], v[17:18], -v[15:16]
	v_fma_f64 v[19:20], v[25:26], s[0:1], v[23:24]
	s_mov_b32 s0, 0x361008ca
	s_mov_b32 s1, 0x3ff867a1
	v_add_f64 v[23:24], v[33:34], v[29:30]
	v_add_f64 v[9:10], v[9:10], s[44:45]
	;; [unrolled: 1-line block ×4, first 2 shown]
	v_fma_f64 v[31:32], v[19:20], s[42:43], s[40:41]
	s_mov_b32 s0, 0x623fde64
	s_mov_b32 s1, 0x3ec71dee
	;; [unrolled: 1-line block ×4, first 2 shown]
	v_add_f64 v[33:34], v[23:24], -v[33:34]
	v_fma_f64 v[5:6], v[0:1], v[9:10], -v[5:6]
	v_add_f64 v[35:36], v[23:24], v[27:28]
	v_add_f64 v[15:16], v[17:18], -v[15:16]
	v_fma_f64 v[31:32], v[19:20], v[31:32], s[0:1]
	s_mov_b32 s0, 0x7c89e6b0
	s_mov_b32 s1, 0x3efa0199
	v_add_f64 v[21:22], v[27:28], -v[21:22]
	v_add_f64 v[29:30], v[29:30], -v[33:34]
	v_add_f64 v[5:6], v[5:6], s[40:41]
	s_mov_b32 s40, 0xd536f53c
	s_mov_b32 s41, 0x3fba46da
	v_add_f64 v[17:18], v[35:36], -v[23:24]
	v_mul_f64 v[15:16], v[15:16], 0.5
	v_fma_f64 v[31:32], v[19:20], v[31:32], s[0:1]
	s_mov_b32 s0, 0x14761f6e
	s_mov_b32 s1, 0x3f2a01a0
	v_add_f64 v[13:14], v[13:14], -v[21:22]
	v_fma_f64 v[9:10], v[0:1], v[5:6], -v[9:10]
	v_add_f64 v[37:38], v[35:36], -v[17:18]
	v_div_scale_f64 v[39:40], null, v[3:4], v[3:4], v[15:16]
	v_fma_f64 v[31:32], v[19:20], v[31:32], s[0:1]
	s_mov_b32 s0, 0x1852b7b0
	s_mov_b32 s1, 0x3f56c16c
	v_add_f64 v[17:18], v[27:28], -v[17:18]
	v_add_f64 v[9:10], v[9:10], s[40:41]
	s_mov_b32 s40, 0x469192e
	s_mov_b32 s41, 0xbfc694d1
	v_add_f64 v[21:22], v[23:24], -v[37:38]
	v_rcp_f64_e32 v[27:28], v[39:40]
	v_fma_f64 v[23:24], v[19:20], v[31:32], s[0:1]
	s_mov_b32 s0, 0x11122322
	s_mov_b32 s1, 0x3f811111
	v_add_f64 v[31:32], v[29:30], v[13:14]
	v_fma_f64 v[5:6], v[0:1], v[9:10], -v[5:6]
	v_add_f64 v[17:18], v[17:18], v[21:22]
	v_fma_f64 v[21:22], v[19:20], v[23:24], s[0:1]
	v_fma_f64 v[23:24], -v[39:40], v[27:28], 1.0
	s_mov_b32 s0, 0x555502a1
	s_mov_b32 s1, 0x3fa55555
	v_add_f64 v[33:34], v[31:32], -v[29:30]
	v_add_f64 v[5:6], v[5:6], s[40:41]
	s_mov_b32 s40, 0x724a7ffa
	s_mov_b32 s41, 0x3fd02a63
	v_add_f64 v[17:18], v[31:32], v[17:18]
	v_fma_f64 v[21:22], v[19:20], v[21:22], s[0:1]
	v_fma_f64 v[23:24], v[27:28], v[23:24], v[27:28]
	s_mov_b32 s0, 0x55555511
	s_mov_b32 s1, 0x3fc55555
	v_add_f64 v[27:28], v[31:32], -v[33:34]
	v_add_f64 v[13:14], v[13:14], -v[33:34]
	v_div_scale_f64 v[33:34], vcc_lo, v[15:16], v[3:4], v[15:16]
	v_fma_f64 v[0:1], v[0:1], v[5:6], -v[9:10]
	v_add_f64 v[31:32], v[35:36], v[17:18]
	v_fma_f64 v[21:22], v[19:20], v[21:22], s[0:1]
	v_fma_f64 v[5:6], -v[39:40], v[23:24], 1.0
	s_mov_b32 s0, 11
	s_mov_b32 s1, 0x3fe00000
	v_add_f64 v[27:28], v[29:30], -v[27:28]
	v_add_f64 v[0:1], v[0:1], s[40:41]
	v_add_f64 v[29:30], v[31:32], -v[35:36]
	v_fma_f64 v[21:22], v[19:20], v[21:22], s[0:1]
	v_fma_f64 v[5:6], v[23:24], v[5:6], v[23:24]
	v_cmp_neq_f64_e64 s0, 0, v[11:12]
	v_add_f64 v[13:14], v[13:14], v[27:28]
	v_add_f64 v[0:1], v[0:1], -v[9:10]
	v_add_f64 v[17:18], v[17:18], -v[29:30]
	v_fma_f64 v[21:22], v[19:20], v[21:22], 1.0
	v_mul_f64 v[9:10], v[33:34], v[5:6]
	v_mul_f64 v[0:1], v[0:1], 0.5
	v_add_f64 v[13:14], v[13:14], v[17:18]
	v_fma_f64 v[17:18], v[19:20], v[21:22], 1.0
	v_fma_f64 v[19:20], -v[39:40], v[9:10], v[33:34]
	v_mul_f64 v[0:1], v[3:4], v[0:1]
	v_add_f64 v[13:14], v[31:32], v[13:14]
	v_ldexp_f64 v[17:18], v[17:18], v7
	v_div_fmas_f64 v[5:6], v[19:20], v[5:6], v[9:10]
	v_cmp_neq_f64_e32 vcc_lo, 0x7ff00000, v[11:12]
	v_mul_f64 v[0:1], v[17:18], v[0:1]
	v_div_fixup_f64 v[3:4], v[5:6], v[3:4], v[15:16]
	v_cndmask_b32_e32 v7, 0x7ff00000, v14, vcc_lo
	s_and_b32 vcc_lo, s0, vcc_lo
	v_cndmask_b32_e32 v5, 0, v13, vcc_lo
	v_cndmask_b32_e64 v6, 0xfff00000, v7, s0
	v_fma_f64 v[0:1], v[5:6], v[0:1], v[3:4]
                                        ; implicit-def: $vgpr3_vgpr4
.LBB9_29:
	s_andn2_saveexec_b32 s1, s37
	s_cbranch_execz .LBB9_31
; %bb.30:
	v_div_scale_f64 v[0:1], null, v[3:4], v[3:4], 0x40200000
	v_div_scale_f64 v[11:12], vcc_lo, 0x40200000, v[3:4], 0x40200000
	s_mov_b32 s40, 0x838f5ed3
	s_mov_b32 s41, 0x3c74af1a
	s_mov_b32 s43, 0xbc5a8c5d
	s_mov_b32 s42, 0x42c43a08
	v_cmp_nlt_f64_e64 s0, 0x4090cc00, v[3:4]
	v_rcp_f64_e32 v[5:6], v[0:1]
	v_fma_f64 v[9:10], -v[0:1], v[5:6], 1.0
	v_fma_f64 v[5:6], v[5:6], v[9:10], v[5:6]
	v_fma_f64 v[9:10], -v[0:1], v[5:6], 1.0
	v_fma_f64 v[5:6], v[5:6], v[9:10], v[5:6]
	v_mul_f64 v[9:10], v[11:12], v[5:6]
	v_fma_f64 v[0:1], -v[0:1], v[9:10], v[11:12]
	v_div_fmas_f64 v[0:1], v[0:1], v[5:6], v[9:10]
	v_cmp_gt_f64_e32 vcc_lo, 0x10000000, v[3:4]
	v_div_fixup_f64 v[0:1], v[0:1], v[3:4], 0x40200000
	v_cndmask_b32_e64 v7, 0, 0x100, vcc_lo
	v_ldexp_f64 v[17:18], v[3:4], v7
	v_add_f64 v[0:1], v[0:1], -2.0
	v_rsq_f64_e32 v[19:20], v[17:18]
	v_fma_f64 v[5:6], v[0:1], s[42:43], s[40:41]
	s_mov_b32 s43, 0x3c5a8c5d
	s_mov_b32 s40, 0x17771d52
	;; [unrolled: 1-line block ×3, first 2 shown]
	v_mul_f64 v[21:22], v[17:18], v[19:20]
	v_mul_f64 v[19:20], v[19:20], 0.5
	v_fma_f64 v[9:10], v[0:1], v[5:6], s[42:43]
	s_mov_b32 s42, 0x6a5dcb37
	s_mov_b32 s43, 0x3e5ade15
	v_fma_f64 v[23:24], -v[19:20], v[21:22], 0.5
	v_add_f64 v[9:10], v[9:10], s[40:41]
	s_mov_b32 s40, 0x44ee2c0b
	s_mov_b32 s41, 0x3caa7d5e
	v_fma_f64 v[21:22], v[21:22], v[23:24], v[21:22]
	v_fma_f64 v[19:20], v[19:20], v[23:24], v[19:20]
	v_fma_f64 v[5:6], v[0:1], v[9:10], -v[5:6]
	v_fma_f64 v[23:24], -v[21:22], v[21:22], v[17:18]
	v_add_f64 v[5:6], v[5:6], s[40:41]
	s_mov_b32 s40, 0xd8758ef2
	s_mov_b32 s41, 0xbcc5d2a3
	v_fma_f64 v[9:10], v[0:1], v[5:6], -v[9:10]
	v_add_f64 v[9:10], v[9:10], s[40:41]
	s_mov_b32 s40, 0xefee81bd
	s_mov_b32 s41, 0x3ce25ced
	v_fma_f64 v[5:6], v[0:1], v[9:10], -v[5:6]
	;; [unrolled: 4-line block ×14, first 2 shown]
	v_add_f64 v[5:6], v[5:6], s[40:41]
	s_mov_b32 s40, 0x652b82fe
	s_mov_b32 s41, 0xbff71547
	v_mul_f64 v[11:12], v[3:4], s[40:41]
	s_mov_b32 s40, 0x8fada5c6
	s_mov_b32 s41, 0xbe978052
	v_fma_f64 v[9:10], v[0:1], v[5:6], -v[9:10]
	v_rndne_f64_e32 v[11:12], v[11:12]
	v_add_f64 v[9:10], v[9:10], s[40:41]
	s_mov_b32 s40, 0xfefa39ef
	s_mov_b32 s41, 0xbfe62e42
	v_fma_f64 v[13:14], v[11:12], s[40:41], -v[3:4]
	s_mov_b32 s40, 0x3b39803f
	s_mov_b32 s41, 0xbc7abc9e
	v_cvt_i32_f64_e32 v7, v[11:12]
	v_cndmask_b32_e64 v3, 0, 0xffffff80, vcc_lo
	v_cmp_class_f64_e64 vcc_lo, v[17:18], 0x260
	v_fma_f64 v[5:6], v[0:1], v[9:10], -v[5:6]
	v_fma_f64 v[13:14], v[11:12], s[40:41], v[13:14]
	s_mov_b32 s40, 0x1752d1b6
	s_mov_b32 s41, 0x3ec42fe3
	v_add_f64 v[5:6], v[5:6], s[40:41]
	s_mov_b32 s40, 0xfca7ab0c
	s_mov_b32 s41, 0x3e928af3
	v_fma_f64 v[15:16], v[13:14], s[42:43], s[40:41]
	s_mov_b32 s40, 0x623fde64
	s_mov_b32 s41, 0x3ec71dee
	v_fma_f64 v[9:10], v[0:1], v[5:6], -v[9:10]
	v_fma_f64 v[15:16], v[13:14], v[15:16], s[40:41]
	s_mov_b32 s40, 0x1dcdb2e5
	s_mov_b32 s41, 0xbef44d71
	v_add_f64 v[9:10], v[9:10], s[40:41]
	s_mov_b32 s40, 0x7c89e6b0
	s_mov_b32 s41, 0x3efa0199
	v_fma_f64 v[15:16], v[13:14], v[15:16], s[40:41]
	s_mov_b32 s40, 0x14761f6e
	s_mov_b32 s41, 0x3f2a01a0
	;; [unrolled: 10-line block ×5, first 2 shown]
	v_fma_f64 v[0:1], v[0:1], v[5:6], -v[9:10]
	v_fma_f64 v[5:6], v[23:24], v[19:20], v[21:22]
	v_fma_f64 v[15:16], v[13:14], v[15:16], 1.0
	v_add_f64 v[0:1], v[0:1], s[40:41]
	v_fma_f64 v[21:22], -v[5:6], v[5:6], v[17:18]
	v_fma_f64 v[11:12], v[13:14], v[15:16], 1.0
	v_add_f64 v[0:1], v[0:1], -v[9:10]
	v_fma_f64 v[5:6], v[21:22], v[19:20], v[5:6]
	v_ldexp_f64 v[9:10], v[11:12], v7
	v_mul_f64 v[0:1], v[0:1], 0.5
	v_ldexp_f64 v[3:4], v[5:6], v3
	v_cndmask_b32_e64 v6, 0, v10, s0
	v_cndmask_b32_e64 v5, 0, v9, s0
	v_mul_f64 v[0:1], v[5:6], v[0:1]
	v_cndmask_b32_e32 v4, v4, v18, vcc_lo
	v_cndmask_b32_e32 v3, v3, v17, vcc_lo
	v_div_scale_f64 v[5:6], null, v[3:4], v[3:4], v[0:1]
	v_rcp_f64_e32 v[9:10], v[5:6]
	v_fma_f64 v[11:12], -v[5:6], v[9:10], 1.0
	v_fma_f64 v[9:10], v[9:10], v[11:12], v[9:10]
	v_fma_f64 v[11:12], -v[5:6], v[9:10], 1.0
	v_fma_f64 v[9:10], v[9:10], v[11:12], v[9:10]
	v_div_scale_f64 v[11:12], vcc_lo, v[0:1], v[3:4], v[0:1]
	v_mul_f64 v[13:14], v[11:12], v[9:10]
	v_fma_f64 v[5:6], -v[5:6], v[13:14], v[11:12]
	v_div_fmas_f64 v[5:6], v[5:6], v[9:10], v[13:14]
	v_div_fixup_f64 v[0:1], v[5:6], v[3:4], v[0:1]
.LBB9_31:
	s_or_b32 exec_lo, exec_lo, s1
.LBB9_32:
	s_or_b32 exec_lo, exec_lo, s36
.LBB9_33:
	s_or_b32 exec_lo, exec_lo, s23
	v_add_co_u32 v4, s0, s8, v2
	v_add_co_ci_u32_e64 v5, null, s9, 0, s0
	s_and_b32 s1, s29, 0xff
	s_cmp_lt_i32 s1, 11
	s_cbranch_scc1 .LBB9_41
; %bb.34:
	s_and_b32 s23, 0xffff, s1
	s_cmp_gt_i32 s23, 25
	s_cbranch_scc0 .LBB9_44
; %bb.35:
	s_cmp_gt_i32 s23, 28
	s_cbranch_scc0 .LBB9_46
; %bb.36:
	;; [unrolled: 3-line block ×4, first 2 shown]
	s_mov_b32 s37, 0
	s_mov_b32 s0, -1
	s_cmp_eq_u32 s23, 46
	s_mov_b32 s36, 0
	s_cbranch_scc0 .LBB9_55
; %bb.39:
	v_cvt_f32_f64_e32 v2, v[0:1]
	s_mov_b32 s36, -1
	s_mov_b32 s0, 0
	v_bfe_u32 v3, v2, 16, 1
	v_cmp_o_f32_e32 vcc_lo, v2, v2
	v_add3_u32 v2, v2, v3, 0x7fff
	v_mov_b32_e32 v3, 0x7fc0
	v_cndmask_b32_sdwa v2, v3, v2, vcc_lo dst_sel:DWORD dst_unused:UNUSED_PAD src0_sel:DWORD src1_sel:WORD_1
	global_store_dword v[4:5], v2, off
	s_branch .LBB9_55
.LBB9_40:
	s_mov_b32 s22, 0
	s_mov_b32 s1, 0
                                        ; implicit-def: $vgpr3_vgpr4
	s_cbranch_execnz .LBB9_191
	s_branch .LBB9_223
.LBB9_41:
	s_mov_b32 s0, 0
	s_mov_b32 s36, 0
	s_cbranch_execnz .LBB9_124
.LBB9_42:
	s_andn2_b32 vcc_lo, exec_lo, s36
	s_cbranch_vccz .LBB9_162
	s_branch .LBB9_272
.LBB9_43:
	s_mov_b32 s23, -1
	s_mov_b32 s22, 0
	s_mov_b32 s1, 0
                                        ; implicit-def: $vgpr3_vgpr4
	s_branch .LBB9_170
.LBB9_44:
	s_mov_b32 s37, -1
	s_mov_b32 s0, 0
	s_mov_b32 s36, 0
	s_branch .LBB9_82
.LBB9_45:
	s_mov_b32 s23, -1
	s_mov_b32 s22, 0
	s_mov_b32 s1, 0
                                        ; implicit-def: $vgpr3_vgpr4
	s_branch .LBB9_165
.LBB9_46:
	s_mov_b32 s37, -1
	s_mov_b32 s0, 0
	s_mov_b32 s36, 0
	s_branch .LBB9_65
.LBB9_47:
	s_mov_b32 s23, -1
	s_mov_b32 s22, 0
	s_branch .LBB9_50
.LBB9_48:
	s_mov_b32 s37, -1
	s_mov_b32 s0, 0
	s_mov_b32 s36, 0
	s_branch .LBB9_61
.LBB9_49:
	s_mov_b32 s22, -1
.LBB9_50:
	s_mov_b32 s1, 0
                                        ; implicit-def: $vgpr3_vgpr4
.LBB9_51:
	s_and_b32 vcc_lo, exec_lo, s23
	s_cbranch_vccz .LBB9_164
; %bb.52:
	s_cmp_eq_u32 s0, 44
	s_cbranch_scc0 .LBB9_163
; %bb.53:
	global_load_ubyte v5, v[0:1], off
	s_mov_b32 s22, 0
	s_mov_b32 s1, -1
	s_waitcnt vmcnt(0)
	v_lshlrev_b32_e32 v3, 23, v5
	v_cmp_ne_u32_e32 vcc_lo, 0xff, v5
	v_cvt_f64_f32_e32 v[3:4], v3
	v_cndmask_b32_e32 v3, 0x20000000, v3, vcc_lo
	v_cndmask_b32_e32 v4, 0x7ff80000, v4, vcc_lo
	v_cmp_ne_u32_e32 vcc_lo, 0, v5
	v_cndmask_b32_e32 v4, 0x38000000, v4, vcc_lo
	v_cndmask_b32_e32 v3, 0, v3, vcc_lo
	s_branch .LBB9_164
.LBB9_54:
	s_mov_b32 s37, -1
	s_mov_b32 s0, 0
	s_mov_b32 s36, 0
.LBB9_55:
	s_and_b32 vcc_lo, exec_lo, s37
	s_cbranch_vccz .LBB9_60
; %bb.56:
	s_cmp_eq_u32 s23, 44
	s_mov_b32 s0, -1
	s_cbranch_scc0 .LBB9_60
; %bb.57:
	v_cvt_f32_f64_e32 v2, v[0:1]
	v_mov_b32_e32 v3, 0xff
	s_mov_b32 s36, exec_lo
	v_bfe_u32 v6, v2, 23, 8
	v_cmpx_ne_u32_e32 0xff, v6
	s_cbranch_execz .LBB9_59
; %bb.58:
	v_and_b32_e32 v3, 0x400000, v2
	v_and_or_b32 v6, 0x3fffff, v2, v6
	v_lshrrev_b32_e32 v2, 23, v2
	v_cmp_ne_u32_e32 vcc_lo, 0, v3
	v_cmp_ne_u32_e64 s0, 0, v6
	s_and_b32 s0, vcc_lo, s0
	v_cndmask_b32_e64 v3, 0, 1, s0
	v_add_nc_u32_e32 v3, v2, v3
.LBB9_59:
	s_or_b32 exec_lo, exec_lo, s36
	s_mov_b32 s36, -1
	s_mov_b32 s0, 0
	global_store_byte v[4:5], v3, off
.LBB9_60:
	s_mov_b32 s37, 0
.LBB9_61:
	s_and_b32 vcc_lo, exec_lo, s37
	s_cbranch_vccz .LBB9_64
; %bb.62:
	s_cmp_eq_u32 s23, 29
	s_mov_b32 s0, -1
	s_cbranch_scc0 .LBB9_64
; %bb.63:
	v_trunc_f64_e32 v[2:3], v[0:1]
	s_mov_b32 s36, -1
	s_mov_b32 s0, 0
	s_mov_b32 s37, 0
	v_ldexp_f64 v[6:7], v[2:3], 0xffffffe0
	v_floor_f64_e32 v[6:7], v[6:7]
	v_fma_f64 v[2:3], 0xc1f00000, v[6:7], v[2:3]
	v_cvt_u32_f64_e32 v7, v[6:7]
	v_cvt_u32_f64_e32 v6, v[2:3]
	global_store_dwordx2 v[4:5], v[6:7], off
	s_branch .LBB9_65
.LBB9_64:
	s_mov_b32 s37, 0
.LBB9_65:
	s_and_b32 vcc_lo, exec_lo, s37
	s_cbranch_vccz .LBB9_81
; %bb.66:
	s_cmp_lt_i32 s23, 27
	s_mov_b32 s36, -1
	s_cbranch_scc1 .LBB9_72
; %bb.67:
	v_cvt_u32_f64_e32 v2, v[0:1]
	s_cmp_gt_i32 s23, 27
	s_cbranch_scc0 .LBB9_69
; %bb.68:
	s_mov_b32 s36, 0
	global_store_dword v[4:5], v2, off
.LBB9_69:
	s_andn2_b32 vcc_lo, exec_lo, s36
	s_cbranch_vccnz .LBB9_71
; %bb.70:
	global_store_short v[4:5], v2, off
.LBB9_71:
	s_mov_b32 s36, 0
.LBB9_72:
	s_andn2_b32 vcc_lo, exec_lo, s36
	s_cbranch_vccnz .LBB9_80
; %bb.73:
	v_cvt_f32_f64_e32 v2, v[0:1]
	v_mov_b32_e32 v6, 0x80
	s_mov_b32 s36, exec_lo
	v_and_b32_e32 v3, 0x7fffffff, v2
	v_cmpx_gt_u32_e32 0x43800000, v3
	s_cbranch_execz .LBB9_79
; %bb.74:
	v_cmp_lt_u32_e32 vcc_lo, 0x3bffffff, v3
	s_mov_b32 s37, 0
                                        ; implicit-def: $vgpr3
	s_and_saveexec_b32 s40, vcc_lo
	s_xor_b32 s40, exec_lo, s40
	s_cbranch_execz .LBB9_323
; %bb.75:
	v_bfe_u32 v3, v2, 20, 1
	s_mov_b32 s37, exec_lo
	v_add3_u32 v3, v2, v3, 0x487ffff
	v_lshrrev_b32_e32 v3, 20, v3
	s_andn2_saveexec_b32 s40, s40
	s_cbranch_execnz .LBB9_324
.LBB9_76:
	s_or_b32 exec_lo, exec_lo, s40
	v_mov_b32_e32 v6, 0
	s_and_saveexec_b32 s40, s37
.LBB9_77:
	v_lshrrev_b32_e32 v2, 24, v2
	v_and_or_b32 v6, 0x80, v2, v3
.LBB9_78:
	s_or_b32 exec_lo, exec_lo, s40
.LBB9_79:
	s_or_b32 exec_lo, exec_lo, s36
	global_store_byte v[4:5], v6, off
.LBB9_80:
	s_mov_b32 s36, -1
.LBB9_81:
	s_mov_b32 s37, 0
.LBB9_82:
	s_and_b32 vcc_lo, exec_lo, s37
	s_cbranch_vccz .LBB9_123
; %bb.83:
	s_cmp_gt_i32 s23, 22
	s_mov_b32 s37, -1
	s_cbranch_scc0 .LBB9_115
; %bb.84:
	s_cmp_lt_i32 s23, 24
	s_mov_b32 s36, -1
	s_cbranch_scc1 .LBB9_104
; %bb.85:
	s_cmp_gt_i32 s23, 24
	s_cbranch_scc0 .LBB9_93
; %bb.86:
	v_cvt_f32_f64_e32 v2, v[0:1]
	v_mov_b32_e32 v6, 0x80
	s_mov_b32 s36, exec_lo
	v_and_b32_e32 v3, 0x7fffffff, v2
	v_cmpx_gt_u32_e32 0x47800000, v3
	s_cbranch_execz .LBB9_92
; %bb.87:
	v_cmp_lt_u32_e32 vcc_lo, 0x37ffffff, v3
	s_mov_b32 s37, 0
                                        ; implicit-def: $vgpr3
	s_and_saveexec_b32 s40, vcc_lo
	s_xor_b32 s40, exec_lo, s40
	s_cbranch_execz .LBB9_327
; %bb.88:
	v_bfe_u32 v3, v2, 21, 1
	s_mov_b32 s37, exec_lo
	v_add3_u32 v3, v2, v3, 0x88fffff
	v_lshrrev_b32_e32 v3, 21, v3
	s_andn2_saveexec_b32 s40, s40
	s_cbranch_execnz .LBB9_328
.LBB9_89:
	s_or_b32 exec_lo, exec_lo, s40
	v_mov_b32_e32 v6, 0
	s_and_saveexec_b32 s40, s37
.LBB9_90:
	v_lshrrev_b32_e32 v2, 24, v2
	v_and_or_b32 v6, 0x80, v2, v3
.LBB9_91:
	s_or_b32 exec_lo, exec_lo, s40
.LBB9_92:
	s_or_b32 exec_lo, exec_lo, s36
	s_mov_b32 s36, 0
	global_store_byte v[4:5], v6, off
.LBB9_93:
	s_and_b32 vcc_lo, exec_lo, s36
	s_cbranch_vccz .LBB9_103
; %bb.94:
	v_cvt_f32_f64_e32 v2, v[0:1]
	s_mov_b32 s36, exec_lo
                                        ; implicit-def: $vgpr3
	v_and_b32_e32 v6, 0x7fffffff, v2
	v_cmpx_gt_u32_e32 0x43f00000, v6
	s_xor_b32 s36, exec_lo, s36
	s_cbranch_execz .LBB9_100
; %bb.95:
	s_mov_b32 s37, exec_lo
                                        ; implicit-def: $vgpr3
	v_cmpx_lt_u32_e32 0x3c7fffff, v6
	s_xor_b32 s37, exec_lo, s37
; %bb.96:
	v_bfe_u32 v3, v2, 20, 1
	v_add3_u32 v3, v2, v3, 0x407ffff
	v_and_b32_e32 v6, 0xff00000, v3
	v_lshrrev_b32_e32 v3, 20, v3
	v_cmp_ne_u32_e32 vcc_lo, 0x7f00000, v6
	v_cndmask_b32_e32 v3, 0x7e, v3, vcc_lo
; %bb.97:
	s_andn2_saveexec_b32 s37, s37
; %bb.98:
	v_add_f32_e64 v3, 0x46800000, |v2|
; %bb.99:
	s_or_b32 exec_lo, exec_lo, s37
                                        ; implicit-def: $vgpr6
.LBB9_100:
	s_andn2_saveexec_b32 s36, s36
; %bb.101:
	v_mov_b32_e32 v3, 0x7f
	v_cmp_lt_u32_e32 vcc_lo, 0x7f800000, v6
	v_cndmask_b32_e32 v3, 0x7e, v3, vcc_lo
; %bb.102:
	s_or_b32 exec_lo, exec_lo, s36
	v_lshrrev_b32_e32 v2, 24, v2
	v_and_or_b32 v2, 0x80, v2, v3
	global_store_byte v[4:5], v2, off
.LBB9_103:
	s_mov_b32 s36, 0
.LBB9_104:
	s_andn2_b32 vcc_lo, exec_lo, s36
	s_cbranch_vccnz .LBB9_114
; %bb.105:
	v_cvt_f32_f64_e32 v2, v[0:1]
	s_mov_b32 s36, exec_lo
                                        ; implicit-def: $vgpr3
	v_and_b32_e32 v6, 0x7fffffff, v2
	v_cmpx_gt_u32_e32 0x47800000, v6
	s_xor_b32 s36, exec_lo, s36
	s_cbranch_execz .LBB9_111
; %bb.106:
	s_mov_b32 s37, exec_lo
                                        ; implicit-def: $vgpr3
	v_cmpx_lt_u32_e32 0x387fffff, v6
	s_xor_b32 s37, exec_lo, s37
; %bb.107:
	v_bfe_u32 v3, v2, 21, 1
	v_add3_u32 v3, v2, v3, 0x80fffff
	v_lshrrev_b32_e32 v3, 21, v3
; %bb.108:
	s_andn2_saveexec_b32 s37, s37
; %bb.109:
	v_add_f32_e64 v3, 0x43000000, |v2|
; %bb.110:
	s_or_b32 exec_lo, exec_lo, s37
                                        ; implicit-def: $vgpr6
.LBB9_111:
	s_andn2_saveexec_b32 s36, s36
; %bb.112:
	v_mov_b32_e32 v3, 0x7f
	v_cmp_lt_u32_e32 vcc_lo, 0x7f800000, v6
	v_cndmask_b32_e32 v3, 0x7c, v3, vcc_lo
; %bb.113:
	s_or_b32 exec_lo, exec_lo, s36
	v_lshrrev_b32_e32 v2, 24, v2
	v_and_or_b32 v2, 0x80, v2, v3
	global_store_byte v[4:5], v2, off
.LBB9_114:
	s_mov_b32 s37, 0
	s_mov_b32 s36, -1
.LBB9_115:
	s_andn2_b32 vcc_lo, exec_lo, s37
	s_cbranch_vccnz .LBB9_123
; %bb.116:
	s_cmp_gt_i32 s23, 14
	s_mov_b32 s37, -1
	s_cbranch_scc0 .LBB9_120
; %bb.117:
	s_cmp_eq_u32 s23, 15
	s_mov_b32 s0, -1
	s_cbranch_scc0 .LBB9_119
; %bb.118:
	v_cvt_f32_f64_e32 v2, v[0:1]
	s_mov_b32 s36, -1
	s_mov_b32 s0, 0
	v_bfe_u32 v3, v2, 16, 1
	v_cmp_o_f32_e32 vcc_lo, v2, v2
	v_add3_u32 v2, v2, v3, 0x7fff
	v_mov_b32_e32 v3, 0x7fc0
	v_cndmask_b32_sdwa v2, v3, v2, vcc_lo dst_sel:DWORD dst_unused:UNUSED_PAD src0_sel:DWORD src1_sel:WORD_1
	global_store_short v[4:5], v2, off
.LBB9_119:
	s_mov_b32 s37, 0
.LBB9_120:
	s_and_b32 vcc_lo, exec_lo, s37
	s_cbranch_vccz .LBB9_123
; %bb.121:
	s_cmp_eq_u32 s23, 11
	s_mov_b32 s0, -1
	s_cbranch_scc0 .LBB9_123
; %bb.122:
	v_cmp_neq_f64_e32 vcc_lo, 0, v[0:1]
	s_mov_b32 s36, -1
	s_mov_b32 s0, 0
	v_cndmask_b32_e64 v2, 0, 1, vcc_lo
	global_store_byte v[4:5], v2, off
.LBB9_123:
	s_branch .LBB9_42
.LBB9_124:
	s_and_b32 s1, 0xffff, s1
	s_mov_b32 s23, -1
	s_cmp_lt_i32 s1, 5
	s_cbranch_scc1 .LBB9_145
; %bb.125:
	s_cmp_lt_i32 s1, 8
	s_cbranch_scc1 .LBB9_135
; %bb.126:
	;; [unrolled: 3-line block ×3, first 2 shown]
	s_cmp_gt_i32 s1, 9
	s_cbranch_scc0 .LBB9_129
; %bb.128:
	v_mov_b32_e32 v2, 0
	s_mov_b32 s23, 0
	v_mov_b32_e32 v3, v2
	global_store_dwordx4 v[4:5], v[0:3], off
.LBB9_129:
	s_andn2_b32 vcc_lo, exec_lo, s23
	s_cbranch_vccnz .LBB9_131
; %bb.130:
	v_cvt_f32_f64_e32 v2, v[0:1]
	v_mov_b32_e32 v3, 0
	global_store_dwordx2 v[4:5], v[2:3], off
.LBB9_131:
	s_mov_b32 s23, 0
.LBB9_132:
	s_andn2_b32 vcc_lo, exec_lo, s23
	s_cbranch_vccnz .LBB9_134
; %bb.133:
	v_and_or_b32 v2, 0x1ff, v1, v0
	v_lshrrev_b32_e32 v3, 8, v1
	v_bfe_u32 v6, v1, 20, 11
	v_cmp_ne_u32_e32 vcc_lo, 0, v2
	v_sub_nc_u32_e32 v7, 0x3f1, v6
	v_add_nc_u32_e32 v6, 0xfffffc10, v6
	v_cndmask_b32_e64 v2, 0, 1, vcc_lo
	v_and_or_b32 v2, 0xffe, v3, v2
	v_med3_i32 v3, v7, 0, 13
	v_or_b32_e32 v7, 0x1000, v2
	v_lshrrev_b32_e32 v9, v3, v7
	v_lshlrev_b32_e32 v3, v3, v9
	v_cmp_ne_u32_e32 vcc_lo, v3, v7
	v_lshl_or_b32 v7, v6, 12, v2
	v_cndmask_b32_e64 v3, 0, 1, vcc_lo
	v_cmp_gt_i32_e32 vcc_lo, 1, v6
	v_or_b32_e32 v3, v9, v3
	v_cndmask_b32_e32 v3, v7, v3, vcc_lo
	v_and_b32_e32 v7, 7, v3
	v_lshrrev_b32_e32 v3, 2, v3
	v_cmp_lt_i32_e32 vcc_lo, 5, v7
	v_cndmask_b32_e64 v9, 0, 1, vcc_lo
	v_cmp_eq_u32_e32 vcc_lo, 3, v7
	v_cndmask_b32_e64 v7, 0, 1, vcc_lo
	v_cmp_ne_u32_e32 vcc_lo, 0, v2
	v_or_b32_e32 v7, v7, v9
	v_mov_b32_e32 v9, 0x7e00
	v_add_nc_u32_e32 v3, v3, v7
	v_cndmask_b32_e32 v2, 0x7c00, v9, vcc_lo
	v_cmp_gt_i32_e32 vcc_lo, 31, v6
	v_cndmask_b32_e32 v3, 0x7c00, v3, vcc_lo
	v_cmp_eq_u32_e32 vcc_lo, 0x40f, v6
	v_cndmask_b32_e32 v2, v3, v2, vcc_lo
	v_lshrrev_b32_e32 v3, 16, v1
	v_and_or_b32 v2, 0x8000, v3, v2
	v_and_b32_e32 v2, 0xffff, v2
	global_store_dword v[4:5], v2, off
.LBB9_134:
	s_mov_b32 s23, 0
.LBB9_135:
	s_andn2_b32 vcc_lo, exec_lo, s23
	s_cbranch_vccnz .LBB9_144
; %bb.136:
	s_cmp_lt_i32 s1, 6
	s_mov_b32 s23, -1
	s_cbranch_scc1 .LBB9_142
; %bb.137:
	s_cmp_gt_i32 s1, 6
	s_cbranch_scc0 .LBB9_139
; %bb.138:
	s_mov_b32 s23, 0
	global_store_dwordx2 v[4:5], v[0:1], off
.LBB9_139:
	s_andn2_b32 vcc_lo, exec_lo, s23
	s_cbranch_vccnz .LBB9_141
; %bb.140:
	v_cvt_f32_f64_e32 v2, v[0:1]
	global_store_dword v[4:5], v2, off
.LBB9_141:
	s_mov_b32 s23, 0
.LBB9_142:
	s_andn2_b32 vcc_lo, exec_lo, s23
	s_cbranch_vccnz .LBB9_144
; %bb.143:
	v_and_or_b32 v2, 0x1ff, v1, v0
	v_lshrrev_b32_e32 v3, 8, v1
	v_bfe_u32 v6, v1, 20, 11
	v_cmp_ne_u32_e32 vcc_lo, 0, v2
	v_sub_nc_u32_e32 v7, 0x3f1, v6
	v_add_nc_u32_e32 v6, 0xfffffc10, v6
	v_cndmask_b32_e64 v2, 0, 1, vcc_lo
	v_and_or_b32 v2, 0xffe, v3, v2
	v_med3_i32 v3, v7, 0, 13
	v_or_b32_e32 v7, 0x1000, v2
	v_lshrrev_b32_e32 v9, v3, v7
	v_lshlrev_b32_e32 v3, v3, v9
	v_cmp_ne_u32_e32 vcc_lo, v3, v7
	v_lshl_or_b32 v7, v6, 12, v2
	v_cndmask_b32_e64 v3, 0, 1, vcc_lo
	v_cmp_gt_i32_e32 vcc_lo, 1, v6
	v_or_b32_e32 v3, v9, v3
	v_cndmask_b32_e32 v3, v7, v3, vcc_lo
	v_and_b32_e32 v7, 7, v3
	v_lshrrev_b32_e32 v3, 2, v3
	v_cmp_lt_i32_e32 vcc_lo, 5, v7
	v_cndmask_b32_e64 v9, 0, 1, vcc_lo
	v_cmp_eq_u32_e32 vcc_lo, 3, v7
	v_cndmask_b32_e64 v7, 0, 1, vcc_lo
	v_cmp_ne_u32_e32 vcc_lo, 0, v2
	v_or_b32_e32 v7, v7, v9
	v_mov_b32_e32 v9, 0x7e00
	v_add_nc_u32_e32 v3, v3, v7
	v_cndmask_b32_e32 v2, 0x7c00, v9, vcc_lo
	v_cmp_gt_i32_e32 vcc_lo, 31, v6
	v_cndmask_b32_e32 v3, 0x7c00, v3, vcc_lo
	v_cmp_eq_u32_e32 vcc_lo, 0x40f, v6
	v_cndmask_b32_e32 v2, v3, v2, vcc_lo
	v_lshrrev_b32_e32 v3, 16, v1
	v_and_or_b32 v2, 0x8000, v3, v2
	global_store_short v[4:5], v2, off
.LBB9_144:
	s_mov_b32 s23, 0
.LBB9_145:
	s_andn2_b32 vcc_lo, exec_lo, s23
	s_cbranch_vccnz .LBB9_161
; %bb.146:
	s_cmp_lt_i32 s1, 2
	s_mov_b32 s23, -1
	s_cbranch_scc1 .LBB9_156
; %bb.147:
	s_cmp_lt_i32 s1, 3
	s_cbranch_scc1 .LBB9_153
; %bb.148:
	s_cmp_gt_i32 s1, 3
	s_cbranch_scc0 .LBB9_150
; %bb.149:
	v_trunc_f64_e32 v[2:3], v[0:1]
	s_mov_b32 s23, 0
	v_ldexp_f64 v[6:7], v[2:3], 0xffffffe0
	v_floor_f64_e32 v[6:7], v[6:7]
	v_fma_f64 v[2:3], 0xc1f00000, v[6:7], v[2:3]
	v_cvt_i32_f64_e32 v7, v[6:7]
	v_cvt_u32_f64_e32 v6, v[2:3]
	global_store_dwordx2 v[4:5], v[6:7], off
.LBB9_150:
	s_andn2_b32 vcc_lo, exec_lo, s23
	s_cbranch_vccnz .LBB9_152
; %bb.151:
	v_cvt_i32_f64_e32 v2, v[0:1]
	global_store_dword v[4:5], v2, off
.LBB9_152:
	s_mov_b32 s23, 0
.LBB9_153:
	s_andn2_b32 vcc_lo, exec_lo, s23
	s_cbranch_vccnz .LBB9_155
; %bb.154:
	v_cvt_i32_f64_e32 v2, v[0:1]
	global_store_short v[4:5], v2, off
.LBB9_155:
	s_mov_b32 s23, 0
.LBB9_156:
	s_andn2_b32 vcc_lo, exec_lo, s23
	s_cbranch_vccnz .LBB9_161
; %bb.157:
	s_cmp_gt_i32 s1, 0
	s_mov_b32 s1, -1
	s_cbranch_scc0 .LBB9_159
; %bb.158:
	v_cvt_i32_f64_e32 v2, v[0:1]
	s_mov_b32 s1, 0
	global_store_byte v[4:5], v2, off
.LBB9_159:
	s_andn2_b32 vcc_lo, exec_lo, s1
	s_cbranch_vccnz .LBB9_161
; %bb.160:
	v_trunc_f64_e32 v[0:1], v[0:1]
	v_ldexp_f64 v[2:3], v[0:1], 0xffffffe0
	v_floor_f64_e32 v[2:3], v[2:3]
	v_fma_f64 v[0:1], 0xc1f00000, v[2:3], v[0:1]
	v_cvt_u32_f64_e32 v0, v[0:1]
	global_store_byte v[4:5], v0, off
.LBB9_161:
.LBB9_162:
	v_add_nc_u32_e32 v8, 0x80, v8
	s_mov_b32 s1, -1
	s_branch .LBB9_273
.LBB9_163:
	s_mov_b32 s22, -1
                                        ; implicit-def: $vgpr3_vgpr4
.LBB9_164:
	s_mov_b32 s23, 0
.LBB9_165:
	s_and_b32 vcc_lo, exec_lo, s23
	s_cbranch_vccz .LBB9_169
; %bb.166:
	s_cmp_eq_u32 s0, 29
	s_cbranch_scc0 .LBB9_168
; %bb.167:
	global_load_dwordx2 v[3:4], v[0:1], off
	s_mov_b32 s1, -1
	s_mov_b32 s22, 0
	s_mov_b32 s23, 0
	s_waitcnt vmcnt(0)
	v_cvt_f64_u32_e32 v[4:5], v4
	v_cvt_f64_u32_e32 v[6:7], v3
	v_ldexp_f64 v[4:5], v[4:5], 32
	v_add_f64 v[3:4], v[4:5], v[6:7]
	s_branch .LBB9_170
.LBB9_168:
	s_mov_b32 s22, -1
                                        ; implicit-def: $vgpr3_vgpr4
.LBB9_169:
	s_mov_b32 s23, 0
.LBB9_170:
	s_and_b32 vcc_lo, exec_lo, s23
	s_cbranch_vccz .LBB9_190
; %bb.171:
	s_cmp_lt_i32 s0, 27
	s_cbranch_scc1 .LBB9_174
; %bb.172:
	s_cmp_gt_i32 s0, 27
	s_cbranch_scc0 .LBB9_175
; %bb.173:
	global_load_dword v3, v[0:1], off
	s_mov_b32 s1, 0
	s_waitcnt vmcnt(0)
	v_cvt_f64_u32_e32 v[3:4], v3
	s_branch .LBB9_176
.LBB9_174:
	s_mov_b32 s1, -1
                                        ; implicit-def: $vgpr3_vgpr4
	s_branch .LBB9_179
.LBB9_175:
	s_mov_b32 s1, -1
                                        ; implicit-def: $vgpr3_vgpr4
.LBB9_176:
	s_andn2_b32 vcc_lo, exec_lo, s1
	s_cbranch_vccnz .LBB9_178
; %bb.177:
	global_load_ushort v3, v[0:1], off
	s_waitcnt vmcnt(0)
	v_cvt_f64_u32_e32 v[3:4], v3
.LBB9_178:
	s_mov_b32 s1, 0
.LBB9_179:
	s_andn2_b32 vcc_lo, exec_lo, s1
	s_cbranch_vccnz .LBB9_189
; %bb.180:
	global_load_ubyte v5, v[0:1], off
	s_mov_b32 s1, 0
	s_mov_b32 s23, exec_lo
	s_waitcnt vmcnt(0)
	v_cmpx_lt_i16_e32 0x7f, v5
	s_xor_b32 s23, exec_lo, s23
	s_cbranch_execz .LBB9_184
; %bb.181:
	s_mov_b32 s1, -1
	s_mov_b32 s36, exec_lo
	v_cmpx_eq_u16_e32 0x80, v5
; %bb.182:
	s_xor_b32 s1, exec_lo, -1
; %bb.183:
	s_or_b32 exec_lo, exec_lo, s36
	s_and_b32 s1, s1, exec_lo
.LBB9_184:
	s_or_saveexec_b32 s23, s23
	v_bfrev_b32_e32 v3, 4
	v_mov_b32_e32 v4, 0x7ff80000
	s_xor_b32 exec_lo, exec_lo, s23
; %bb.185:
	v_cmp_ne_u16_e32 vcc_lo, 0, v5
	v_mov_b32_e32 v3, 0
	v_mov_b32_e32 v4, 0
	s_andn2_b32 s1, s1, exec_lo
	s_and_b32 s36, vcc_lo, exec_lo
	s_or_b32 s1, s1, s36
; %bb.186:
	s_or_b32 exec_lo, exec_lo, s23
	s_and_saveexec_b32 s23, s1
	s_cbranch_execz .LBB9_188
; %bb.187:
	v_and_b32_e32 v3, 0xffff, v5
	v_lshlrev_b32_e32 v5, 24, v5
	v_and_b32_e32 v4, 7, v3
	v_bfe_u32 v9, v3, 3, 4
	v_ffbh_u32_e32 v6, v4
	v_cmp_eq_u32_e32 vcc_lo, 0, v9
	v_min_u32_e32 v6, 32, v6
	v_subrev_nc_u32_e32 v7, 28, v6
	v_sub_nc_u32_e32 v6, 29, v6
	v_lshlrev_b32_e32 v3, v7, v3
	v_cndmask_b32_e32 v6, v9, v6, vcc_lo
	v_and_b32_e32 v3, 7, v3
	v_cndmask_b32_e32 v3, v4, v3, vcc_lo
	v_and_b32_e32 v4, 0x80000000, v5
	v_lshl_add_u32 v5, v6, 23, 0x3b800000
	v_lshlrev_b32_e32 v3, 20, v3
	v_or3_b32 v3, v4, v5, v3
	v_cvt_f64_f32_e32 v[3:4], v3
.LBB9_188:
	s_or_b32 exec_lo, exec_lo, s23
.LBB9_189:
	s_mov_b32 s1, -1
.LBB9_190:
	s_branch .LBB9_223
.LBB9_191:
	s_cmp_gt_i32 s0, 22
	s_cbranch_scc0 .LBB9_203
; %bb.192:
	s_cmp_lt_i32 s0, 24
	s_cbranch_scc1 .LBB9_204
; %bb.193:
	s_cmp_gt_i32 s0, 24
	s_cbranch_scc0 .LBB9_205
; %bb.194:
	global_load_ubyte v5, v[0:1], off
	s_mov_b32 s1, 0
	s_mov_b32 s23, exec_lo
	s_waitcnt vmcnt(0)
	v_cmpx_lt_i16_e32 0x7f, v5
	s_xor_b32 s23, exec_lo, s23
	s_cbranch_execz .LBB9_198
; %bb.195:
	s_mov_b32 s1, -1
	s_mov_b32 s36, exec_lo
	v_cmpx_eq_u16_e32 0x80, v5
; %bb.196:
	s_xor_b32 s1, exec_lo, -1
; %bb.197:
	s_or_b32 exec_lo, exec_lo, s36
	s_and_b32 s1, s1, exec_lo
.LBB9_198:
	s_or_saveexec_b32 s23, s23
	v_bfrev_b32_e32 v3, 4
	v_mov_b32_e32 v4, 0x7ff80000
	s_xor_b32 exec_lo, exec_lo, s23
; %bb.199:
	v_cmp_ne_u16_e32 vcc_lo, 0, v5
	v_mov_b32_e32 v3, 0
	v_mov_b32_e32 v4, 0
	s_andn2_b32 s1, s1, exec_lo
	s_and_b32 s36, vcc_lo, exec_lo
	s_or_b32 s1, s1, s36
; %bb.200:
	s_or_b32 exec_lo, exec_lo, s23
	s_and_saveexec_b32 s23, s1
	s_cbranch_execz .LBB9_202
; %bb.201:
	v_and_b32_e32 v3, 0xffff, v5
	v_lshlrev_b32_e32 v5, 24, v5
	v_and_b32_e32 v4, 3, v3
	v_bfe_u32 v9, v3, 2, 5
	v_ffbh_u32_e32 v6, v4
	v_cmp_eq_u32_e32 vcc_lo, 0, v9
	v_min_u32_e32 v6, 32, v6
	v_subrev_nc_u32_e32 v7, 29, v6
	v_sub_nc_u32_e32 v6, 30, v6
	v_lshlrev_b32_e32 v3, v7, v3
	v_cndmask_b32_e32 v6, v9, v6, vcc_lo
	v_and_b32_e32 v3, 3, v3
	v_cndmask_b32_e32 v3, v4, v3, vcc_lo
	v_and_b32_e32 v4, 0x80000000, v5
	v_lshl_add_u32 v5, v6, 23, 0x37800000
	v_lshlrev_b32_e32 v3, 21, v3
	v_or3_b32 v3, v4, v5, v3
	v_cvt_f64_f32_e32 v[3:4], v3
.LBB9_202:
	s_or_b32 exec_lo, exec_lo, s23
	s_mov_b32 s1, 0
	s_branch .LBB9_206
.LBB9_203:
	s_mov_b32 s23, -1
                                        ; implicit-def: $vgpr3_vgpr4
	s_branch .LBB9_212
.LBB9_204:
	s_mov_b32 s1, -1
                                        ; implicit-def: $vgpr3_vgpr4
	s_branch .LBB9_209
.LBB9_205:
	s_mov_b32 s1, -1
                                        ; implicit-def: $vgpr3_vgpr4
.LBB9_206:
	s_and_b32 vcc_lo, exec_lo, s1
	s_cbranch_vccz .LBB9_208
; %bb.207:
	global_load_ubyte v3, v[0:1], off
	s_waitcnt vmcnt(0)
	v_lshlrev_b32_e32 v3, 24, v3
	v_and_b32_e32 v4, 0x7f000000, v3
	v_ffbh_u32_e32 v5, v4
	v_add_nc_u32_e32 v7, 0x1000000, v4
	v_cmp_ne_u32_e32 vcc_lo, 0, v4
	v_min_u32_e32 v5, 32, v5
	v_sub_nc_u32_e64 v5, v5, 4 clamp
	v_lshlrev_b32_e32 v6, v5, v4
	v_lshlrev_b32_e32 v5, 23, v5
	v_lshrrev_b32_e32 v6, 4, v6
	v_sub_nc_u32_e32 v5, v6, v5
	v_ashrrev_i32_e32 v6, 8, v7
	v_add_nc_u32_e32 v5, 0x3c000000, v5
	v_and_or_b32 v5, 0x7f800000, v6, v5
	v_cndmask_b32_e32 v4, 0, v5, vcc_lo
	v_and_or_b32 v3, 0x80000000, v3, v4
	v_cvt_f64_f32_e32 v[3:4], v3
.LBB9_208:
	s_mov_b32 s1, 0
.LBB9_209:
	s_andn2_b32 vcc_lo, exec_lo, s1
	s_cbranch_vccnz .LBB9_211
; %bb.210:
	global_load_ubyte v3, v[0:1], off
	s_waitcnt vmcnt(0)
	v_lshlrev_b32_e32 v4, 25, v3
	v_lshlrev_b16 v3, 8, v3
	v_lshrrev_b32_e32 v5, 4, v4
	v_and_or_b32 v6, 0x7f00, v3, 0.5
	v_cmp_gt_u32_e32 vcc_lo, 0x8000000, v4
	v_bfe_i32 v3, v3, 0, 16
	v_or_b32_e32 v5, 0x70000000, v5
	v_add_f32_e32 v6, -0.5, v6
	v_mul_f32_e32 v5, 0x7800000, v5
	v_cndmask_b32_e32 v4, v5, v6, vcc_lo
	v_and_or_b32 v3, 0x80000000, v3, v4
	v_cvt_f64_f32_e32 v[3:4], v3
.LBB9_211:
	s_mov_b32 s23, 0
	s_mov_b32 s1, -1
.LBB9_212:
	s_andn2_b32 vcc_lo, exec_lo, s23
	s_cbranch_vccnz .LBB9_223
; %bb.213:
	s_cmp_gt_i32 s0, 14
	s_cbranch_scc0 .LBB9_216
; %bb.214:
	s_cmp_eq_u32 s0, 15
	s_cbranch_scc0 .LBB9_217
; %bb.215:
	global_load_ushort v3, v[0:1], off
	s_mov_b32 s1, -1
	s_mov_b32 s22, 0
	s_waitcnt vmcnt(0)
	v_lshlrev_b32_e32 v3, 16, v3
	v_cvt_f64_f32_e32 v[3:4], v3
	s_branch .LBB9_218
.LBB9_216:
	s_mov_b32 s23, -1
                                        ; implicit-def: $vgpr3_vgpr4
	s_branch .LBB9_219
.LBB9_217:
	s_mov_b32 s22, -1
                                        ; implicit-def: $vgpr3_vgpr4
.LBB9_218:
	s_mov_b32 s23, 0
.LBB9_219:
	s_and_b32 vcc_lo, exec_lo, s23
	s_cbranch_vccz .LBB9_223
; %bb.220:
	s_cmp_eq_u32 s0, 11
	s_cbranch_scc0 .LBB9_222
; %bb.221:
	global_load_ubyte v3, v[0:1], off
	s_mov_b32 s22, 0
	s_mov_b32 s1, -1
	s_waitcnt vmcnt(0)
	v_cmp_ne_u16_e32 vcc_lo, 0, v3
	v_mov_b32_e32 v3, 0
	v_cndmask_b32_e64 v4, 0, 0x3ff00000, vcc_lo
	s_branch .LBB9_223
.LBB9_222:
	s_mov_b32 s22, -1
                                        ; implicit-def: $vgpr3_vgpr4
.LBB9_223:
	s_branch .LBB9_24
.LBB9_224:
	s_cmp_lt_i32 s0, 5
	s_cbranch_scc1 .LBB9_229
; %bb.225:
	s_cmp_lt_i32 s0, 8
	s_cbranch_scc1 .LBB9_230
; %bb.226:
	;; [unrolled: 3-line block ×3, first 2 shown]
	s_cmp_gt_i32 s0, 9
	s_cbranch_scc0 .LBB9_232
; %bb.228:
	global_load_dwordx2 v[3:4], v[0:1], off
	s_mov_b32 s1, 0
	s_branch .LBB9_233
.LBB9_229:
                                        ; implicit-def: $vgpr3_vgpr4
	s_branch .LBB9_251
.LBB9_230:
	s_mov_b32 s1, -1
                                        ; implicit-def: $vgpr3_vgpr4
	s_branch .LBB9_239
.LBB9_231:
	s_mov_b32 s1, -1
                                        ; implicit-def: $vgpr3_vgpr4
	s_branch .LBB9_236
.LBB9_232:
	s_mov_b32 s1, -1
                                        ; implicit-def: $vgpr3_vgpr4
.LBB9_233:
	s_andn2_b32 vcc_lo, exec_lo, s1
	s_cbranch_vccnz .LBB9_235
; %bb.234:
	global_load_dword v3, v[0:1], off
	s_waitcnt vmcnt(0)
	v_cvt_f64_f32_e32 v[3:4], v3
.LBB9_235:
	s_mov_b32 s1, 0
.LBB9_236:
	s_andn2_b32 vcc_lo, exec_lo, s1
	s_cbranch_vccnz .LBB9_238
; %bb.237:
	global_load_dword v3, v[0:1], off
	s_waitcnt vmcnt(0)
	v_cvt_f32_f16_e32 v3, v3
	v_cvt_f64_f32_e32 v[3:4], v3
.LBB9_238:
	s_mov_b32 s1, 0
.LBB9_239:
	s_andn2_b32 vcc_lo, exec_lo, s1
	s_cbranch_vccnz .LBB9_250
; %bb.240:
	s_cmp_lt_i32 s0, 6
	s_cbranch_scc1 .LBB9_243
; %bb.241:
	s_cmp_gt_i32 s0, 6
	s_cbranch_scc0 .LBB9_244
; %bb.242:
	global_load_dwordx2 v[3:4], v[0:1], off
	s_mov_b32 s1, 0
	s_branch .LBB9_245
.LBB9_243:
	s_mov_b32 s1, -1
                                        ; implicit-def: $vgpr3_vgpr4
	s_branch .LBB9_248
.LBB9_244:
	s_mov_b32 s1, -1
                                        ; implicit-def: $vgpr3_vgpr4
.LBB9_245:
	s_andn2_b32 vcc_lo, exec_lo, s1
	s_cbranch_vccnz .LBB9_247
; %bb.246:
	global_load_dword v3, v[0:1], off
	s_waitcnt vmcnt(0)
	v_cvt_f64_f32_e32 v[3:4], v3
.LBB9_247:
	s_mov_b32 s1, 0
.LBB9_248:
	s_andn2_b32 vcc_lo, exec_lo, s1
	s_cbranch_vccnz .LBB9_250
; %bb.249:
	global_load_ushort v3, v[0:1], off
	s_waitcnt vmcnt(0)
	v_cvt_f32_f16_e32 v3, v3
	v_cvt_f64_f32_e32 v[3:4], v3
.LBB9_250:
	s_cbranch_execnz .LBB9_270
.LBB9_251:
	s_cmp_lt_i32 s0, 2
	s_cbranch_scc1 .LBB9_255
; %bb.252:
	s_cmp_lt_i32 s0, 3
	s_cbranch_scc1 .LBB9_256
; %bb.253:
	s_cmp_gt_i32 s0, 3
	s_cbranch_scc0 .LBB9_257
; %bb.254:
	global_load_dwordx2 v[3:4], v[0:1], off
	s_mov_b32 s1, 0
	s_waitcnt vmcnt(0)
	v_cvt_f64_i32_e32 v[4:5], v4
	v_cvt_f64_u32_e32 v[6:7], v3
	v_ldexp_f64 v[4:5], v[4:5], 32
	v_add_f64 v[3:4], v[4:5], v[6:7]
	s_branch .LBB9_258
.LBB9_255:
	s_mov_b32 s1, -1
                                        ; implicit-def: $vgpr3_vgpr4
	s_branch .LBB9_264
.LBB9_256:
	s_mov_b32 s1, -1
                                        ; implicit-def: $vgpr3_vgpr4
	s_branch .LBB9_261
.LBB9_257:
	s_mov_b32 s1, -1
                                        ; implicit-def: $vgpr3_vgpr4
.LBB9_258:
	s_andn2_b32 vcc_lo, exec_lo, s1
	s_cbranch_vccnz .LBB9_260
; %bb.259:
	global_load_dword v3, v[0:1], off
	s_waitcnt vmcnt(0)
	v_cvt_f64_i32_e32 v[3:4], v3
.LBB9_260:
	s_mov_b32 s1, 0
.LBB9_261:
	s_andn2_b32 vcc_lo, exec_lo, s1
	s_cbranch_vccnz .LBB9_263
; %bb.262:
	global_load_sshort v3, v[0:1], off
	s_waitcnt vmcnt(0)
	v_cvt_f64_i32_e32 v[3:4], v3
.LBB9_263:
	s_mov_b32 s1, 0
.LBB9_264:
	s_andn2_b32 vcc_lo, exec_lo, s1
	s_cbranch_vccnz .LBB9_270
; %bb.265:
	s_cmp_gt_i32 s0, 0
	s_mov_b32 s0, 0
	s_cbranch_scc0 .LBB9_267
; %bb.266:
	global_load_sbyte v3, v[0:1], off
	s_waitcnt vmcnt(0)
	v_cvt_f64_i32_e32 v[3:4], v3
	s_branch .LBB9_268
.LBB9_267:
	s_mov_b32 s0, -1
                                        ; implicit-def: $vgpr3_vgpr4
.LBB9_268:
	s_andn2_b32 vcc_lo, exec_lo, s0
	s_cbranch_vccnz .LBB9_270
; %bb.269:
	global_load_ubyte v0, v[0:1], off
	s_waitcnt vmcnt(0)
	v_cvt_f64_u32_e32 v[3:4], v0
.LBB9_270:
	s_branch .LBB9_25
.LBB9_271:
	s_mov_b32 s0, 0
.LBB9_272:
	s_mov_b32 s1, 0
                                        ; implicit-def: $vgpr8
.LBB9_273:
	s_and_b32 s36, s0, exec_lo
	s_and_b32 s37, s22, exec_lo
	s_orn2_b32 s1, s1, exec_lo
.LBB9_274:
	s_or_b32 exec_lo, exec_lo, s38
	s_mov_b32 s22, 0
	s_mov_b32 s0, 0
                                        ; implicit-def: $vgpr0_vgpr1
                                        ; implicit-def: $vgpr2
                                        ; implicit-def: $vgpr3_vgpr4
	s_and_saveexec_b32 s38, s1
	s_cbranch_execz .LBB9_281
; %bb.275:
	s_mov_b32 s0, -1
	s_mov_b32 s39, s37
	s_mov_b32 s40, s36
	s_mov_b32 s41, exec_lo
	v_cmpx_gt_i32_e64 s33, v8
	s_cbranch_execz .LBB9_559
; %bb.276:
	s_andn2_b32 vcc_lo, exec_lo, s27
	s_cbranch_vccnz .LBB9_284
; %bb.277:
	s_andn2_b32 vcc_lo, exec_lo, s34
	s_cbranch_vccnz .LBB9_285
; %bb.278:
	s_add_i32 s40, s35, 1
	s_cmp_eq_u32 s25, 2
	s_cbranch_scc1 .LBB9_286
; %bb.279:
	v_mov_b32_e32 v0, 0
	v_mov_b32_e32 v2, 0
	;; [unrolled: 1-line block ×3, first 2 shown]
	s_and_b32 s39, s40, 28
	s_mov_b32 s42, 0
	s_mov_b64 s[0:1], s[2:3]
	s_mov_b64 s[22:23], s[20:21]
.LBB9_280:                              ; =>This Inner Loop Header: Depth=1
	s_clause 0x1
	s_load_dwordx8 s[44:51], s[0:1], 0x4
	s_load_dwordx4 s[60:63], s[0:1], 0x24
	s_load_dwordx8 s[52:59], s[22:23], 0x0
	s_add_u32 s0, s0, 48
	s_addc_u32 s1, s1, 0
	s_add_i32 s42, s42, 4
	s_add_u32 s22, s22, 32
	s_addc_u32 s23, s23, 0
	s_cmp_eq_u32 s39, s42
	s_waitcnt vmcnt(0) lgkmcnt(0)
	v_mul_hi_u32 v3, s45, v1
	v_add_nc_u32_e32 v3, v1, v3
	v_lshrrev_b32_e32 v3, s46, v3
	v_mul_hi_u32 v4, s48, v3
	v_mul_lo_u32 v6, v3, s44
	v_add_nc_u32_e32 v4, v3, v4
	v_sub_nc_u32_e32 v1, v1, v6
	v_lshrrev_b32_e32 v4, s49, v4
	v_mul_lo_u32 v6, v1, s52
	v_mul_lo_u32 v9, v1, s53
	v_mul_hi_u32 v5, s51, v4
	v_add_nc_u32_e32 v5, v4, v5
	v_lshrrev_b32_e32 v5, s60, v5
	v_mul_hi_u32 v7, s62, v5
	v_mul_lo_u32 v10, v5, s50
	v_add_nc_u32_e32 v1, v5, v7
	v_mul_lo_u32 v7, v4, s47
	v_sub_nc_u32_e32 v4, v4, v10
	v_lshrrev_b32_e32 v1, s63, v1
	v_mul_lo_u32 v10, v4, s56
	v_mul_lo_u32 v4, v4, s57
	v_sub_nc_u32_e32 v3, v3, v7
	v_mul_lo_u32 v11, v1, s61
	v_mul_lo_u32 v7, v3, s54
	;; [unrolled: 1-line block ×3, first 2 shown]
	v_sub_nc_u32_e32 v5, v5, v11
	v_add3_u32 v2, v6, v2, v7
	v_mul_lo_u32 v11, v5, s58
	v_mul_lo_u32 v5, v5, s59
	v_add3_u32 v0, v9, v0, v3
	v_add3_u32 v2, v10, v2, v11
	;; [unrolled: 1-line block ×3, first 2 shown]
	s_cbranch_scc0 .LBB9_280
	s_branch .LBB9_287
.LBB9_281:
	s_or_b32 exec_lo, exec_lo, s38
	s_waitcnt lgkmcnt(0)
	s_mov_b32 s6, 0
	s_and_saveexec_b32 s1, s37
	s_cbranch_execnz .LBB9_945
.LBB9_282:
	s_or_b32 exec_lo, exec_lo, s1
	s_and_saveexec_b32 s1, s39
	s_xor_b32 s1, exec_lo, s1
	s_cbranch_execz .LBB9_946
.LBB9_283:
	global_load_ubyte v3, v[0:1], off
	s_or_b32 s0, s0, exec_lo
	s_waitcnt vmcnt(0)
	v_cmp_ne_u16_e32 vcc_lo, 0, v3
	v_mov_b32_e32 v3, 0
	v_cndmask_b32_e64 v4, 0, 0x3ff00000, vcc_lo
	s_or_b32 exec_lo, exec_lo, s1
	s_and_saveexec_b32 s1, s22
	s_cbranch_execz .LBB9_992
	s_branch .LBB9_947
.LBB9_284:
                                        ; implicit-def: $vgpr2
                                        ; implicit-def: $vgpr0
	s_andn2_b32 vcc_lo, exec_lo, s0
	s_cbranch_vccz .LBB9_291
	s_branch .LBB9_293
.LBB9_285:
	v_mov_b32_e32 v2, 0
	v_mov_b32_e32 v0, 0
	s_branch .LBB9_290
.LBB9_286:
	v_mov_b32_e32 v2, 0
	v_mov_b32_e32 v0, 0
	;; [unrolled: 1-line block ×3, first 2 shown]
	s_mov_b32 s39, 0
.LBB9_287:
	s_and_b32 s40, s40, 3
	s_cmp_eq_u32 s40, 0
	s_cbranch_scc1 .LBB9_290
; %bb.288:
	s_lshl_b32 s0, s39, 3
	s_mul_i32 s22, s39, 12
	s_add_u32 s0, s2, s0
	s_addc_u32 s1, s3, 0
	s_add_u32 s0, s0, 0xc4
	s_addc_u32 s1, s1, 0
	;; [unrolled: 2-line block ×3, first 2 shown]
	.p2align	6
.LBB9_289:                              ; =>This Inner Loop Header: Depth=1
	s_clause 0x1
	s_load_dwordx2 s[42:43], s[22:23], 0x4
	s_load_dword s39, s[22:23], 0xc
	s_load_dwordx2 s[44:45], s[0:1], 0x0
	s_add_u32 s22, s22, 12
	s_addc_u32 s23, s23, 0
	s_add_u32 s0, s0, 8
	s_addc_u32 s1, s1, 0
	s_add_i32 s40, s40, -1
	s_cmp_lg_u32 s40, 0
	s_waitcnt vmcnt(0) lgkmcnt(0)
	v_mul_hi_u32 v3, s43, v1
	v_add_nc_u32_e32 v3, v1, v3
	v_lshrrev_b32_e32 v4, s39, v3
	v_mul_lo_u32 v3, v4, s42
	v_sub_nc_u32_e32 v1, v1, v3
	v_mad_u64_u32 v[2:3], null, v1, s44, v[2:3]
	v_mad_u64_u32 v[0:1], null, v1, s45, v[0:1]
	v_mov_b32_e32 v1, v4
	s_cbranch_scc1 .LBB9_289
.LBB9_290:
	s_cbranch_execnz .LBB9_293
.LBB9_291:
	s_waitcnt lgkmcnt(0)
	v_mul_hi_u32 v0, s17, v8
	s_andn2_b32 vcc_lo, exec_lo, s31
	v_add_nc_u32_e32 v0, v8, v0
	v_lshrrev_b32_e32 v1, s18, v0
	v_mul_lo_u32 v0, v1, s16
	v_sub_nc_u32_e32 v0, v8, v0
	v_mul_lo_u32 v2, v0, s12
	v_mul_lo_u32 v0, v0, s13
	s_cbranch_vccnz .LBB9_293
; %bb.292:
	s_waitcnt vmcnt(0)
	v_mul_hi_u32 v3, s6, v1
	v_add_nc_u32_e32 v3, v1, v3
	v_lshrrev_b32_e32 v3, s7, v3
	v_mul_lo_u32 v3, v3, s19
	v_sub_nc_u32_e32 v1, v1, v3
	v_mad_u64_u32 v[2:3], null, v1, s14, v[2:3]
	v_mad_u64_u32 v[0:1], null, v1, s15, v[0:1]
.LBB9_293:
	s_waitcnt lgkmcnt(0)
	v_add_co_u32 v0, s0, s10, v0
	v_add_co_ci_u32_e64 v1, null, s11, 0, s0
	s_and_b32 s0, 0xffff, s30
	s_cmp_lt_i32 s0, 11
	s_cbranch_scc1 .LBB9_300
; %bb.294:
	s_cmp_gt_i32 s0, 25
	s_cbranch_scc0 .LBB9_317
; %bb.295:
	s_cmp_gt_i32 s0, 28
	s_cbranch_scc0 .LBB9_319
; %bb.296:
	s_cmp_gt_i32 s0, 43
	s_cbranch_scc0 .LBB9_321
; %bb.297:
	s_cmp_gt_i32 s0, 45
	s_cbranch_scc0 .LBB9_325
; %bb.298:
	s_cmp_eq_u32 s0, 46
	s_mov_b32 s23, 0
	s_cbranch_scc0 .LBB9_329
; %bb.299:
	global_load_dword v3, v[0:1], off
	s_mov_b32 s1, -1
	s_mov_b32 s22, 0
	s_waitcnt vmcnt(0)
	v_lshlrev_b32_e32 v3, 16, v3
	v_cvt_f64_f32_e32 v[3:4], v3
	s_branch .LBB9_331
.LBB9_300:
	s_mov_b32 s1, 0
	s_mov_b32 s22, s37
                                        ; implicit-def: $vgpr3_vgpr4
	s_cbranch_execnz .LBB9_508
.LBB9_301:
	s_andn2_b32 vcc_lo, exec_lo, s1
	s_cbranch_vccnz .LBB9_556
.LBB9_302:
	v_mov_b32_e32 v0, 0
	v_mov_b32_e32 v1, 0x7ff00000
	s_mov_b32 s23, exec_lo
	s_waitcnt vmcnt(0)
	v_cmpx_neq_f64_e32 0, v[3:4]
	s_cbranch_execz .LBB9_310
; %bb.303:
	v_mov_b32_e32 v0, 0
	v_mov_b32_e32 v1, 0x7ff80000
	s_mov_b32 s39, exec_lo
	v_cmpx_ngt_f64_e32 0, v[3:4]
	s_cbranch_execz .LBB9_309
; %bb.304:
                                        ; implicit-def: $vgpr0_vgpr1
	s_mov_b32 s0, exec_lo
	v_cmpx_ge_f64_e32 2.0, v[3:4]
	s_xor_b32 s40, exec_lo, s0
	s_cbranch_execz .LBB9_306
; %bb.305:
	v_fma_f64 v[0:1], v[3:4], 0.5, -2.0
	s_mov_b32 s0, 0xc38a0576
	s_mov_b32 s1, 0xbc7857d0
	;; [unrolled: 1-line block ×4, first 2 shown]
	v_mul_f64 v[11:12], v[3:4], 0.5
	v_fma_f64 v[27:28], v[3:4], v[3:4], -2.0
	s_mov_b32 s45, 0xbc603228
	s_mov_b32 s44, 0x3d3cda56
	;; [unrolled: 1-line block ×4, first 2 shown]
	v_fma_f64 v[5:6], v[0:1], s[42:43], s[0:1]
	s_mov_b32 s43, 0xbc499f2a
	s_mov_b32 s0, 0xe593bfac
	;; [unrolled: 1-line block ×3, first 2 shown]
	v_frexp_mant_f64_e32 v[13:14], v[11:12]
	v_fma_f64 v[9:10], v[0:1], v[5:6], s[42:43]
	s_mov_b32 s42, 0x97eb07de
	s_mov_b32 s43, 0xbdd25103
	v_add_f64 v[9:10], v[9:10], s[0:1]
	s_mov_b32 s0, 0x7e0d1573
	s_mov_b32 s1, 0xbcd3eaaa
	v_fma_f64 v[5:6], v[0:1], v[9:10], -v[5:6]
	v_add_f64 v[5:6], v[5:6], s[0:1]
	s_mov_b32 s0, 0x615290c
	s_mov_b32 s1, 0x3d011d7f
	v_fma_f64 v[9:10], v[0:1], v[5:6], -v[9:10]
	;; [unrolled: 4-line block ×6, first 2 shown]
	v_add_f64 v[9:10], v[9:10], s[0:1]
	s_mov_b32 s1, 0x3fe55555
	s_mov_b32 s0, 0x55555555
	v_cmp_gt_f64_e32 vcc_lo, s[0:1], v[13:14]
	s_mov_b32 s0, 0x55555780
	v_fma_f64 v[5:6], v[0:1], v[9:10], -v[5:6]
	v_cndmask_b32_e64 v7, 0, 1, vcc_lo
	v_ldexp_f64 v[13:14], v[13:14], v7
	v_frexp_exp_i32_f64_e32 v7, v[11:12]
	v_add_f64 v[5:6], v[5:6], s[42:43]
	s_mov_b32 s42, 0xb43fdf6c
	s_mov_b32 s43, 0x3df8ea34
	v_add_f64 v[15:16], v[13:14], 1.0
	v_add_f64 v[21:22], v[13:14], -1.0
	v_subrev_co_ci_u32_e64 v7, null, 0, v7, vcc_lo
	v_fma_f64 v[9:10], v[0:1], v[5:6], -v[9:10]
	v_rcp_f64_e32 v[17:18], v[15:16]
	v_add_f64 v[23:24], v[15:16], -1.0
	v_add_f64 v[9:10], v[9:10], s[42:43]
	s_mov_b32 s42, 0x28ea67e6
	s_mov_b32 s43, 0xbe20361b
	v_add_f64 v[13:14], v[13:14], -v[23:24]
	v_fma_f64 v[19:20], -v[15:16], v[17:18], 1.0
	v_fma_f64 v[5:6], v[0:1], v[9:10], -v[5:6]
	v_fma_f64 v[17:18], v[19:20], v[17:18], v[17:18]
	v_add_f64 v[5:6], v[5:6], s[42:43]
	s_mov_b32 s42, 0x2395010
	s_mov_b32 s43, 0x3e44258e
	v_fma_f64 v[19:20], -v[15:16], v[17:18], 1.0
	v_fma_f64 v[9:10], v[0:1], v[5:6], -v[9:10]
	v_fma_f64 v[17:18], v[19:20], v[17:18], v[17:18]
	v_add_f64 v[9:10], v[9:10], s[42:43]
	s_mov_b32 s42, 0x24b8c3e8
	s_mov_b32 s43, 0xbe67dd3e
	v_mul_f64 v[19:20], v[21:22], v[17:18]
	v_fma_f64 v[5:6], v[0:1], v[9:10], -v[5:6]
	v_mul_f64 v[25:26], v[15:16], v[19:20]
	v_add_f64 v[5:6], v[5:6], s[42:43]
	s_mov_b32 s42, 0xb347d108
	s_mov_b32 s43, 0x3e8ae344
	v_fma_f64 v[15:16], v[19:20], v[15:16], -v[25:26]
	v_fma_f64 v[9:10], v[0:1], v[5:6], -v[9:10]
	v_fma_f64 v[13:14], v[19:20], v[13:14], v[15:16]
	v_add_f64 v[9:10], v[9:10], s[42:43]
	s_mov_b32 s42, 0x7a0399e0
	s_mov_b32 s43, 0xbce5dd51
	v_fma_f64 v[29:30], v[27:28], s[44:45], s[42:43]
	s_mov_b32 s45, 0x3c603228
	s_mov_b32 s42, 0xddd0e045
	s_mov_b32 s43, 0xbd677502
	v_add_f64 v[15:16], v[25:26], v[13:14]
	v_fma_f64 v[5:6], v[0:1], v[9:10], -v[5:6]
	v_add_f64 v[23:24], v[21:22], -v[15:16]
	v_add_f64 v[25:26], v[15:16], -v[25:26]
	v_add_f64 v[5:6], v[5:6], s[46:47]
	s_mov_b32 s46, 0xd3d694fe
	s_mov_b32 s47, 0xbf2533ca
	v_add_f64 v[21:22], v[21:22], -v[23:24]
	v_add_f64 v[13:14], v[25:26], -v[13:14]
	v_fma_f64 v[9:10], v[0:1], v[5:6], -v[9:10]
	v_add_f64 v[15:16], v[21:22], -v[15:16]
	v_fma_f64 v[21:22], v[27:28], v[29:30], s[44:45]
	s_mov_b32 s44, 0xd511afc5
	s_mov_b32 s45, 0x3ecd1c4e
	v_add_f64 v[9:10], v[9:10], s[44:45]
	s_mov_b32 s44, 0xb8debbcf
	s_mov_b32 s45, 0xbeebd5f9
	v_add_f64 v[13:14], v[13:14], v[15:16]
	v_add_f64 v[15:16], v[21:22], s[42:43]
	s_mov_b32 s42, 0xb84626ca
	s_mov_b32 s43, 0xbde3663b
	v_fma_f64 v[5:6], v[0:1], v[9:10], -v[5:6]
	v_add_f64 v[13:14], v[23:24], v[13:14]
	v_fma_f64 v[21:22], v[27:28], v[15:16], -v[29:30]
	v_add_f64 v[5:6], v[5:6], s[44:45]
	s_mov_b32 s44, 0x42c70d0b
	s_mov_b32 s45, 0x3f0911b5
	v_mul_f64 v[13:14], v[17:18], v[13:14]
	v_add_f64 v[17:18], v[21:22], s[42:43]
	s_mov_b32 s42, 0x145c31d0
	s_mov_b32 s43, 0xbe57c41d
	v_fma_f64 v[9:10], v[0:1], v[5:6], -v[9:10]
	v_add_f64 v[21:22], v[19:20], v[13:14]
	v_fma_f64 v[15:16], v[27:28], v[17:18], -v[15:16]
	v_add_f64 v[9:10], v[9:10], s[44:45]
	s_mov_b32 s44, 0xbf559e2b
	s_mov_b32 s45, 0x3fc3ab76
	v_mul_f64 v[23:24], v[21:22], v[21:22]
	v_add_f64 v[15:16], v[15:16], s[42:43]
	s_mov_b32 s42, 0x6b47b09a
	s_mov_b32 s43, 0x3fc38538
	v_add_f64 v[19:20], v[21:22], -v[19:20]
	v_fma_f64 v[5:6], v[0:1], v[9:10], -v[5:6]
	v_fma_f64 v[25:26], v[23:24], s[44:45], s[42:43]
	v_fma_f64 v[17:18], v[27:28], v[15:16], -v[17:18]
	s_mov_b32 s42, 0x2c832e3a
	s_mov_b32 s43, 0xbec469b3
	;; [unrolled: 1-line block ×4, first 2 shown]
	v_mul_f64 v[29:30], v[21:22], v[23:24]
	v_add_f64 v[13:14], v[13:14], -v[19:20]
	v_add_f64 v[5:6], v[5:6], s[46:47]
	s_mov_b32 s46, 0xb6c6df7d
	s_mov_b32 s47, 0x3f40c95d
	v_fma_f64 v[25:26], v[23:24], v[25:26], s[44:45]
	v_add_f64 v[17:18], v[17:18], s[42:43]
	s_mov_b32 s42, 0x16291751
	s_mov_b32 s43, 0x3fcc71c0
	;; [unrolled: 1-line block ×4, first 2 shown]
	v_ldexp_f64 v[13:14], v[13:14], 1
	v_fma_f64 v[9:10], v[0:1], v[5:6], -v[9:10]
	v_fma_f64 v[25:26], v[23:24], v[25:26], s[42:43]
	v_fma_f64 v[15:16], v[27:28], v[17:18], -v[15:16]
	s_mov_b32 s42, 0xe5a3bd02
	s_mov_b32 s43, 0xbf26ade2
	v_add_f64 v[9:10], v[9:10], s[46:47]
	s_mov_b32 s46, 0xe7bb2349
	s_mov_b32 s47, 0x3f9951e3
	v_fma_f64 v[25:26], v[23:24], v[25:26], s[44:45]
	v_add_f64 v[15:16], v[15:16], s[42:43]
	s_mov_b32 s42, 0x998ef7b6
	s_mov_b32 s43, 0x3fd99999
	;; [unrolled: 1-line block ×4, first 2 shown]
	v_fma_f64 v[5:6], v[0:1], v[9:10], -v[5:6]
	v_fma_f64 v[25:26], v[23:24], v[25:26], s[42:43]
	v_fma_f64 v[17:18], v[27:28], v[15:16], -v[17:18]
	s_mov_b32 s42, 0x9d7d4192
	s_mov_b32 s43, 0xbf7c9293
	v_add_f64 v[5:6], v[5:6], s[44:45]
	s_mov_b32 s44, 0x49d3a1b4
	s_mov_b32 s45, 0x3f710653
	v_fma_f64 v[23:24], v[23:24], v[25:26], s[0:1]
	v_add_f64 v[17:18], v[17:18], s[42:43]
	v_ldexp_f64 v[25:26], v[21:22], 1
	s_mov_b32 s0, 0x43c1db74
	s_mov_b32 s1, 0xbfbf6372
	;; [unrolled: 1-line block ×4, first 2 shown]
	v_mul_f64 v[31:32], v[3:4], s[42:43]
	s_mov_b32 s42, 0x757b0dd4
	s_mov_b32 s43, 0xbfd69a1b
	v_fma_f64 v[9:10], v[0:1], v[5:6], -v[9:10]
	v_mul_f64 v[23:24], v[29:30], v[23:24]
	v_fma_f64 v[15:16], v[27:28], v[17:18], -v[15:16]
	v_cvt_f64_i32_e32 v[29:30], v7
	v_add_f64 v[9:10], v[9:10], s[44:45]
	s_mov_b32 s44, 0x7913a26a
	s_mov_b32 s45, 0xbf85a29f
	v_add_f64 v[21:22], v[25:26], v[23:24]
	v_add_f64 v[15:16], v[15:16], s[0:1]
	s_mov_b32 s1, 0x3fe62e42
	s_mov_b32 s0, 0xfefa39ef
	v_mul_f64 v[33:34], v[29:30], s[0:1]
	v_fma_f64 v[5:6], v[0:1], v[9:10], -v[5:6]
	v_add_f64 v[19:20], v[21:22], -v[25:26]
	v_fma_f64 v[17:18], v[27:28], v[15:16], -v[17:18]
	v_rndne_f64_e32 v[25:26], v[31:32]
	v_fma_f64 v[31:32], v[29:30], s[0:1], -v[33:34]
	s_mov_b32 s1, 0xbfe62e42
	v_add_f64 v[5:6], v[5:6], s[44:45]
	s_mov_b32 s44, 0x6a5dcb37
	s_mov_b32 s45, 0x3e5ade15
	v_add_f64 v[19:20], v[23:24], -v[19:20]
	v_add_f64 v[17:18], v[17:18], s[42:43]
	v_fma_f64 v[23:24], v[25:26], s[0:1], v[3:4]
	s_mov_b32 s1, 0x3c7abc9e
	s_mov_b32 s0, 0x3b39803f
	;; [unrolled: 1-line block ×3, first 2 shown]
	v_fma_f64 v[29:30], v[29:30], s[0:1], v[31:32]
	s_mov_b32 s1, 0xbc7abc9e
	s_mov_b32 s43, 0x3e928af3
	v_cvt_i32_f64_e32 v7, v[25:26]
	v_fma_f64 v[9:10], v[0:1], v[5:6], -v[9:10]
	v_add_f64 v[13:14], v[13:14], v[19:20]
	v_fma_f64 v[17:18], v[27:28], v[17:18], -v[15:16]
	v_fma_f64 v[19:20], v[25:26], s[0:1], v[23:24]
	s_mov_b32 s0, 0x361008ca
	s_mov_b32 s1, 0x3ff867a1
	v_add_f64 v[23:24], v[33:34], v[29:30]
	v_add_f64 v[9:10], v[9:10], s[46:47]
	;; [unrolled: 1-line block ×4, first 2 shown]
	v_fma_f64 v[31:32], v[19:20], s[44:45], s[42:43]
	s_mov_b32 s0, 0x623fde64
	s_mov_b32 s1, 0x3ec71dee
	;; [unrolled: 1-line block ×4, first 2 shown]
	v_add_f64 v[33:34], v[23:24], -v[33:34]
	v_fma_f64 v[5:6], v[0:1], v[9:10], -v[5:6]
	v_add_f64 v[35:36], v[23:24], v[27:28]
	v_add_f64 v[15:16], v[17:18], -v[15:16]
	v_fma_f64 v[31:32], v[19:20], v[31:32], s[0:1]
	s_mov_b32 s0, 0x7c89e6b0
	s_mov_b32 s1, 0x3efa0199
	v_add_f64 v[21:22], v[27:28], -v[21:22]
	v_add_f64 v[29:30], v[29:30], -v[33:34]
	v_add_f64 v[5:6], v[5:6], s[42:43]
	s_mov_b32 s42, 0xd536f53c
	s_mov_b32 s43, 0x3fba46da
	v_add_f64 v[17:18], v[35:36], -v[23:24]
	v_mul_f64 v[15:16], v[15:16], 0.5
	v_fma_f64 v[31:32], v[19:20], v[31:32], s[0:1]
	s_mov_b32 s0, 0x14761f6e
	s_mov_b32 s1, 0x3f2a01a0
	v_add_f64 v[13:14], v[13:14], -v[21:22]
	v_fma_f64 v[9:10], v[0:1], v[5:6], -v[9:10]
	v_add_f64 v[37:38], v[35:36], -v[17:18]
	v_div_scale_f64 v[39:40], null, v[3:4], v[3:4], v[15:16]
	v_fma_f64 v[31:32], v[19:20], v[31:32], s[0:1]
	s_mov_b32 s0, 0x1852b7b0
	s_mov_b32 s1, 0x3f56c16c
	v_add_f64 v[17:18], v[27:28], -v[17:18]
	v_add_f64 v[9:10], v[9:10], s[42:43]
	s_mov_b32 s42, 0x469192e
	s_mov_b32 s43, 0xbfc694d1
	v_add_f64 v[21:22], v[23:24], -v[37:38]
	v_rcp_f64_e32 v[27:28], v[39:40]
	v_fma_f64 v[23:24], v[19:20], v[31:32], s[0:1]
	s_mov_b32 s0, 0x11122322
	s_mov_b32 s1, 0x3f811111
	v_add_f64 v[31:32], v[29:30], v[13:14]
	v_fma_f64 v[5:6], v[0:1], v[9:10], -v[5:6]
	v_add_f64 v[17:18], v[17:18], v[21:22]
	v_fma_f64 v[21:22], v[19:20], v[23:24], s[0:1]
	v_fma_f64 v[23:24], -v[39:40], v[27:28], 1.0
	s_mov_b32 s0, 0x555502a1
	s_mov_b32 s1, 0x3fa55555
	v_add_f64 v[33:34], v[31:32], -v[29:30]
	v_add_f64 v[5:6], v[5:6], s[42:43]
	s_mov_b32 s42, 0x724a7ffa
	s_mov_b32 s43, 0x3fd02a63
	v_add_f64 v[17:18], v[31:32], v[17:18]
	v_fma_f64 v[21:22], v[19:20], v[21:22], s[0:1]
	v_fma_f64 v[23:24], v[27:28], v[23:24], v[27:28]
	s_mov_b32 s0, 0x55555511
	s_mov_b32 s1, 0x3fc55555
	v_add_f64 v[27:28], v[31:32], -v[33:34]
	v_add_f64 v[13:14], v[13:14], -v[33:34]
	v_div_scale_f64 v[33:34], vcc_lo, v[15:16], v[3:4], v[15:16]
	v_fma_f64 v[0:1], v[0:1], v[5:6], -v[9:10]
	v_add_f64 v[31:32], v[35:36], v[17:18]
	v_fma_f64 v[21:22], v[19:20], v[21:22], s[0:1]
	v_fma_f64 v[5:6], -v[39:40], v[23:24], 1.0
	s_mov_b32 s0, 11
	s_mov_b32 s1, 0x3fe00000
	v_add_f64 v[27:28], v[29:30], -v[27:28]
	v_add_f64 v[0:1], v[0:1], s[42:43]
	v_add_f64 v[29:30], v[31:32], -v[35:36]
	v_fma_f64 v[21:22], v[19:20], v[21:22], s[0:1]
	v_fma_f64 v[5:6], v[23:24], v[5:6], v[23:24]
	v_cmp_neq_f64_e64 s0, 0, v[11:12]
	v_add_f64 v[13:14], v[13:14], v[27:28]
	v_add_f64 v[0:1], v[0:1], -v[9:10]
	v_add_f64 v[17:18], v[17:18], -v[29:30]
	v_fma_f64 v[21:22], v[19:20], v[21:22], 1.0
	v_mul_f64 v[9:10], v[33:34], v[5:6]
	v_mul_f64 v[0:1], v[0:1], 0.5
	v_add_f64 v[13:14], v[13:14], v[17:18]
	v_fma_f64 v[17:18], v[19:20], v[21:22], 1.0
	v_fma_f64 v[19:20], -v[39:40], v[9:10], v[33:34]
	v_mul_f64 v[0:1], v[3:4], v[0:1]
	v_add_f64 v[13:14], v[31:32], v[13:14]
	v_ldexp_f64 v[17:18], v[17:18], v7
	v_div_fmas_f64 v[5:6], v[19:20], v[5:6], v[9:10]
	v_cmp_neq_f64_e32 vcc_lo, 0x7ff00000, v[11:12]
	v_mul_f64 v[0:1], v[17:18], v[0:1]
	v_div_fixup_f64 v[3:4], v[5:6], v[3:4], v[15:16]
	v_cndmask_b32_e32 v7, 0x7ff00000, v14, vcc_lo
	s_and_b32 vcc_lo, s0, vcc_lo
	v_cndmask_b32_e32 v5, 0, v13, vcc_lo
	v_cndmask_b32_e64 v6, 0xfff00000, v7, s0
	v_fma_f64 v[0:1], v[5:6], v[0:1], v[3:4]
                                        ; implicit-def: $vgpr3_vgpr4
.LBB9_306:
	s_andn2_saveexec_b32 s1, s40
	s_cbranch_execz .LBB9_308
; %bb.307:
	v_div_scale_f64 v[0:1], null, v[3:4], v[3:4], 0x40200000
	v_div_scale_f64 v[11:12], vcc_lo, 0x40200000, v[3:4], 0x40200000
	s_mov_b32 s42, 0x838f5ed3
	s_mov_b32 s43, 0x3c74af1a
	;; [unrolled: 1-line block ×4, first 2 shown]
	v_cmp_nlt_f64_e64 s0, 0x4090cc00, v[3:4]
	v_rcp_f64_e32 v[5:6], v[0:1]
	v_fma_f64 v[9:10], -v[0:1], v[5:6], 1.0
	v_fma_f64 v[5:6], v[5:6], v[9:10], v[5:6]
	v_fma_f64 v[9:10], -v[0:1], v[5:6], 1.0
	v_fma_f64 v[5:6], v[5:6], v[9:10], v[5:6]
	v_mul_f64 v[9:10], v[11:12], v[5:6]
	v_fma_f64 v[0:1], -v[0:1], v[9:10], v[11:12]
	v_div_fmas_f64 v[0:1], v[0:1], v[5:6], v[9:10]
	v_cmp_gt_f64_e32 vcc_lo, 0x10000000, v[3:4]
	v_div_fixup_f64 v[0:1], v[0:1], v[3:4], 0x40200000
	v_cndmask_b32_e64 v7, 0, 0x100, vcc_lo
	v_ldexp_f64 v[17:18], v[3:4], v7
	v_add_f64 v[0:1], v[0:1], -2.0
	v_rsq_f64_e32 v[19:20], v[17:18]
	v_fma_f64 v[5:6], v[0:1], s[44:45], s[42:43]
	s_mov_b32 s45, 0x3c5a8c5d
	s_mov_b32 s42, 0x17771d52
	;; [unrolled: 1-line block ×3, first 2 shown]
	v_mul_f64 v[21:22], v[17:18], v[19:20]
	v_mul_f64 v[19:20], v[19:20], 0.5
	v_fma_f64 v[9:10], v[0:1], v[5:6], s[44:45]
	s_mov_b32 s44, 0x6a5dcb37
	s_mov_b32 s45, 0x3e5ade15
	v_fma_f64 v[23:24], -v[19:20], v[21:22], 0.5
	v_add_f64 v[9:10], v[9:10], s[42:43]
	s_mov_b32 s42, 0x44ee2c0b
	s_mov_b32 s43, 0x3caa7d5e
	v_fma_f64 v[21:22], v[21:22], v[23:24], v[21:22]
	v_fma_f64 v[19:20], v[19:20], v[23:24], v[19:20]
	v_fma_f64 v[5:6], v[0:1], v[9:10], -v[5:6]
	v_fma_f64 v[23:24], -v[21:22], v[21:22], v[17:18]
	v_add_f64 v[5:6], v[5:6], s[42:43]
	s_mov_b32 s42, 0xd8758ef2
	s_mov_b32 s43, 0xbcc5d2a3
	v_fma_f64 v[9:10], v[0:1], v[5:6], -v[9:10]
	v_add_f64 v[9:10], v[9:10], s[42:43]
	s_mov_b32 s42, 0xefee81bd
	s_mov_b32 s43, 0x3ce25ced
	v_fma_f64 v[5:6], v[0:1], v[9:10], -v[5:6]
	;; [unrolled: 4-line block ×14, first 2 shown]
	v_add_f64 v[5:6], v[5:6], s[42:43]
	s_mov_b32 s42, 0x652b82fe
	s_mov_b32 s43, 0xbff71547
	v_mul_f64 v[11:12], v[3:4], s[42:43]
	s_mov_b32 s42, 0x8fada5c6
	s_mov_b32 s43, 0xbe978052
	v_fma_f64 v[9:10], v[0:1], v[5:6], -v[9:10]
	v_rndne_f64_e32 v[11:12], v[11:12]
	v_add_f64 v[9:10], v[9:10], s[42:43]
	s_mov_b32 s42, 0xfefa39ef
	s_mov_b32 s43, 0xbfe62e42
	v_fma_f64 v[13:14], v[11:12], s[42:43], -v[3:4]
	s_mov_b32 s42, 0x3b39803f
	s_mov_b32 s43, 0xbc7abc9e
	v_cvt_i32_f64_e32 v7, v[11:12]
	v_cndmask_b32_e64 v3, 0, 0xffffff80, vcc_lo
	v_cmp_class_f64_e64 vcc_lo, v[17:18], 0x260
	v_fma_f64 v[5:6], v[0:1], v[9:10], -v[5:6]
	v_fma_f64 v[13:14], v[11:12], s[42:43], v[13:14]
	s_mov_b32 s42, 0x1752d1b6
	s_mov_b32 s43, 0x3ec42fe3
	v_add_f64 v[5:6], v[5:6], s[42:43]
	s_mov_b32 s42, 0xfca7ab0c
	s_mov_b32 s43, 0x3e928af3
	v_fma_f64 v[15:16], v[13:14], s[44:45], s[42:43]
	s_mov_b32 s42, 0x623fde64
	s_mov_b32 s43, 0x3ec71dee
	v_fma_f64 v[9:10], v[0:1], v[5:6], -v[9:10]
	v_fma_f64 v[15:16], v[13:14], v[15:16], s[42:43]
	s_mov_b32 s42, 0x1dcdb2e5
	s_mov_b32 s43, 0xbef44d71
	v_add_f64 v[9:10], v[9:10], s[42:43]
	s_mov_b32 s42, 0x7c89e6b0
	s_mov_b32 s43, 0x3efa0199
	v_fma_f64 v[15:16], v[13:14], v[15:16], s[42:43]
	s_mov_b32 s42, 0x14761f6e
	s_mov_b32 s43, 0x3f2a01a0
	;; [unrolled: 10-line block ×5, first 2 shown]
	v_fma_f64 v[0:1], v[0:1], v[5:6], -v[9:10]
	v_fma_f64 v[5:6], v[23:24], v[19:20], v[21:22]
	v_fma_f64 v[15:16], v[13:14], v[15:16], 1.0
	v_add_f64 v[0:1], v[0:1], s[42:43]
	v_fma_f64 v[21:22], -v[5:6], v[5:6], v[17:18]
	v_fma_f64 v[11:12], v[13:14], v[15:16], 1.0
	v_add_f64 v[0:1], v[0:1], -v[9:10]
	v_fma_f64 v[5:6], v[21:22], v[19:20], v[5:6]
	v_ldexp_f64 v[9:10], v[11:12], v7
	v_mul_f64 v[0:1], v[0:1], 0.5
	v_ldexp_f64 v[3:4], v[5:6], v3
	v_cndmask_b32_e64 v6, 0, v10, s0
	v_cndmask_b32_e64 v5, 0, v9, s0
	v_mul_f64 v[0:1], v[5:6], v[0:1]
	v_cndmask_b32_e32 v4, v4, v18, vcc_lo
	v_cndmask_b32_e32 v3, v3, v17, vcc_lo
	v_div_scale_f64 v[5:6], null, v[3:4], v[3:4], v[0:1]
	v_rcp_f64_e32 v[9:10], v[5:6]
	v_fma_f64 v[11:12], -v[5:6], v[9:10], 1.0
	v_fma_f64 v[9:10], v[9:10], v[11:12], v[9:10]
	v_fma_f64 v[11:12], -v[5:6], v[9:10], 1.0
	v_fma_f64 v[9:10], v[9:10], v[11:12], v[9:10]
	v_div_scale_f64 v[11:12], vcc_lo, v[0:1], v[3:4], v[0:1]
	v_mul_f64 v[13:14], v[11:12], v[9:10]
	v_fma_f64 v[5:6], -v[5:6], v[13:14], v[11:12]
	v_div_fmas_f64 v[5:6], v[5:6], v[9:10], v[13:14]
	v_div_fixup_f64 v[0:1], v[5:6], v[3:4], v[0:1]
.LBB9_308:
	s_or_b32 exec_lo, exec_lo, s1
.LBB9_309:
	s_or_b32 exec_lo, exec_lo, s39
.LBB9_310:
	s_or_b32 exec_lo, exec_lo, s23
	v_add_co_u32 v4, s0, s8, v2
	v_add_co_ci_u32_e64 v5, null, s9, 0, s0
	s_and_b32 s1, s29, 0xff
	s_cmp_lt_i32 s1, 11
	s_cbranch_scc1 .LBB9_318
; %bb.311:
	s_and_b32 s23, 0xffff, s1
	s_cmp_gt_i32 s23, 25
	s_cbranch_scc0 .LBB9_320
; %bb.312:
	s_cmp_gt_i32 s23, 28
	s_cbranch_scc0 .LBB9_322
; %bb.313:
	;; [unrolled: 3-line block ×4, first 2 shown]
	s_mov_b32 s40, 0
	s_mov_b32 s0, -1
	s_cmp_eq_u32 s23, 46
	s_mov_b32 s39, 0
	s_cbranch_scc0 .LBB9_335
; %bb.316:
	v_cvt_f32_f64_e32 v2, v[0:1]
	s_mov_b32 s39, -1
	s_mov_b32 s0, 0
	v_bfe_u32 v3, v2, 16, 1
	v_cmp_o_f32_e32 vcc_lo, v2, v2
	v_add3_u32 v2, v2, v3, 0x7fff
	v_mov_b32_e32 v3, 0x7fc0
	v_cndmask_b32_sdwa v2, v3, v2, vcc_lo dst_sel:DWORD dst_unused:UNUSED_PAD src0_sel:DWORD src1_sel:WORD_1
	global_store_dword v[4:5], v2, off
	s_branch .LBB9_335
.LBB9_317:
	s_mov_b32 s23, -1
	s_mov_b32 s1, 0
	s_mov_b32 s22, s37
                                        ; implicit-def: $vgpr3_vgpr4
	s_branch .LBB9_474
.LBB9_318:
	s_mov_b32 s23, -1
	s_mov_b32 s39, 0
	s_mov_b32 s0, s36
	s_branch .LBB9_404
.LBB9_319:
	s_mov_b32 s23, -1
	s_mov_b32 s1, 0
	s_mov_b32 s22, s37
                                        ; implicit-def: $vgpr3_vgpr4
	s_branch .LBB9_453
.LBB9_320:
	s_mov_b32 s40, -1
	s_mov_b32 s39, 0
	s_mov_b32 s0, s36
	s_branch .LBB9_362
.LBB9_321:
	s_mov_b32 s23, -1
	s_mov_b32 s1, 0
	s_mov_b32 s22, s37
                                        ; implicit-def: $vgpr3_vgpr4
	s_branch .LBB9_448
.LBB9_322:
	s_mov_b32 s40, -1
	s_mov_b32 s39, 0
	s_mov_b32 s0, s36
	s_branch .LBB9_345
.LBB9_323:
	s_andn2_saveexec_b32 s40, s40
	s_cbranch_execz .LBB9_76
.LBB9_324:
	v_add_f32_e64 v3, 0x46000000, |v2|
	s_andn2_b32 s37, s37, exec_lo
	v_and_b32_e32 v3, 0xff, v3
	v_cmp_ne_u32_e32 vcc_lo, 0, v3
	s_and_b32 s41, vcc_lo, exec_lo
	s_or_b32 s37, s37, s41
	s_or_b32 exec_lo, exec_lo, s40
	v_mov_b32_e32 v6, 0
	s_and_saveexec_b32 s40, s37
	s_cbranch_execnz .LBB9_77
	s_branch .LBB9_78
.LBB9_325:
	s_mov_b32 s23, -1
	s_mov_b32 s1, 0
	s_mov_b32 s22, s37
	s_branch .LBB9_330
.LBB9_326:
	s_mov_b32 s40, -1
	s_mov_b32 s39, 0
	s_mov_b32 s0, s36
	s_branch .LBB9_341
.LBB9_327:
	s_andn2_saveexec_b32 s40, s40
	s_cbranch_execz .LBB9_89
.LBB9_328:
	v_add_f32_e64 v3, 0x42800000, |v2|
	s_andn2_b32 s37, s37, exec_lo
	v_and_b32_e32 v3, 0xff, v3
	v_cmp_ne_u32_e32 vcc_lo, 0, v3
	s_and_b32 s41, vcc_lo, exec_lo
	s_or_b32 s37, s37, s41
	s_or_b32 exec_lo, exec_lo, s40
	v_mov_b32_e32 v6, 0
	s_and_saveexec_b32 s40, s37
	s_cbranch_execnz .LBB9_90
	s_branch .LBB9_91
.LBB9_329:
	s_mov_b32 s22, -1
	s_mov_b32 s1, 0
.LBB9_330:
                                        ; implicit-def: $vgpr3_vgpr4
.LBB9_331:
	s_and_b32 vcc_lo, exec_lo, s23
	s_cbranch_vccz .LBB9_447
; %bb.332:
	s_cmp_eq_u32 s0, 44
	s_cbranch_scc0 .LBB9_446
; %bb.333:
	global_load_ubyte v5, v[0:1], off
	s_mov_b32 s22, 0
	s_mov_b32 s1, -1
	s_waitcnt vmcnt(0)
	v_lshlrev_b32_e32 v3, 23, v5
	v_cmp_ne_u32_e32 vcc_lo, 0xff, v5
	v_cvt_f64_f32_e32 v[3:4], v3
	v_cndmask_b32_e32 v3, 0x20000000, v3, vcc_lo
	v_cndmask_b32_e32 v4, 0x7ff80000, v4, vcc_lo
	v_cmp_ne_u32_e32 vcc_lo, 0, v5
	v_cndmask_b32_e32 v4, 0x38000000, v4, vcc_lo
	v_cndmask_b32_e32 v3, 0, v3, vcc_lo
	s_branch .LBB9_447
.LBB9_334:
	s_mov_b32 s40, -1
	s_mov_b32 s39, 0
	s_mov_b32 s0, s36
.LBB9_335:
	s_and_b32 vcc_lo, exec_lo, s40
	s_cbranch_vccz .LBB9_340
; %bb.336:
	s_cmp_eq_u32 s23, 44
	s_mov_b32 s0, -1
	s_cbranch_scc0 .LBB9_340
; %bb.337:
	v_cvt_f32_f64_e32 v2, v[0:1]
	v_mov_b32_e32 v3, 0xff
	s_mov_b32 s39, exec_lo
	v_bfe_u32 v6, v2, 23, 8
	v_cmpx_ne_u32_e32 0xff, v6
	s_cbranch_execz .LBB9_339
; %bb.338:
	v_and_b32_e32 v3, 0x400000, v2
	v_and_or_b32 v6, 0x3fffff, v2, v6
	v_lshrrev_b32_e32 v2, 23, v2
	v_cmp_ne_u32_e32 vcc_lo, 0, v3
	v_cmp_ne_u32_e64 s0, 0, v6
	s_and_b32 s0, vcc_lo, s0
	v_cndmask_b32_e64 v3, 0, 1, s0
	v_add_nc_u32_e32 v3, v2, v3
.LBB9_339:
	s_or_b32 exec_lo, exec_lo, s39
	s_mov_b32 s39, -1
	s_mov_b32 s0, 0
	global_store_byte v[4:5], v3, off
.LBB9_340:
	s_mov_b32 s40, 0
.LBB9_341:
	s_and_b32 vcc_lo, exec_lo, s40
	s_cbranch_vccz .LBB9_344
; %bb.342:
	s_cmp_eq_u32 s23, 29
	s_mov_b32 s0, -1
	s_cbranch_scc0 .LBB9_344
; %bb.343:
	v_trunc_f64_e32 v[2:3], v[0:1]
	s_mov_b32 s39, -1
	s_mov_b32 s0, 0
	s_mov_b32 s40, 0
	v_ldexp_f64 v[6:7], v[2:3], 0xffffffe0
	v_floor_f64_e32 v[6:7], v[6:7]
	v_fma_f64 v[2:3], 0xc1f00000, v[6:7], v[2:3]
	v_cvt_u32_f64_e32 v7, v[6:7]
	v_cvt_u32_f64_e32 v6, v[2:3]
	global_store_dwordx2 v[4:5], v[6:7], off
	s_branch .LBB9_345
.LBB9_344:
	s_mov_b32 s40, 0
.LBB9_345:
	s_and_b32 vcc_lo, exec_lo, s40
	s_cbranch_vccz .LBB9_361
; %bb.346:
	s_cmp_lt_i32 s23, 27
	s_mov_b32 s39, -1
	s_cbranch_scc1 .LBB9_352
; %bb.347:
	v_cvt_u32_f64_e32 v2, v[0:1]
	s_cmp_gt_i32 s23, 27
	s_cbranch_scc0 .LBB9_349
; %bb.348:
	s_mov_b32 s39, 0
	global_store_dword v[4:5], v2, off
.LBB9_349:
	s_andn2_b32 vcc_lo, exec_lo, s39
	s_cbranch_vccnz .LBB9_351
; %bb.350:
	global_store_short v[4:5], v2, off
.LBB9_351:
	s_mov_b32 s39, 0
.LBB9_352:
	s_andn2_b32 vcc_lo, exec_lo, s39
	s_cbranch_vccnz .LBB9_360
; %bb.353:
	v_cvt_f32_f64_e32 v2, v[0:1]
	v_mov_b32_e32 v6, 0x80
	s_mov_b32 s39, exec_lo
	v_and_b32_e32 v3, 0x7fffffff, v2
	v_cmpx_gt_u32_e32 0x43800000, v3
	s_cbranch_execz .LBB9_359
; %bb.354:
	v_cmp_lt_u32_e32 vcc_lo, 0x3bffffff, v3
	s_mov_b32 s40, 0
                                        ; implicit-def: $vgpr3
	s_and_saveexec_b32 s42, vcc_lo
	s_xor_b32 s42, exec_lo, s42
	s_cbranch_execz .LBB9_587
; %bb.355:
	v_bfe_u32 v3, v2, 20, 1
	s_mov_b32 s40, exec_lo
	v_add3_u32 v3, v2, v3, 0x487ffff
	v_lshrrev_b32_e32 v3, 20, v3
	s_andn2_saveexec_b32 s42, s42
	s_cbranch_execnz .LBB9_588
.LBB9_356:
	s_or_b32 exec_lo, exec_lo, s42
	v_mov_b32_e32 v6, 0
	s_and_saveexec_b32 s42, s40
.LBB9_357:
	v_lshrrev_b32_e32 v2, 24, v2
	v_and_or_b32 v6, 0x80, v2, v3
.LBB9_358:
	s_or_b32 exec_lo, exec_lo, s42
.LBB9_359:
	s_or_b32 exec_lo, exec_lo, s39
	global_store_byte v[4:5], v6, off
.LBB9_360:
	s_mov_b32 s39, -1
.LBB9_361:
	s_mov_b32 s40, 0
.LBB9_362:
	s_and_b32 vcc_lo, exec_lo, s40
	s_cbranch_vccz .LBB9_403
; %bb.363:
	s_cmp_gt_i32 s23, 22
	s_mov_b32 s40, -1
	s_cbranch_scc0 .LBB9_395
; %bb.364:
	s_cmp_lt_i32 s23, 24
	s_mov_b32 s39, -1
	s_cbranch_scc1 .LBB9_384
; %bb.365:
	s_cmp_gt_i32 s23, 24
	s_cbranch_scc0 .LBB9_373
; %bb.366:
	v_cvt_f32_f64_e32 v2, v[0:1]
	v_mov_b32_e32 v6, 0x80
	s_mov_b32 s39, exec_lo
	v_and_b32_e32 v3, 0x7fffffff, v2
	v_cmpx_gt_u32_e32 0x47800000, v3
	s_cbranch_execz .LBB9_372
; %bb.367:
	v_cmp_lt_u32_e32 vcc_lo, 0x37ffffff, v3
	s_mov_b32 s40, 0
                                        ; implicit-def: $vgpr3
	s_and_saveexec_b32 s42, vcc_lo
	s_xor_b32 s42, exec_lo, s42
	s_cbranch_execz .LBB9_590
; %bb.368:
	v_bfe_u32 v3, v2, 21, 1
	s_mov_b32 s40, exec_lo
	v_add3_u32 v3, v2, v3, 0x88fffff
	v_lshrrev_b32_e32 v3, 21, v3
	s_andn2_saveexec_b32 s42, s42
	s_cbranch_execnz .LBB9_591
.LBB9_369:
	s_or_b32 exec_lo, exec_lo, s42
	v_mov_b32_e32 v6, 0
	s_and_saveexec_b32 s42, s40
.LBB9_370:
	v_lshrrev_b32_e32 v2, 24, v2
	v_and_or_b32 v6, 0x80, v2, v3
.LBB9_371:
	s_or_b32 exec_lo, exec_lo, s42
.LBB9_372:
	s_or_b32 exec_lo, exec_lo, s39
	s_mov_b32 s39, 0
	global_store_byte v[4:5], v6, off
.LBB9_373:
	s_and_b32 vcc_lo, exec_lo, s39
	s_cbranch_vccz .LBB9_383
; %bb.374:
	v_cvt_f32_f64_e32 v2, v[0:1]
	s_mov_b32 s39, exec_lo
                                        ; implicit-def: $vgpr3
	v_and_b32_e32 v6, 0x7fffffff, v2
	v_cmpx_gt_u32_e32 0x43f00000, v6
	s_xor_b32 s39, exec_lo, s39
	s_cbranch_execz .LBB9_380
; %bb.375:
	s_mov_b32 s40, exec_lo
                                        ; implicit-def: $vgpr3
	v_cmpx_lt_u32_e32 0x3c7fffff, v6
	s_xor_b32 s40, exec_lo, s40
; %bb.376:
	v_bfe_u32 v3, v2, 20, 1
	v_add3_u32 v3, v2, v3, 0x407ffff
	v_and_b32_e32 v6, 0xff00000, v3
	v_lshrrev_b32_e32 v3, 20, v3
	v_cmp_ne_u32_e32 vcc_lo, 0x7f00000, v6
	v_cndmask_b32_e32 v3, 0x7e, v3, vcc_lo
; %bb.377:
	s_andn2_saveexec_b32 s40, s40
; %bb.378:
	v_add_f32_e64 v3, 0x46800000, |v2|
; %bb.379:
	s_or_b32 exec_lo, exec_lo, s40
                                        ; implicit-def: $vgpr6
.LBB9_380:
	s_andn2_saveexec_b32 s39, s39
; %bb.381:
	v_mov_b32_e32 v3, 0x7f
	v_cmp_lt_u32_e32 vcc_lo, 0x7f800000, v6
	v_cndmask_b32_e32 v3, 0x7e, v3, vcc_lo
; %bb.382:
	s_or_b32 exec_lo, exec_lo, s39
	v_lshrrev_b32_e32 v2, 24, v2
	v_and_or_b32 v2, 0x80, v2, v3
	global_store_byte v[4:5], v2, off
.LBB9_383:
	s_mov_b32 s39, 0
.LBB9_384:
	s_andn2_b32 vcc_lo, exec_lo, s39
	s_cbranch_vccnz .LBB9_394
; %bb.385:
	v_cvt_f32_f64_e32 v2, v[0:1]
	s_mov_b32 s39, exec_lo
                                        ; implicit-def: $vgpr3
	v_and_b32_e32 v6, 0x7fffffff, v2
	v_cmpx_gt_u32_e32 0x47800000, v6
	s_xor_b32 s39, exec_lo, s39
	s_cbranch_execz .LBB9_391
; %bb.386:
	s_mov_b32 s40, exec_lo
                                        ; implicit-def: $vgpr3
	v_cmpx_lt_u32_e32 0x387fffff, v6
	s_xor_b32 s40, exec_lo, s40
; %bb.387:
	v_bfe_u32 v3, v2, 21, 1
	v_add3_u32 v3, v2, v3, 0x80fffff
	v_lshrrev_b32_e32 v3, 21, v3
; %bb.388:
	s_andn2_saveexec_b32 s40, s40
; %bb.389:
	v_add_f32_e64 v3, 0x43000000, |v2|
; %bb.390:
	s_or_b32 exec_lo, exec_lo, s40
                                        ; implicit-def: $vgpr6
.LBB9_391:
	s_andn2_saveexec_b32 s39, s39
; %bb.392:
	v_mov_b32_e32 v3, 0x7f
	v_cmp_lt_u32_e32 vcc_lo, 0x7f800000, v6
	v_cndmask_b32_e32 v3, 0x7c, v3, vcc_lo
; %bb.393:
	s_or_b32 exec_lo, exec_lo, s39
	v_lshrrev_b32_e32 v2, 24, v2
	v_and_or_b32 v2, 0x80, v2, v3
	global_store_byte v[4:5], v2, off
.LBB9_394:
	s_mov_b32 s40, 0
	s_mov_b32 s39, -1
.LBB9_395:
	s_andn2_b32 vcc_lo, exec_lo, s40
	s_cbranch_vccnz .LBB9_403
; %bb.396:
	s_cmp_gt_i32 s23, 14
	s_mov_b32 s40, -1
	s_cbranch_scc0 .LBB9_400
; %bb.397:
	s_cmp_eq_u32 s23, 15
	s_mov_b32 s0, -1
	s_cbranch_scc0 .LBB9_399
; %bb.398:
	v_cvt_f32_f64_e32 v2, v[0:1]
	s_mov_b32 s39, -1
	s_mov_b32 s0, 0
	v_bfe_u32 v3, v2, 16, 1
	v_cmp_o_f32_e32 vcc_lo, v2, v2
	v_add3_u32 v2, v2, v3, 0x7fff
	v_mov_b32_e32 v3, 0x7fc0
	v_cndmask_b32_sdwa v2, v3, v2, vcc_lo dst_sel:DWORD dst_unused:UNUSED_PAD src0_sel:DWORD src1_sel:WORD_1
	global_store_short v[4:5], v2, off
.LBB9_399:
	s_mov_b32 s40, 0
.LBB9_400:
	s_and_b32 vcc_lo, exec_lo, s40
	s_cbranch_vccz .LBB9_403
; %bb.401:
	s_cmp_eq_u32 s23, 11
	s_mov_b32 s0, -1
	s_cbranch_scc0 .LBB9_403
; %bb.402:
	v_cmp_neq_f64_e32 vcc_lo, 0, v[0:1]
	s_mov_b32 s39, -1
	s_mov_b32 s0, 0
	v_cndmask_b32_e64 v2, 0, 1, vcc_lo
	global_store_byte v[4:5], v2, off
.LBB9_403:
	s_mov_b32 s23, 0
.LBB9_404:
	s_and_b32 vcc_lo, exec_lo, s23
	s_cbranch_vccz .LBB9_443
; %bb.405:
	s_and_b32 s1, 0xffff, s1
	s_mov_b32 s23, -1
	s_cmp_lt_i32 s1, 5
	s_cbranch_scc1 .LBB9_426
; %bb.406:
	s_cmp_lt_i32 s1, 8
	s_cbranch_scc1 .LBB9_416
; %bb.407:
	;; [unrolled: 3-line block ×3, first 2 shown]
	s_cmp_gt_i32 s1, 9
	s_cbranch_scc0 .LBB9_410
; %bb.409:
	v_mov_b32_e32 v2, 0
	s_mov_b32 s23, 0
	v_mov_b32_e32 v3, v2
	global_store_dwordx4 v[4:5], v[0:3], off
.LBB9_410:
	s_andn2_b32 vcc_lo, exec_lo, s23
	s_cbranch_vccnz .LBB9_412
; %bb.411:
	v_cvt_f32_f64_e32 v2, v[0:1]
	v_mov_b32_e32 v3, 0
	global_store_dwordx2 v[4:5], v[2:3], off
.LBB9_412:
	s_mov_b32 s23, 0
.LBB9_413:
	s_andn2_b32 vcc_lo, exec_lo, s23
	s_cbranch_vccnz .LBB9_415
; %bb.414:
	v_and_or_b32 v2, 0x1ff, v1, v0
	v_lshrrev_b32_e32 v3, 8, v1
	v_bfe_u32 v6, v1, 20, 11
	v_cmp_ne_u32_e32 vcc_lo, 0, v2
	v_sub_nc_u32_e32 v7, 0x3f1, v6
	v_add_nc_u32_e32 v6, 0xfffffc10, v6
	v_cndmask_b32_e64 v2, 0, 1, vcc_lo
	v_and_or_b32 v2, 0xffe, v3, v2
	v_med3_i32 v3, v7, 0, 13
	v_or_b32_e32 v7, 0x1000, v2
	v_lshrrev_b32_e32 v9, v3, v7
	v_lshlrev_b32_e32 v3, v3, v9
	v_cmp_ne_u32_e32 vcc_lo, v3, v7
	v_lshl_or_b32 v7, v6, 12, v2
	v_cndmask_b32_e64 v3, 0, 1, vcc_lo
	v_cmp_gt_i32_e32 vcc_lo, 1, v6
	v_or_b32_e32 v3, v9, v3
	v_cndmask_b32_e32 v3, v7, v3, vcc_lo
	v_and_b32_e32 v7, 7, v3
	v_lshrrev_b32_e32 v3, 2, v3
	v_cmp_lt_i32_e32 vcc_lo, 5, v7
	v_cndmask_b32_e64 v9, 0, 1, vcc_lo
	v_cmp_eq_u32_e32 vcc_lo, 3, v7
	v_cndmask_b32_e64 v7, 0, 1, vcc_lo
	v_cmp_ne_u32_e32 vcc_lo, 0, v2
	v_or_b32_e32 v7, v7, v9
	v_mov_b32_e32 v9, 0x7e00
	v_add_nc_u32_e32 v3, v3, v7
	v_cndmask_b32_e32 v2, 0x7c00, v9, vcc_lo
	v_cmp_gt_i32_e32 vcc_lo, 31, v6
	v_cndmask_b32_e32 v3, 0x7c00, v3, vcc_lo
	v_cmp_eq_u32_e32 vcc_lo, 0x40f, v6
	v_cndmask_b32_e32 v2, v3, v2, vcc_lo
	v_lshrrev_b32_e32 v3, 16, v1
	v_and_or_b32 v2, 0x8000, v3, v2
	v_and_b32_e32 v2, 0xffff, v2
	global_store_dword v[4:5], v2, off
.LBB9_415:
	s_mov_b32 s23, 0
.LBB9_416:
	s_andn2_b32 vcc_lo, exec_lo, s23
	s_cbranch_vccnz .LBB9_425
; %bb.417:
	s_cmp_lt_i32 s1, 6
	s_mov_b32 s23, -1
	s_cbranch_scc1 .LBB9_423
; %bb.418:
	s_cmp_gt_i32 s1, 6
	s_cbranch_scc0 .LBB9_420
; %bb.419:
	s_mov_b32 s23, 0
	global_store_dwordx2 v[4:5], v[0:1], off
.LBB9_420:
	s_andn2_b32 vcc_lo, exec_lo, s23
	s_cbranch_vccnz .LBB9_422
; %bb.421:
	v_cvt_f32_f64_e32 v2, v[0:1]
	global_store_dword v[4:5], v2, off
.LBB9_422:
	s_mov_b32 s23, 0
.LBB9_423:
	s_andn2_b32 vcc_lo, exec_lo, s23
	s_cbranch_vccnz .LBB9_425
; %bb.424:
	v_and_or_b32 v2, 0x1ff, v1, v0
	v_lshrrev_b32_e32 v3, 8, v1
	v_bfe_u32 v6, v1, 20, 11
	v_cmp_ne_u32_e32 vcc_lo, 0, v2
	v_sub_nc_u32_e32 v7, 0x3f1, v6
	v_add_nc_u32_e32 v6, 0xfffffc10, v6
	v_cndmask_b32_e64 v2, 0, 1, vcc_lo
	v_and_or_b32 v2, 0xffe, v3, v2
	v_med3_i32 v3, v7, 0, 13
	v_or_b32_e32 v7, 0x1000, v2
	v_lshrrev_b32_e32 v9, v3, v7
	v_lshlrev_b32_e32 v3, v3, v9
	v_cmp_ne_u32_e32 vcc_lo, v3, v7
	v_lshl_or_b32 v7, v6, 12, v2
	v_cndmask_b32_e64 v3, 0, 1, vcc_lo
	v_cmp_gt_i32_e32 vcc_lo, 1, v6
	v_or_b32_e32 v3, v9, v3
	v_cndmask_b32_e32 v3, v7, v3, vcc_lo
	v_and_b32_e32 v7, 7, v3
	v_lshrrev_b32_e32 v3, 2, v3
	v_cmp_lt_i32_e32 vcc_lo, 5, v7
	v_cndmask_b32_e64 v9, 0, 1, vcc_lo
	v_cmp_eq_u32_e32 vcc_lo, 3, v7
	v_cndmask_b32_e64 v7, 0, 1, vcc_lo
	v_cmp_ne_u32_e32 vcc_lo, 0, v2
	v_or_b32_e32 v7, v7, v9
	v_mov_b32_e32 v9, 0x7e00
	v_add_nc_u32_e32 v3, v3, v7
	v_cndmask_b32_e32 v2, 0x7c00, v9, vcc_lo
	v_cmp_gt_i32_e32 vcc_lo, 31, v6
	v_cndmask_b32_e32 v3, 0x7c00, v3, vcc_lo
	v_cmp_eq_u32_e32 vcc_lo, 0x40f, v6
	v_cndmask_b32_e32 v2, v3, v2, vcc_lo
	v_lshrrev_b32_e32 v3, 16, v1
	v_and_or_b32 v2, 0x8000, v3, v2
	global_store_short v[4:5], v2, off
.LBB9_425:
	s_mov_b32 s23, 0
.LBB9_426:
	s_andn2_b32 vcc_lo, exec_lo, s23
	s_cbranch_vccnz .LBB9_442
; %bb.427:
	s_cmp_lt_i32 s1, 2
	s_mov_b32 s23, -1
	s_cbranch_scc1 .LBB9_437
; %bb.428:
	s_cmp_lt_i32 s1, 3
	s_cbranch_scc1 .LBB9_434
; %bb.429:
	s_cmp_gt_i32 s1, 3
	s_cbranch_scc0 .LBB9_431
; %bb.430:
	v_trunc_f64_e32 v[2:3], v[0:1]
	s_mov_b32 s23, 0
	v_ldexp_f64 v[6:7], v[2:3], 0xffffffe0
	v_floor_f64_e32 v[6:7], v[6:7]
	v_fma_f64 v[2:3], 0xc1f00000, v[6:7], v[2:3]
	v_cvt_i32_f64_e32 v7, v[6:7]
	v_cvt_u32_f64_e32 v6, v[2:3]
	global_store_dwordx2 v[4:5], v[6:7], off
.LBB9_431:
	s_andn2_b32 vcc_lo, exec_lo, s23
	s_cbranch_vccnz .LBB9_433
; %bb.432:
	v_cvt_i32_f64_e32 v2, v[0:1]
	global_store_dword v[4:5], v2, off
.LBB9_433:
	s_mov_b32 s23, 0
.LBB9_434:
	s_andn2_b32 vcc_lo, exec_lo, s23
	s_cbranch_vccnz .LBB9_436
; %bb.435:
	v_cvt_i32_f64_e32 v2, v[0:1]
	global_store_short v[4:5], v2, off
.LBB9_436:
	s_mov_b32 s23, 0
.LBB9_437:
	s_andn2_b32 vcc_lo, exec_lo, s23
	s_cbranch_vccnz .LBB9_442
; %bb.438:
	s_cmp_gt_i32 s1, 0
	s_mov_b32 s1, -1
	s_cbranch_scc0 .LBB9_440
; %bb.439:
	v_cvt_i32_f64_e32 v2, v[0:1]
	s_mov_b32 s1, 0
	global_store_byte v[4:5], v2, off
.LBB9_440:
	s_andn2_b32 vcc_lo, exec_lo, s1
	s_cbranch_vccnz .LBB9_442
; %bb.441:
	v_trunc_f64_e32 v[0:1], v[0:1]
	v_ldexp_f64 v[2:3], v[0:1], 0xffffffe0
	v_floor_f64_e32 v[2:3], v[2:3]
	v_fma_f64 v[0:1], 0xc1f00000, v[2:3], v[0:1]
	v_cvt_u32_f64_e32 v0, v[0:1]
	global_store_byte v[4:5], v0, off
.LBB9_442:
	s_mov_b32 s39, -1
.LBB9_443:
	s_andn2_b32 vcc_lo, exec_lo, s39
	s_cbranch_vccnz .LBB9_445
; %bb.444:
	v_add_nc_u32_e32 v8, 0x80, v8
	s_mov_b32 s1, -1
	s_branch .LBB9_558
.LBB9_445:
	s_mov_b32 s1, 0
	s_branch .LBB9_557
.LBB9_446:
	s_mov_b32 s22, -1
                                        ; implicit-def: $vgpr3_vgpr4
.LBB9_447:
	s_mov_b32 s23, 0
.LBB9_448:
	s_and_b32 vcc_lo, exec_lo, s23
	s_cbranch_vccz .LBB9_452
; %bb.449:
	s_cmp_eq_u32 s0, 29
	s_cbranch_scc0 .LBB9_451
; %bb.450:
	global_load_dwordx2 v[3:4], v[0:1], off
	s_mov_b32 s1, -1
	s_mov_b32 s22, 0
	s_mov_b32 s23, 0
	s_waitcnt vmcnt(0)
	v_cvt_f64_u32_e32 v[4:5], v4
	v_cvt_f64_u32_e32 v[6:7], v3
	v_ldexp_f64 v[4:5], v[4:5], 32
	v_add_f64 v[3:4], v[4:5], v[6:7]
	s_branch .LBB9_453
.LBB9_451:
	s_mov_b32 s22, -1
                                        ; implicit-def: $vgpr3_vgpr4
.LBB9_452:
	s_mov_b32 s23, 0
.LBB9_453:
	s_and_b32 vcc_lo, exec_lo, s23
	s_cbranch_vccz .LBB9_473
; %bb.454:
	s_cmp_lt_i32 s0, 27
	s_cbranch_scc1 .LBB9_457
; %bb.455:
	s_cmp_gt_i32 s0, 27
	s_cbranch_scc0 .LBB9_458
; %bb.456:
	global_load_dword v3, v[0:1], off
	s_mov_b32 s1, 0
	s_waitcnt vmcnt(0)
	v_cvt_f64_u32_e32 v[3:4], v3
	s_branch .LBB9_459
.LBB9_457:
	s_mov_b32 s1, -1
                                        ; implicit-def: $vgpr3_vgpr4
	s_branch .LBB9_462
.LBB9_458:
	s_mov_b32 s1, -1
                                        ; implicit-def: $vgpr3_vgpr4
.LBB9_459:
	s_andn2_b32 vcc_lo, exec_lo, s1
	s_cbranch_vccnz .LBB9_461
; %bb.460:
	global_load_ushort v3, v[0:1], off
	s_waitcnt vmcnt(0)
	v_cvt_f64_u32_e32 v[3:4], v3
.LBB9_461:
	s_mov_b32 s1, 0
.LBB9_462:
	s_andn2_b32 vcc_lo, exec_lo, s1
	s_cbranch_vccnz .LBB9_472
; %bb.463:
	global_load_ubyte v5, v[0:1], off
	s_mov_b32 s1, 0
	s_mov_b32 s23, exec_lo
	s_waitcnt vmcnt(0)
	v_cmpx_lt_i16_e32 0x7f, v5
	s_xor_b32 s23, exec_lo, s23
	s_cbranch_execz .LBB9_467
; %bb.464:
	s_mov_b32 s1, -1
	s_mov_b32 s39, exec_lo
	v_cmpx_eq_u16_e32 0x80, v5
; %bb.465:
	s_xor_b32 s1, exec_lo, -1
; %bb.466:
	s_or_b32 exec_lo, exec_lo, s39
	s_and_b32 s1, s1, exec_lo
.LBB9_467:
	s_or_saveexec_b32 s23, s23
	v_bfrev_b32_e32 v3, 4
	v_mov_b32_e32 v4, 0x7ff80000
	s_xor_b32 exec_lo, exec_lo, s23
; %bb.468:
	v_cmp_ne_u16_e32 vcc_lo, 0, v5
	v_mov_b32_e32 v3, 0
	v_mov_b32_e32 v4, 0
	s_andn2_b32 s1, s1, exec_lo
	s_and_b32 s39, vcc_lo, exec_lo
	s_or_b32 s1, s1, s39
; %bb.469:
	s_or_b32 exec_lo, exec_lo, s23
	s_and_saveexec_b32 s23, s1
	s_cbranch_execz .LBB9_471
; %bb.470:
	v_and_b32_e32 v3, 0xffff, v5
	v_lshlrev_b32_e32 v5, 24, v5
	v_and_b32_e32 v4, 7, v3
	v_bfe_u32 v9, v3, 3, 4
	v_ffbh_u32_e32 v6, v4
	v_cmp_eq_u32_e32 vcc_lo, 0, v9
	v_min_u32_e32 v6, 32, v6
	v_subrev_nc_u32_e32 v7, 28, v6
	v_sub_nc_u32_e32 v6, 29, v6
	v_lshlrev_b32_e32 v3, v7, v3
	v_cndmask_b32_e32 v6, v9, v6, vcc_lo
	v_and_b32_e32 v3, 7, v3
	v_cndmask_b32_e32 v3, v4, v3, vcc_lo
	v_and_b32_e32 v4, 0x80000000, v5
	v_lshl_add_u32 v5, v6, 23, 0x3b800000
	v_lshlrev_b32_e32 v3, 20, v3
	v_or3_b32 v3, v4, v5, v3
	v_cvt_f64_f32_e32 v[3:4], v3
.LBB9_471:
	s_or_b32 exec_lo, exec_lo, s23
.LBB9_472:
	s_mov_b32 s1, -1
.LBB9_473:
	s_mov_b32 s23, 0
.LBB9_474:
	s_and_b32 vcc_lo, exec_lo, s23
	s_cbranch_vccz .LBB9_507
; %bb.475:
	s_cmp_gt_i32 s0, 22
	s_cbranch_scc0 .LBB9_487
; %bb.476:
	s_cmp_lt_i32 s0, 24
	s_cbranch_scc1 .LBB9_488
; %bb.477:
	s_cmp_gt_i32 s0, 24
	s_cbranch_scc0 .LBB9_489
; %bb.478:
	global_load_ubyte v5, v[0:1], off
	s_mov_b32 s1, 0
	s_mov_b32 s23, exec_lo
	s_waitcnt vmcnt(0)
	v_cmpx_lt_i16_e32 0x7f, v5
	s_xor_b32 s23, exec_lo, s23
	s_cbranch_execz .LBB9_482
; %bb.479:
	s_mov_b32 s1, -1
	s_mov_b32 s39, exec_lo
	v_cmpx_eq_u16_e32 0x80, v5
; %bb.480:
	s_xor_b32 s1, exec_lo, -1
; %bb.481:
	s_or_b32 exec_lo, exec_lo, s39
	s_and_b32 s1, s1, exec_lo
.LBB9_482:
	s_or_saveexec_b32 s23, s23
	v_bfrev_b32_e32 v3, 4
	v_mov_b32_e32 v4, 0x7ff80000
	s_xor_b32 exec_lo, exec_lo, s23
; %bb.483:
	v_cmp_ne_u16_e32 vcc_lo, 0, v5
	v_mov_b32_e32 v3, 0
	v_mov_b32_e32 v4, 0
	s_andn2_b32 s1, s1, exec_lo
	s_and_b32 s39, vcc_lo, exec_lo
	s_or_b32 s1, s1, s39
; %bb.484:
	s_or_b32 exec_lo, exec_lo, s23
	s_and_saveexec_b32 s23, s1
	s_cbranch_execz .LBB9_486
; %bb.485:
	v_and_b32_e32 v3, 0xffff, v5
	v_lshlrev_b32_e32 v5, 24, v5
	v_and_b32_e32 v4, 3, v3
	v_bfe_u32 v9, v3, 2, 5
	v_ffbh_u32_e32 v6, v4
	v_cmp_eq_u32_e32 vcc_lo, 0, v9
	v_min_u32_e32 v6, 32, v6
	v_subrev_nc_u32_e32 v7, 29, v6
	v_sub_nc_u32_e32 v6, 30, v6
	v_lshlrev_b32_e32 v3, v7, v3
	v_cndmask_b32_e32 v6, v9, v6, vcc_lo
	v_and_b32_e32 v3, 3, v3
	v_cndmask_b32_e32 v3, v4, v3, vcc_lo
	v_and_b32_e32 v4, 0x80000000, v5
	v_lshl_add_u32 v5, v6, 23, 0x37800000
	v_lshlrev_b32_e32 v3, 21, v3
	v_or3_b32 v3, v4, v5, v3
	v_cvt_f64_f32_e32 v[3:4], v3
.LBB9_486:
	s_or_b32 exec_lo, exec_lo, s23
	s_mov_b32 s1, 0
	s_branch .LBB9_490
.LBB9_487:
	s_mov_b32 s23, -1
                                        ; implicit-def: $vgpr3_vgpr4
	s_branch .LBB9_496
.LBB9_488:
	s_mov_b32 s1, -1
                                        ; implicit-def: $vgpr3_vgpr4
	s_branch .LBB9_493
.LBB9_489:
	s_mov_b32 s1, -1
                                        ; implicit-def: $vgpr3_vgpr4
.LBB9_490:
	s_and_b32 vcc_lo, exec_lo, s1
	s_cbranch_vccz .LBB9_492
; %bb.491:
	global_load_ubyte v3, v[0:1], off
	s_waitcnt vmcnt(0)
	v_lshlrev_b32_e32 v3, 24, v3
	v_and_b32_e32 v4, 0x7f000000, v3
	v_ffbh_u32_e32 v5, v4
	v_add_nc_u32_e32 v7, 0x1000000, v4
	v_cmp_ne_u32_e32 vcc_lo, 0, v4
	v_min_u32_e32 v5, 32, v5
	v_sub_nc_u32_e64 v5, v5, 4 clamp
	v_lshlrev_b32_e32 v6, v5, v4
	v_lshlrev_b32_e32 v5, 23, v5
	v_lshrrev_b32_e32 v6, 4, v6
	v_sub_nc_u32_e32 v5, v6, v5
	v_ashrrev_i32_e32 v6, 8, v7
	v_add_nc_u32_e32 v5, 0x3c000000, v5
	v_and_or_b32 v5, 0x7f800000, v6, v5
	v_cndmask_b32_e32 v4, 0, v5, vcc_lo
	v_and_or_b32 v3, 0x80000000, v3, v4
	v_cvt_f64_f32_e32 v[3:4], v3
.LBB9_492:
	s_mov_b32 s1, 0
.LBB9_493:
	s_andn2_b32 vcc_lo, exec_lo, s1
	s_cbranch_vccnz .LBB9_495
; %bb.494:
	global_load_ubyte v3, v[0:1], off
	s_waitcnt vmcnt(0)
	v_lshlrev_b32_e32 v4, 25, v3
	v_lshlrev_b16 v3, 8, v3
	v_lshrrev_b32_e32 v5, 4, v4
	v_and_or_b32 v6, 0x7f00, v3, 0.5
	v_cmp_gt_u32_e32 vcc_lo, 0x8000000, v4
	v_bfe_i32 v3, v3, 0, 16
	v_or_b32_e32 v5, 0x70000000, v5
	v_add_f32_e32 v6, -0.5, v6
	v_mul_f32_e32 v5, 0x7800000, v5
	v_cndmask_b32_e32 v4, v5, v6, vcc_lo
	v_and_or_b32 v3, 0x80000000, v3, v4
	v_cvt_f64_f32_e32 v[3:4], v3
.LBB9_495:
	s_mov_b32 s23, 0
	s_mov_b32 s1, -1
.LBB9_496:
	s_andn2_b32 vcc_lo, exec_lo, s23
	s_cbranch_vccnz .LBB9_507
; %bb.497:
	s_cmp_gt_i32 s0, 14
	s_cbranch_scc0 .LBB9_500
; %bb.498:
	s_cmp_eq_u32 s0, 15
	s_cbranch_scc0 .LBB9_501
; %bb.499:
	global_load_ushort v3, v[0:1], off
	s_mov_b32 s1, -1
	s_mov_b32 s22, 0
	s_waitcnt vmcnt(0)
	v_lshlrev_b32_e32 v3, 16, v3
	v_cvt_f64_f32_e32 v[3:4], v3
	s_branch .LBB9_502
.LBB9_500:
	s_mov_b32 s23, -1
                                        ; implicit-def: $vgpr3_vgpr4
	s_branch .LBB9_503
.LBB9_501:
	s_mov_b32 s22, -1
                                        ; implicit-def: $vgpr3_vgpr4
.LBB9_502:
	s_mov_b32 s23, 0
.LBB9_503:
	s_and_b32 vcc_lo, exec_lo, s23
	s_cbranch_vccz .LBB9_507
; %bb.504:
	s_cmp_eq_u32 s0, 11
	s_cbranch_scc0 .LBB9_506
; %bb.505:
	global_load_ubyte v3, v[0:1], off
	s_mov_b32 s22, 0
	s_mov_b32 s1, -1
	s_waitcnt vmcnt(0)
	v_cmp_ne_u16_e32 vcc_lo, 0, v3
	v_mov_b32_e32 v3, 0
	v_cndmask_b32_e64 v4, 0, 0x3ff00000, vcc_lo
	s_branch .LBB9_507
.LBB9_506:
	s_mov_b32 s22, -1
                                        ; implicit-def: $vgpr3_vgpr4
.LBB9_507:
	s_branch .LBB9_301
.LBB9_508:
	s_cmp_lt_i32 s0, 5
	s_cbranch_scc1 .LBB9_513
; %bb.509:
	s_cmp_lt_i32 s0, 8
	s_cbranch_scc1 .LBB9_514
; %bb.510:
	;; [unrolled: 3-line block ×3, first 2 shown]
	s_cmp_gt_i32 s0, 9
	s_cbranch_scc0 .LBB9_516
; %bb.512:
	global_load_dwordx2 v[3:4], v[0:1], off
	s_mov_b32 s1, 0
	s_branch .LBB9_517
.LBB9_513:
	s_mov_b32 s1, -1
                                        ; implicit-def: $vgpr3_vgpr4
	s_branch .LBB9_535
.LBB9_514:
	s_mov_b32 s1, -1
                                        ; implicit-def: $vgpr3_vgpr4
	s_branch .LBB9_523
.LBB9_515:
	s_mov_b32 s1, -1
                                        ; implicit-def: $vgpr3_vgpr4
	s_branch .LBB9_520
.LBB9_516:
	s_mov_b32 s1, -1
                                        ; implicit-def: $vgpr3_vgpr4
.LBB9_517:
	s_andn2_b32 vcc_lo, exec_lo, s1
	s_cbranch_vccnz .LBB9_519
; %bb.518:
	global_load_dword v3, v[0:1], off
	s_waitcnt vmcnt(0)
	v_cvt_f64_f32_e32 v[3:4], v3
.LBB9_519:
	s_mov_b32 s1, 0
.LBB9_520:
	s_andn2_b32 vcc_lo, exec_lo, s1
	s_cbranch_vccnz .LBB9_522
; %bb.521:
	global_load_dword v3, v[0:1], off
	s_waitcnt vmcnt(0)
	v_cvt_f32_f16_e32 v3, v3
	v_cvt_f64_f32_e32 v[3:4], v3
.LBB9_522:
	s_mov_b32 s1, 0
.LBB9_523:
	s_andn2_b32 vcc_lo, exec_lo, s1
	s_cbranch_vccnz .LBB9_534
; %bb.524:
	s_cmp_lt_i32 s0, 6
	s_cbranch_scc1 .LBB9_527
; %bb.525:
	s_cmp_gt_i32 s0, 6
	s_cbranch_scc0 .LBB9_528
; %bb.526:
	global_load_dwordx2 v[3:4], v[0:1], off
	s_mov_b32 s1, 0
	s_branch .LBB9_529
.LBB9_527:
	s_mov_b32 s1, -1
                                        ; implicit-def: $vgpr3_vgpr4
	s_branch .LBB9_532
.LBB9_528:
	s_mov_b32 s1, -1
                                        ; implicit-def: $vgpr3_vgpr4
.LBB9_529:
	s_andn2_b32 vcc_lo, exec_lo, s1
	s_cbranch_vccnz .LBB9_531
; %bb.530:
	global_load_dword v3, v[0:1], off
	s_waitcnt vmcnt(0)
	v_cvt_f64_f32_e32 v[3:4], v3
.LBB9_531:
	s_mov_b32 s1, 0
.LBB9_532:
	s_andn2_b32 vcc_lo, exec_lo, s1
	s_cbranch_vccnz .LBB9_534
; %bb.533:
	global_load_ushort v3, v[0:1], off
	s_waitcnt vmcnt(0)
	v_cvt_f32_f16_e32 v3, v3
	v_cvt_f64_f32_e32 v[3:4], v3
.LBB9_534:
	s_mov_b32 s1, 0
.LBB9_535:
	s_andn2_b32 vcc_lo, exec_lo, s1
	s_cbranch_vccnz .LBB9_555
; %bb.536:
	s_cmp_lt_i32 s0, 2
	s_cbranch_scc1 .LBB9_540
; %bb.537:
	s_cmp_lt_i32 s0, 3
	s_cbranch_scc1 .LBB9_541
; %bb.538:
	s_cmp_gt_i32 s0, 3
	s_cbranch_scc0 .LBB9_542
; %bb.539:
	global_load_dwordx2 v[3:4], v[0:1], off
	s_mov_b32 s1, 0
	s_waitcnt vmcnt(0)
	v_cvt_f64_i32_e32 v[4:5], v4
	v_cvt_f64_u32_e32 v[6:7], v3
	v_ldexp_f64 v[4:5], v[4:5], 32
	v_add_f64 v[3:4], v[4:5], v[6:7]
	s_branch .LBB9_543
.LBB9_540:
	s_mov_b32 s1, -1
                                        ; implicit-def: $vgpr3_vgpr4
	s_branch .LBB9_549
.LBB9_541:
	s_mov_b32 s1, -1
                                        ; implicit-def: $vgpr3_vgpr4
	s_branch .LBB9_546
.LBB9_542:
	s_mov_b32 s1, -1
                                        ; implicit-def: $vgpr3_vgpr4
.LBB9_543:
	s_andn2_b32 vcc_lo, exec_lo, s1
	s_cbranch_vccnz .LBB9_545
; %bb.544:
	global_load_dword v3, v[0:1], off
	s_waitcnt vmcnt(0)
	v_cvt_f64_i32_e32 v[3:4], v3
.LBB9_545:
	s_mov_b32 s1, 0
.LBB9_546:
	s_andn2_b32 vcc_lo, exec_lo, s1
	s_cbranch_vccnz .LBB9_548
; %bb.547:
	global_load_sshort v3, v[0:1], off
	s_waitcnt vmcnt(0)
	v_cvt_f64_i32_e32 v[3:4], v3
.LBB9_548:
	s_mov_b32 s1, 0
.LBB9_549:
	s_andn2_b32 vcc_lo, exec_lo, s1
	s_cbranch_vccnz .LBB9_555
; %bb.550:
	s_cmp_gt_i32 s0, 0
	s_mov_b32 s0, 0
	s_cbranch_scc0 .LBB9_552
; %bb.551:
	global_load_sbyte v3, v[0:1], off
	s_waitcnt vmcnt(0)
	v_cvt_f64_i32_e32 v[3:4], v3
	s_branch .LBB9_553
.LBB9_552:
	s_mov_b32 s0, -1
                                        ; implicit-def: $vgpr3_vgpr4
.LBB9_553:
	s_andn2_b32 vcc_lo, exec_lo, s0
	s_cbranch_vccnz .LBB9_555
; %bb.554:
	global_load_ubyte v0, v[0:1], off
	s_waitcnt vmcnt(0)
	v_cvt_f64_u32_e32 v[3:4], v0
.LBB9_555:
	s_branch .LBB9_302
.LBB9_556:
	s_mov_b32 s1, 0
	s_mov_b32 s0, s36
.LBB9_557:
                                        ; implicit-def: $vgpr8
.LBB9_558:
	s_andn2_b32 s23, s36, exec_lo
	s_and_b32 s0, s0, exec_lo
	s_andn2_b32 s39, s37, exec_lo
	s_and_b32 s22, s22, exec_lo
	s_or_b32 s40, s23, s0
	s_or_b32 s39, s39, s22
	s_orn2_b32 s0, s1, exec_lo
.LBB9_559:
	s_or_b32 exec_lo, exec_lo, s41
	s_mov_b32 s1, 0
	s_mov_b32 s23, 0
	;; [unrolled: 1-line block ×3, first 2 shown]
                                        ; implicit-def: $vgpr0_vgpr1
                                        ; implicit-def: $vgpr2
                                        ; implicit-def: $vgpr3_vgpr4
	s_and_saveexec_b32 s41, s0
	s_cbranch_execz .LBB9_944
; %bb.560:
	s_mov_b32 s44, -1
	s_mov_b32 s22, s39
	s_mov_b32 s23, s40
	s_mov_b32 s42, exec_lo
	v_cmpx_gt_i32_e64 s33, v8
	s_cbranch_execz .LBB9_843
; %bb.561:
	s_andn2_b32 vcc_lo, exec_lo, s27
	s_cbranch_vccnz .LBB9_566
; %bb.562:
	s_andn2_b32 vcc_lo, exec_lo, s34
	s_cbranch_vccnz .LBB9_567
; %bb.563:
	s_add_i32 s44, s35, 1
	s_cmp_eq_u32 s25, 2
	s_cbranch_scc1 .LBB9_568
; %bb.564:
	v_mov_b32_e32 v0, 0
	v_mov_b32_e32 v2, 0
	;; [unrolled: 1-line block ×3, first 2 shown]
	s_and_b32 s43, s44, 28
	s_mov_b32 s45, 0
	s_mov_b64 s[0:1], s[2:3]
	s_mov_b64 s[22:23], s[20:21]
.LBB9_565:                              ; =>This Inner Loop Header: Depth=1
	s_clause 0x1
	s_load_dwordx8 s[48:55], s[0:1], 0x4
	s_load_dwordx4 s[64:67], s[0:1], 0x24
	s_load_dwordx8 s[56:63], s[22:23], 0x0
	s_add_u32 s0, s0, 48
	s_addc_u32 s1, s1, 0
	s_add_i32 s45, s45, 4
	s_add_u32 s22, s22, 32
	s_addc_u32 s23, s23, 0
	s_cmp_eq_u32 s43, s45
	s_waitcnt vmcnt(0) lgkmcnt(0)
	v_mul_hi_u32 v3, s49, v1
	v_add_nc_u32_e32 v3, v1, v3
	v_lshrrev_b32_e32 v3, s50, v3
	v_mul_hi_u32 v4, s52, v3
	v_mul_lo_u32 v6, v3, s48
	v_add_nc_u32_e32 v4, v3, v4
	v_sub_nc_u32_e32 v1, v1, v6
	v_lshrrev_b32_e32 v4, s53, v4
	v_mul_lo_u32 v6, v1, s56
	v_mul_lo_u32 v9, v1, s57
	v_mul_hi_u32 v5, s55, v4
	v_add_nc_u32_e32 v5, v4, v5
	v_lshrrev_b32_e32 v5, s64, v5
	v_mul_hi_u32 v7, s66, v5
	v_mul_lo_u32 v10, v5, s54
	v_add_nc_u32_e32 v1, v5, v7
	v_mul_lo_u32 v7, v4, s51
	v_sub_nc_u32_e32 v4, v4, v10
	v_lshrrev_b32_e32 v1, s67, v1
	v_mul_lo_u32 v10, v4, s60
	v_mul_lo_u32 v4, v4, s61
	v_sub_nc_u32_e32 v3, v3, v7
	v_mul_lo_u32 v11, v1, s65
	v_mul_lo_u32 v7, v3, s58
	;; [unrolled: 1-line block ×3, first 2 shown]
	v_sub_nc_u32_e32 v5, v5, v11
	v_add3_u32 v2, v6, v2, v7
	v_mul_lo_u32 v11, v5, s62
	v_mul_lo_u32 v5, v5, s63
	v_add3_u32 v0, v9, v0, v3
	v_add3_u32 v2, v10, v2, v11
	;; [unrolled: 1-line block ×3, first 2 shown]
	s_cbranch_scc0 .LBB9_565
	s_branch .LBB9_569
.LBB9_566:
	s_mov_b32 s0, -1
                                        ; implicit-def: $vgpr2
                                        ; implicit-def: $vgpr0
	s_branch .LBB9_573
.LBB9_567:
	v_mov_b32_e32 v2, 0
	v_mov_b32_e32 v0, 0
	s_branch .LBB9_572
.LBB9_568:
	v_mov_b32_e32 v2, 0
	v_mov_b32_e32 v0, 0
	;; [unrolled: 1-line block ×3, first 2 shown]
	s_mov_b32 s43, 0
.LBB9_569:
	s_and_b32 s44, s44, 3
	s_cmp_eq_u32 s44, 0
	s_cbranch_scc1 .LBB9_572
; %bb.570:
	s_lshl_b32 s0, s43, 3
	s_mul_i32 s22, s43, 12
	s_add_u32 s0, s2, s0
	s_addc_u32 s1, s3, 0
	s_add_u32 s0, s0, 0xc4
	s_addc_u32 s1, s1, 0
	;; [unrolled: 2-line block ×3, first 2 shown]
	.p2align	6
.LBB9_571:                              ; =>This Inner Loop Header: Depth=1
	s_clause 0x1
	s_load_dwordx2 s[46:47], s[22:23], 0x4
	s_load_dword s43, s[22:23], 0xc
	s_load_dwordx2 s[48:49], s[0:1], 0x0
	s_add_u32 s22, s22, 12
	s_addc_u32 s23, s23, 0
	s_add_u32 s0, s0, 8
	s_addc_u32 s1, s1, 0
	s_add_i32 s44, s44, -1
	s_cmp_lg_u32 s44, 0
	s_waitcnt vmcnt(0) lgkmcnt(0)
	v_mul_hi_u32 v3, s47, v1
	v_add_nc_u32_e32 v3, v1, v3
	v_lshrrev_b32_e32 v4, s43, v3
	v_mul_lo_u32 v3, v4, s46
	v_sub_nc_u32_e32 v1, v1, v3
	v_mad_u64_u32 v[2:3], null, v1, s48, v[2:3]
	v_mad_u64_u32 v[0:1], null, v1, s49, v[0:1]
	v_mov_b32_e32 v1, v4
	s_cbranch_scc1 .LBB9_571
.LBB9_572:
	s_mov_b32 s0, 0
.LBB9_573:
	s_andn2_b32 vcc_lo, exec_lo, s0
	s_cbranch_vccnz .LBB9_576
; %bb.574:
	s_waitcnt lgkmcnt(0)
	v_mul_hi_u32 v0, s17, v8
	s_andn2_b32 vcc_lo, exec_lo, s31
	v_add_nc_u32_e32 v0, v8, v0
	v_lshrrev_b32_e32 v1, s18, v0
	v_mul_lo_u32 v0, v1, s16
	v_sub_nc_u32_e32 v0, v8, v0
	v_mul_lo_u32 v2, v0, s12
	v_mul_lo_u32 v0, v0, s13
	s_cbranch_vccnz .LBB9_576
; %bb.575:
	s_waitcnt vmcnt(0)
	v_mul_hi_u32 v3, s6, v1
	v_add_nc_u32_e32 v3, v1, v3
	v_lshrrev_b32_e32 v3, s7, v3
	v_mul_lo_u32 v3, v3, s19
	v_sub_nc_u32_e32 v1, v1, v3
	v_mad_u64_u32 v[2:3], null, v1, s14, v[2:3]
	v_mad_u64_u32 v[0:1], null, v1, s15, v[0:1]
.LBB9_576:
	s_waitcnt lgkmcnt(0)
	v_add_co_u32 v0, s0, s10, v0
	v_add_co_ci_u32_e64 v1, null, s11, 0, s0
	s_and_b32 s0, 0xffff, s30
	s_cmp_lt_i32 s0, 11
	s_cbranch_scc1 .LBB9_583
; %bb.577:
	s_cmp_gt_i32 s0, 25
	s_cbranch_scc0 .LBB9_584
; %bb.578:
	s_cmp_gt_i32 s0, 28
	s_cbranch_scc0 .LBB9_585
	;; [unrolled: 3-line block ×4, first 2 shown]
; %bb.581:
	s_cmp_eq_u32 s0, 46
	s_mov_b32 s23, 0
	s_cbranch_scc0 .LBB9_592
; %bb.582:
	global_load_dword v3, v[0:1], off
	s_mov_b32 s1, -1
	s_mov_b32 s22, 0
	s_waitcnt vmcnt(0)
	v_lshlrev_b32_e32 v3, 16, v3
	v_cvt_f64_f32_e32 v[3:4], v3
	s_branch .LBB9_594
.LBB9_583:
	s_mov_b32 s23, -1
	s_mov_b32 s1, 0
	s_mov_b32 s22, s39
                                        ; implicit-def: $vgpr3_vgpr4
	s_branch .LBB9_659
.LBB9_584:
	s_mov_b32 s23, -1
	s_mov_b32 s1, 0
	s_mov_b32 s22, s39
                                        ; implicit-def: $vgpr3_vgpr4
	s_branch .LBB9_625
.LBB9_585:
	s_mov_b32 s23, -1
	s_mov_b32 s1, 0
	s_mov_b32 s22, s39
                                        ; implicit-def: $vgpr3_vgpr4
	s_branch .LBB9_604
.LBB9_586:
	s_mov_b32 s23, -1
	s_mov_b32 s1, 0
	s_mov_b32 s22, s39
                                        ; implicit-def: $vgpr3_vgpr4
	s_branch .LBB9_599
.LBB9_587:
	s_andn2_saveexec_b32 s42, s42
	s_cbranch_execz .LBB9_356
.LBB9_588:
	v_add_f32_e64 v3, 0x46000000, |v2|
	s_andn2_b32 s40, s40, exec_lo
	v_and_b32_e32 v3, 0xff, v3
	v_cmp_ne_u32_e32 vcc_lo, 0, v3
	s_and_b32 s43, vcc_lo, exec_lo
	s_or_b32 s40, s40, s43
	s_or_b32 exec_lo, exec_lo, s42
	v_mov_b32_e32 v6, 0
	s_and_saveexec_b32 s42, s40
	s_cbranch_execnz .LBB9_357
	s_branch .LBB9_358
.LBB9_589:
	s_mov_b32 s23, -1
	s_mov_b32 s1, 0
	s_mov_b32 s22, s39
	s_branch .LBB9_593
.LBB9_590:
	s_andn2_saveexec_b32 s42, s42
	s_cbranch_execz .LBB9_369
.LBB9_591:
	v_add_f32_e64 v3, 0x42800000, |v2|
	s_andn2_b32 s40, s40, exec_lo
	v_and_b32_e32 v3, 0xff, v3
	v_cmp_ne_u32_e32 vcc_lo, 0, v3
	s_and_b32 s43, vcc_lo, exec_lo
	s_or_b32 s40, s40, s43
	s_or_b32 exec_lo, exec_lo, s42
	v_mov_b32_e32 v6, 0
	s_and_saveexec_b32 s42, s40
	s_cbranch_execnz .LBB9_370
	s_branch .LBB9_371
.LBB9_592:
	s_mov_b32 s22, -1
	s_mov_b32 s1, 0
.LBB9_593:
                                        ; implicit-def: $vgpr3_vgpr4
.LBB9_594:
	s_and_b32 vcc_lo, exec_lo, s23
	s_cbranch_vccz .LBB9_598
; %bb.595:
	s_cmp_eq_u32 s0, 44
	s_cbranch_scc0 .LBB9_597
; %bb.596:
	global_load_ubyte v5, v[0:1], off
	s_mov_b32 s22, 0
	s_mov_b32 s1, -1
	s_waitcnt vmcnt(0)
	v_lshlrev_b32_e32 v3, 23, v5
	v_cmp_ne_u32_e32 vcc_lo, 0xff, v5
	v_cvt_f64_f32_e32 v[3:4], v3
	v_cndmask_b32_e32 v3, 0x20000000, v3, vcc_lo
	v_cndmask_b32_e32 v4, 0x7ff80000, v4, vcc_lo
	v_cmp_ne_u32_e32 vcc_lo, 0, v5
	v_cndmask_b32_e32 v4, 0x38000000, v4, vcc_lo
	v_cndmask_b32_e32 v3, 0, v3, vcc_lo
	s_branch .LBB9_598
.LBB9_597:
	s_mov_b32 s22, -1
                                        ; implicit-def: $vgpr3_vgpr4
.LBB9_598:
	s_mov_b32 s23, 0
.LBB9_599:
	s_and_b32 vcc_lo, exec_lo, s23
	s_cbranch_vccz .LBB9_603
; %bb.600:
	s_cmp_eq_u32 s0, 29
	s_cbranch_scc0 .LBB9_602
; %bb.601:
	global_load_dwordx2 v[3:4], v[0:1], off
	s_mov_b32 s1, -1
	s_mov_b32 s22, 0
	s_mov_b32 s23, 0
	s_waitcnt vmcnt(0)
	v_cvt_f64_u32_e32 v[4:5], v4
	v_cvt_f64_u32_e32 v[6:7], v3
	v_ldexp_f64 v[4:5], v[4:5], 32
	v_add_f64 v[3:4], v[4:5], v[6:7]
	s_branch .LBB9_604
.LBB9_602:
	s_mov_b32 s22, -1
                                        ; implicit-def: $vgpr3_vgpr4
.LBB9_603:
	s_mov_b32 s23, 0
.LBB9_604:
	s_and_b32 vcc_lo, exec_lo, s23
	s_cbranch_vccz .LBB9_624
; %bb.605:
	s_cmp_lt_i32 s0, 27
	s_cbranch_scc1 .LBB9_608
; %bb.606:
	s_cmp_gt_i32 s0, 27
	s_cbranch_scc0 .LBB9_609
; %bb.607:
	global_load_dword v3, v[0:1], off
	s_mov_b32 s1, 0
	s_waitcnt vmcnt(0)
	v_cvt_f64_u32_e32 v[3:4], v3
	s_branch .LBB9_610
.LBB9_608:
	s_mov_b32 s1, -1
                                        ; implicit-def: $vgpr3_vgpr4
	s_branch .LBB9_613
.LBB9_609:
	s_mov_b32 s1, -1
                                        ; implicit-def: $vgpr3_vgpr4
.LBB9_610:
	s_andn2_b32 vcc_lo, exec_lo, s1
	s_cbranch_vccnz .LBB9_612
; %bb.611:
	global_load_ushort v3, v[0:1], off
	s_waitcnt vmcnt(0)
	v_cvt_f64_u32_e32 v[3:4], v3
.LBB9_612:
	s_mov_b32 s1, 0
.LBB9_613:
	s_andn2_b32 vcc_lo, exec_lo, s1
	s_cbranch_vccnz .LBB9_623
; %bb.614:
	global_load_ubyte v5, v[0:1], off
	s_mov_b32 s1, 0
	s_mov_b32 s23, exec_lo
	s_waitcnt vmcnt(0)
	v_cmpx_lt_i16_e32 0x7f, v5
	s_xor_b32 s23, exec_lo, s23
	s_cbranch_execz .LBB9_618
; %bb.615:
	s_mov_b32 s1, -1
	s_mov_b32 s43, exec_lo
	v_cmpx_eq_u16_e32 0x80, v5
; %bb.616:
	s_xor_b32 s1, exec_lo, -1
; %bb.617:
	s_or_b32 exec_lo, exec_lo, s43
	s_and_b32 s1, s1, exec_lo
.LBB9_618:
	s_or_saveexec_b32 s23, s23
	v_bfrev_b32_e32 v3, 4
	v_mov_b32_e32 v4, 0x7ff80000
	s_xor_b32 exec_lo, exec_lo, s23
; %bb.619:
	v_cmp_ne_u16_e32 vcc_lo, 0, v5
	v_mov_b32_e32 v3, 0
	v_mov_b32_e32 v4, 0
	s_andn2_b32 s1, s1, exec_lo
	s_and_b32 s43, vcc_lo, exec_lo
	s_or_b32 s1, s1, s43
; %bb.620:
	s_or_b32 exec_lo, exec_lo, s23
	s_and_saveexec_b32 s23, s1
	s_cbranch_execz .LBB9_622
; %bb.621:
	v_and_b32_e32 v3, 0xffff, v5
	v_lshlrev_b32_e32 v5, 24, v5
	v_and_b32_e32 v4, 7, v3
	v_bfe_u32 v9, v3, 3, 4
	v_ffbh_u32_e32 v6, v4
	v_cmp_eq_u32_e32 vcc_lo, 0, v9
	v_min_u32_e32 v6, 32, v6
	v_subrev_nc_u32_e32 v7, 28, v6
	v_sub_nc_u32_e32 v6, 29, v6
	v_lshlrev_b32_e32 v3, v7, v3
	v_cndmask_b32_e32 v6, v9, v6, vcc_lo
	v_and_b32_e32 v3, 7, v3
	v_cndmask_b32_e32 v3, v4, v3, vcc_lo
	v_and_b32_e32 v4, 0x80000000, v5
	v_lshl_add_u32 v5, v6, 23, 0x3b800000
	v_lshlrev_b32_e32 v3, 20, v3
	v_or3_b32 v3, v4, v5, v3
	v_cvt_f64_f32_e32 v[3:4], v3
.LBB9_622:
	s_or_b32 exec_lo, exec_lo, s23
.LBB9_623:
	s_mov_b32 s1, -1
.LBB9_624:
	s_mov_b32 s23, 0
.LBB9_625:
	s_and_b32 vcc_lo, exec_lo, s23
	s_cbranch_vccz .LBB9_658
; %bb.626:
	s_cmp_gt_i32 s0, 22
	s_cbranch_scc0 .LBB9_638
; %bb.627:
	s_cmp_lt_i32 s0, 24
	s_cbranch_scc1 .LBB9_639
; %bb.628:
	s_cmp_gt_i32 s0, 24
	s_cbranch_scc0 .LBB9_640
; %bb.629:
	global_load_ubyte v5, v[0:1], off
	s_mov_b32 s1, 0
	s_mov_b32 s23, exec_lo
	s_waitcnt vmcnt(0)
	v_cmpx_lt_i16_e32 0x7f, v5
	s_xor_b32 s23, exec_lo, s23
	s_cbranch_execz .LBB9_633
; %bb.630:
	s_mov_b32 s1, -1
	s_mov_b32 s43, exec_lo
	v_cmpx_eq_u16_e32 0x80, v5
; %bb.631:
	s_xor_b32 s1, exec_lo, -1
; %bb.632:
	s_or_b32 exec_lo, exec_lo, s43
	s_and_b32 s1, s1, exec_lo
.LBB9_633:
	s_or_saveexec_b32 s23, s23
	v_bfrev_b32_e32 v3, 4
	v_mov_b32_e32 v4, 0x7ff80000
	s_xor_b32 exec_lo, exec_lo, s23
; %bb.634:
	v_cmp_ne_u16_e32 vcc_lo, 0, v5
	v_mov_b32_e32 v3, 0
	v_mov_b32_e32 v4, 0
	s_andn2_b32 s1, s1, exec_lo
	s_and_b32 s43, vcc_lo, exec_lo
	s_or_b32 s1, s1, s43
; %bb.635:
	s_or_b32 exec_lo, exec_lo, s23
	s_and_saveexec_b32 s23, s1
	s_cbranch_execz .LBB9_637
; %bb.636:
	v_and_b32_e32 v3, 0xffff, v5
	v_lshlrev_b32_e32 v5, 24, v5
	v_and_b32_e32 v4, 3, v3
	v_bfe_u32 v9, v3, 2, 5
	v_ffbh_u32_e32 v6, v4
	v_cmp_eq_u32_e32 vcc_lo, 0, v9
	v_min_u32_e32 v6, 32, v6
	v_subrev_nc_u32_e32 v7, 29, v6
	v_sub_nc_u32_e32 v6, 30, v6
	v_lshlrev_b32_e32 v3, v7, v3
	v_cndmask_b32_e32 v6, v9, v6, vcc_lo
	v_and_b32_e32 v3, 3, v3
	v_cndmask_b32_e32 v3, v4, v3, vcc_lo
	v_and_b32_e32 v4, 0x80000000, v5
	v_lshl_add_u32 v5, v6, 23, 0x37800000
	v_lshlrev_b32_e32 v3, 21, v3
	v_or3_b32 v3, v4, v5, v3
	v_cvt_f64_f32_e32 v[3:4], v3
.LBB9_637:
	s_or_b32 exec_lo, exec_lo, s23
	s_mov_b32 s1, 0
	s_branch .LBB9_641
.LBB9_638:
	s_mov_b32 s23, -1
                                        ; implicit-def: $vgpr3_vgpr4
	s_branch .LBB9_647
.LBB9_639:
	s_mov_b32 s1, -1
                                        ; implicit-def: $vgpr3_vgpr4
	s_branch .LBB9_644
.LBB9_640:
	s_mov_b32 s1, -1
                                        ; implicit-def: $vgpr3_vgpr4
.LBB9_641:
	s_and_b32 vcc_lo, exec_lo, s1
	s_cbranch_vccz .LBB9_643
; %bb.642:
	global_load_ubyte v3, v[0:1], off
	s_waitcnt vmcnt(0)
	v_lshlrev_b32_e32 v3, 24, v3
	v_and_b32_e32 v4, 0x7f000000, v3
	v_ffbh_u32_e32 v5, v4
	v_add_nc_u32_e32 v7, 0x1000000, v4
	v_cmp_ne_u32_e32 vcc_lo, 0, v4
	v_min_u32_e32 v5, 32, v5
	v_sub_nc_u32_e64 v5, v5, 4 clamp
	v_lshlrev_b32_e32 v6, v5, v4
	v_lshlrev_b32_e32 v5, 23, v5
	v_lshrrev_b32_e32 v6, 4, v6
	v_sub_nc_u32_e32 v5, v6, v5
	v_ashrrev_i32_e32 v6, 8, v7
	v_add_nc_u32_e32 v5, 0x3c000000, v5
	v_and_or_b32 v5, 0x7f800000, v6, v5
	v_cndmask_b32_e32 v4, 0, v5, vcc_lo
	v_and_or_b32 v3, 0x80000000, v3, v4
	v_cvt_f64_f32_e32 v[3:4], v3
.LBB9_643:
	s_mov_b32 s1, 0
.LBB9_644:
	s_andn2_b32 vcc_lo, exec_lo, s1
	s_cbranch_vccnz .LBB9_646
; %bb.645:
	global_load_ubyte v3, v[0:1], off
	s_waitcnt vmcnt(0)
	v_lshlrev_b32_e32 v4, 25, v3
	v_lshlrev_b16 v3, 8, v3
	v_lshrrev_b32_e32 v5, 4, v4
	v_and_or_b32 v6, 0x7f00, v3, 0.5
	v_cmp_gt_u32_e32 vcc_lo, 0x8000000, v4
	v_bfe_i32 v3, v3, 0, 16
	v_or_b32_e32 v5, 0x70000000, v5
	v_add_f32_e32 v6, -0.5, v6
	v_mul_f32_e32 v5, 0x7800000, v5
	v_cndmask_b32_e32 v4, v5, v6, vcc_lo
	v_and_or_b32 v3, 0x80000000, v3, v4
	v_cvt_f64_f32_e32 v[3:4], v3
.LBB9_646:
	s_mov_b32 s23, 0
	s_mov_b32 s1, -1
.LBB9_647:
	s_andn2_b32 vcc_lo, exec_lo, s23
	s_cbranch_vccnz .LBB9_658
; %bb.648:
	s_cmp_gt_i32 s0, 14
	s_cbranch_scc0 .LBB9_651
; %bb.649:
	s_cmp_eq_u32 s0, 15
	s_cbranch_scc0 .LBB9_652
; %bb.650:
	global_load_ushort v3, v[0:1], off
	s_mov_b32 s1, -1
	s_mov_b32 s22, 0
	s_waitcnt vmcnt(0)
	v_lshlrev_b32_e32 v3, 16, v3
	v_cvt_f64_f32_e32 v[3:4], v3
	s_branch .LBB9_653
.LBB9_651:
	s_mov_b32 s23, -1
                                        ; implicit-def: $vgpr3_vgpr4
	s_branch .LBB9_654
.LBB9_652:
	s_mov_b32 s22, -1
                                        ; implicit-def: $vgpr3_vgpr4
.LBB9_653:
	s_mov_b32 s23, 0
.LBB9_654:
	s_and_b32 vcc_lo, exec_lo, s23
	s_cbranch_vccz .LBB9_658
; %bb.655:
	s_cmp_eq_u32 s0, 11
	s_cbranch_scc0 .LBB9_657
; %bb.656:
	global_load_ubyte v3, v[0:1], off
	s_mov_b32 s22, 0
	s_mov_b32 s1, -1
	s_waitcnt vmcnt(0)
	v_cmp_ne_u16_e32 vcc_lo, 0, v3
	v_mov_b32_e32 v3, 0
	v_cndmask_b32_e64 v4, 0, 0x3ff00000, vcc_lo
	s_branch .LBB9_658
.LBB9_657:
	s_mov_b32 s22, -1
                                        ; implicit-def: $vgpr3_vgpr4
.LBB9_658:
	s_mov_b32 s23, 0
.LBB9_659:
	s_and_b32 vcc_lo, exec_lo, s23
	s_cbranch_vccz .LBB9_708
; %bb.660:
	s_cmp_lt_i32 s0, 5
	s_cbranch_scc1 .LBB9_665
; %bb.661:
	s_cmp_lt_i32 s0, 8
	s_cbranch_scc1 .LBB9_666
; %bb.662:
	s_cmp_lt_i32 s0, 9
	s_cbranch_scc1 .LBB9_667
; %bb.663:
	s_cmp_gt_i32 s0, 9
	s_cbranch_scc0 .LBB9_668
; %bb.664:
	global_load_dwordx2 v[3:4], v[0:1], off
	s_mov_b32 s1, 0
	s_branch .LBB9_669
.LBB9_665:
	s_mov_b32 s1, -1
                                        ; implicit-def: $vgpr3_vgpr4
	s_branch .LBB9_687
.LBB9_666:
	s_mov_b32 s1, -1
                                        ; implicit-def: $vgpr3_vgpr4
	s_branch .LBB9_675
.LBB9_667:
	s_mov_b32 s1, -1
                                        ; implicit-def: $vgpr3_vgpr4
	s_branch .LBB9_672
.LBB9_668:
	s_mov_b32 s1, -1
                                        ; implicit-def: $vgpr3_vgpr4
.LBB9_669:
	s_andn2_b32 vcc_lo, exec_lo, s1
	s_cbranch_vccnz .LBB9_671
; %bb.670:
	global_load_dword v3, v[0:1], off
	s_waitcnt vmcnt(0)
	v_cvt_f64_f32_e32 v[3:4], v3
.LBB9_671:
	s_mov_b32 s1, 0
.LBB9_672:
	s_andn2_b32 vcc_lo, exec_lo, s1
	s_cbranch_vccnz .LBB9_674
; %bb.673:
	global_load_dword v3, v[0:1], off
	s_waitcnt vmcnt(0)
	v_cvt_f32_f16_e32 v3, v3
	v_cvt_f64_f32_e32 v[3:4], v3
.LBB9_674:
	s_mov_b32 s1, 0
.LBB9_675:
	s_andn2_b32 vcc_lo, exec_lo, s1
	s_cbranch_vccnz .LBB9_686
; %bb.676:
	s_cmp_lt_i32 s0, 6
	s_cbranch_scc1 .LBB9_679
; %bb.677:
	s_cmp_gt_i32 s0, 6
	s_cbranch_scc0 .LBB9_680
; %bb.678:
	global_load_dwordx2 v[3:4], v[0:1], off
	s_mov_b32 s1, 0
	s_branch .LBB9_681
.LBB9_679:
	s_mov_b32 s1, -1
                                        ; implicit-def: $vgpr3_vgpr4
	s_branch .LBB9_684
.LBB9_680:
	s_mov_b32 s1, -1
                                        ; implicit-def: $vgpr3_vgpr4
.LBB9_681:
	s_andn2_b32 vcc_lo, exec_lo, s1
	s_cbranch_vccnz .LBB9_683
; %bb.682:
	global_load_dword v3, v[0:1], off
	s_waitcnt vmcnt(0)
	v_cvt_f64_f32_e32 v[3:4], v3
.LBB9_683:
	s_mov_b32 s1, 0
.LBB9_684:
	s_andn2_b32 vcc_lo, exec_lo, s1
	s_cbranch_vccnz .LBB9_686
; %bb.685:
	global_load_ushort v3, v[0:1], off
	s_waitcnt vmcnt(0)
	v_cvt_f32_f16_e32 v3, v3
	v_cvt_f64_f32_e32 v[3:4], v3
.LBB9_686:
	s_mov_b32 s1, 0
.LBB9_687:
	s_andn2_b32 vcc_lo, exec_lo, s1
	s_cbranch_vccnz .LBB9_707
; %bb.688:
	s_cmp_lt_i32 s0, 2
	s_cbranch_scc1 .LBB9_692
; %bb.689:
	s_cmp_lt_i32 s0, 3
	s_cbranch_scc1 .LBB9_693
; %bb.690:
	s_cmp_gt_i32 s0, 3
	s_cbranch_scc0 .LBB9_694
; %bb.691:
	global_load_dwordx2 v[3:4], v[0:1], off
	s_mov_b32 s1, 0
	s_waitcnt vmcnt(0)
	v_cvt_f64_i32_e32 v[4:5], v4
	v_cvt_f64_u32_e32 v[6:7], v3
	v_ldexp_f64 v[4:5], v[4:5], 32
	v_add_f64 v[3:4], v[4:5], v[6:7]
	s_branch .LBB9_695
.LBB9_692:
	s_mov_b32 s1, -1
                                        ; implicit-def: $vgpr3_vgpr4
	s_branch .LBB9_701
.LBB9_693:
	s_mov_b32 s1, -1
                                        ; implicit-def: $vgpr3_vgpr4
	s_branch .LBB9_698
.LBB9_694:
	s_mov_b32 s1, -1
                                        ; implicit-def: $vgpr3_vgpr4
.LBB9_695:
	s_andn2_b32 vcc_lo, exec_lo, s1
	s_cbranch_vccnz .LBB9_697
; %bb.696:
	global_load_dword v3, v[0:1], off
	s_waitcnt vmcnt(0)
	v_cvt_f64_i32_e32 v[3:4], v3
.LBB9_697:
	s_mov_b32 s1, 0
.LBB9_698:
	s_andn2_b32 vcc_lo, exec_lo, s1
	s_cbranch_vccnz .LBB9_700
; %bb.699:
	global_load_sshort v3, v[0:1], off
	s_waitcnt vmcnt(0)
	v_cvt_f64_i32_e32 v[3:4], v3
.LBB9_700:
	s_mov_b32 s1, 0
.LBB9_701:
	s_andn2_b32 vcc_lo, exec_lo, s1
	s_cbranch_vccnz .LBB9_707
; %bb.702:
	s_cmp_gt_i32 s0, 0
	s_mov_b32 s0, 0
	s_cbranch_scc0 .LBB9_704
; %bb.703:
	global_load_sbyte v3, v[0:1], off
	s_waitcnt vmcnt(0)
	v_cvt_f64_i32_e32 v[3:4], v3
	s_branch .LBB9_705
.LBB9_704:
	s_mov_b32 s0, -1
                                        ; implicit-def: $vgpr3_vgpr4
.LBB9_705:
	s_andn2_b32 vcc_lo, exec_lo, s0
	s_cbranch_vccnz .LBB9_707
; %bb.706:
	global_load_ubyte v0, v[0:1], off
	s_waitcnt vmcnt(0)
	v_cvt_f64_u32_e32 v[3:4], v0
.LBB9_707:
	s_mov_b32 s1, -1
.LBB9_708:
	s_andn2_b32 vcc_lo, exec_lo, s1
	s_cbranch_vccnz .LBB9_724
; %bb.709:
	v_mov_b32_e32 v0, 0
	v_mov_b32_e32 v1, 0x7ff00000
	s_mov_b32 s23, exec_lo
	s_waitcnt vmcnt(0)
	v_cmpx_neq_f64_e32 0, v[3:4]
	s_cbranch_execz .LBB9_717
; %bb.710:
	v_mov_b32_e32 v0, 0
	v_mov_b32_e32 v1, 0x7ff80000
	s_mov_b32 s43, exec_lo
	v_cmpx_ngt_f64_e32 0, v[3:4]
	s_cbranch_execz .LBB9_716
; %bb.711:
                                        ; implicit-def: $vgpr0_vgpr1
	s_mov_b32 s0, exec_lo
	v_cmpx_ge_f64_e32 2.0, v[3:4]
	s_xor_b32 s44, exec_lo, s0
	s_cbranch_execz .LBB9_713
; %bb.712:
	v_fma_f64 v[0:1], v[3:4], 0.5, -2.0
	s_mov_b32 s0, 0xc38a0576
	s_mov_b32 s1, 0xbc7857d0
	;; [unrolled: 1-line block ×4, first 2 shown]
	v_mul_f64 v[11:12], v[3:4], 0.5
	v_fma_f64 v[27:28], v[3:4], v[3:4], -2.0
	s_mov_b32 s49, 0xbc603228
	s_mov_b32 s48, 0x3d3cda56
	;; [unrolled: 1-line block ×4, first 2 shown]
	v_fma_f64 v[5:6], v[0:1], s[46:47], s[0:1]
	s_mov_b32 s47, 0xbc499f2a
	s_mov_b32 s0, 0xe593bfac
	;; [unrolled: 1-line block ×3, first 2 shown]
	v_frexp_mant_f64_e32 v[13:14], v[11:12]
	v_fma_f64 v[9:10], v[0:1], v[5:6], s[46:47]
	s_mov_b32 s46, 0x97eb07de
	s_mov_b32 s47, 0xbdd25103
	v_add_f64 v[9:10], v[9:10], s[0:1]
	s_mov_b32 s0, 0x7e0d1573
	s_mov_b32 s1, 0xbcd3eaaa
	v_fma_f64 v[5:6], v[0:1], v[9:10], -v[5:6]
	v_add_f64 v[5:6], v[5:6], s[0:1]
	s_mov_b32 s0, 0x615290c
	s_mov_b32 s1, 0x3d011d7f
	v_fma_f64 v[9:10], v[0:1], v[5:6], -v[9:10]
	v_add_f64 v[9:10], v[9:10], s[0:1]
	s_mov_b32 s0, 0x1c8f0b3b
	s_mov_b32 s1, 0xbd2c628e
	v_fma_f64 v[5:6], v[0:1], v[9:10], -v[5:6]
	v_add_f64 v[5:6], v[5:6], s[0:1]
	s_mov_b32 s0, 0x4779d955
	s_mov_b32 s1, 0x3d56af78
	v_fma_f64 v[9:10], v[0:1], v[5:6], -v[9:10]
	v_add_f64 v[9:10], v[9:10], s[0:1]
	s_mov_b32 s0, 0x5fb70366
	s_mov_b32 s1, 0xbd817383
	v_fma_f64 v[5:6], v[0:1], v[9:10], -v[5:6]
	v_add_f64 v[5:6], v[5:6], s[0:1]
	s_mov_b32 s0, 0xb21d3154
	s_mov_b32 s1, 0x3da9cee2
	v_fma_f64 v[9:10], v[0:1], v[5:6], -v[9:10]
	v_add_f64 v[9:10], v[9:10], s[0:1]
	s_mov_b32 s1, 0x3fe55555
	s_mov_b32 s0, 0x55555555
	v_cmp_gt_f64_e32 vcc_lo, s[0:1], v[13:14]
	s_mov_b32 s0, 0x55555780
	v_fma_f64 v[5:6], v[0:1], v[9:10], -v[5:6]
	v_cndmask_b32_e64 v7, 0, 1, vcc_lo
	v_ldexp_f64 v[13:14], v[13:14], v7
	v_frexp_exp_i32_f64_e32 v7, v[11:12]
	v_add_f64 v[5:6], v[5:6], s[46:47]
	s_mov_b32 s46, 0xb43fdf6c
	s_mov_b32 s47, 0x3df8ea34
	v_add_f64 v[15:16], v[13:14], 1.0
	v_add_f64 v[21:22], v[13:14], -1.0
	v_subrev_co_ci_u32_e64 v7, null, 0, v7, vcc_lo
	v_fma_f64 v[9:10], v[0:1], v[5:6], -v[9:10]
	v_rcp_f64_e32 v[17:18], v[15:16]
	v_add_f64 v[23:24], v[15:16], -1.0
	v_add_f64 v[9:10], v[9:10], s[46:47]
	s_mov_b32 s46, 0x28ea67e6
	s_mov_b32 s47, 0xbe20361b
	v_add_f64 v[13:14], v[13:14], -v[23:24]
	v_fma_f64 v[19:20], -v[15:16], v[17:18], 1.0
	v_fma_f64 v[5:6], v[0:1], v[9:10], -v[5:6]
	v_fma_f64 v[17:18], v[19:20], v[17:18], v[17:18]
	v_add_f64 v[5:6], v[5:6], s[46:47]
	s_mov_b32 s46, 0x2395010
	s_mov_b32 s47, 0x3e44258e
	v_fma_f64 v[19:20], -v[15:16], v[17:18], 1.0
	v_fma_f64 v[9:10], v[0:1], v[5:6], -v[9:10]
	v_fma_f64 v[17:18], v[19:20], v[17:18], v[17:18]
	v_add_f64 v[9:10], v[9:10], s[46:47]
	s_mov_b32 s46, 0x24b8c3e8
	s_mov_b32 s47, 0xbe67dd3e
	v_mul_f64 v[19:20], v[21:22], v[17:18]
	v_fma_f64 v[5:6], v[0:1], v[9:10], -v[5:6]
	v_mul_f64 v[25:26], v[15:16], v[19:20]
	v_add_f64 v[5:6], v[5:6], s[46:47]
	s_mov_b32 s46, 0xb347d108
	s_mov_b32 s47, 0x3e8ae344
	v_fma_f64 v[15:16], v[19:20], v[15:16], -v[25:26]
	v_fma_f64 v[9:10], v[0:1], v[5:6], -v[9:10]
	v_fma_f64 v[13:14], v[19:20], v[13:14], v[15:16]
	v_add_f64 v[9:10], v[9:10], s[46:47]
	s_mov_b32 s46, 0x7a0399e0
	s_mov_b32 s47, 0xbce5dd51
	v_fma_f64 v[29:30], v[27:28], s[48:49], s[46:47]
	s_mov_b32 s49, 0x3c603228
	s_mov_b32 s46, 0xddd0e045
	;; [unrolled: 1-line block ×3, first 2 shown]
	v_add_f64 v[15:16], v[25:26], v[13:14]
	v_fma_f64 v[5:6], v[0:1], v[9:10], -v[5:6]
	v_add_f64 v[23:24], v[21:22], -v[15:16]
	v_add_f64 v[25:26], v[15:16], -v[25:26]
	v_add_f64 v[5:6], v[5:6], s[50:51]
	s_mov_b32 s50, 0xd3d694fe
	s_mov_b32 s51, 0xbf2533ca
	v_add_f64 v[21:22], v[21:22], -v[23:24]
	v_add_f64 v[13:14], v[25:26], -v[13:14]
	v_fma_f64 v[9:10], v[0:1], v[5:6], -v[9:10]
	v_add_f64 v[15:16], v[21:22], -v[15:16]
	v_fma_f64 v[21:22], v[27:28], v[29:30], s[48:49]
	s_mov_b32 s48, 0xd511afc5
	s_mov_b32 s49, 0x3ecd1c4e
	v_add_f64 v[9:10], v[9:10], s[48:49]
	s_mov_b32 s48, 0xb8debbcf
	s_mov_b32 s49, 0xbeebd5f9
	v_add_f64 v[13:14], v[13:14], v[15:16]
	v_add_f64 v[15:16], v[21:22], s[46:47]
	s_mov_b32 s46, 0xb84626ca
	s_mov_b32 s47, 0xbde3663b
	v_fma_f64 v[5:6], v[0:1], v[9:10], -v[5:6]
	v_add_f64 v[13:14], v[23:24], v[13:14]
	v_fma_f64 v[21:22], v[27:28], v[15:16], -v[29:30]
	v_add_f64 v[5:6], v[5:6], s[48:49]
	s_mov_b32 s48, 0x42c70d0b
	s_mov_b32 s49, 0x3f0911b5
	v_mul_f64 v[13:14], v[17:18], v[13:14]
	v_add_f64 v[17:18], v[21:22], s[46:47]
	s_mov_b32 s46, 0x145c31d0
	s_mov_b32 s47, 0xbe57c41d
	v_fma_f64 v[9:10], v[0:1], v[5:6], -v[9:10]
	v_add_f64 v[21:22], v[19:20], v[13:14]
	v_fma_f64 v[15:16], v[27:28], v[17:18], -v[15:16]
	v_add_f64 v[9:10], v[9:10], s[48:49]
	s_mov_b32 s48, 0xbf559e2b
	s_mov_b32 s49, 0x3fc3ab76
	v_mul_f64 v[23:24], v[21:22], v[21:22]
	v_add_f64 v[15:16], v[15:16], s[46:47]
	s_mov_b32 s46, 0x6b47b09a
	s_mov_b32 s47, 0x3fc38538
	v_add_f64 v[19:20], v[21:22], -v[19:20]
	v_fma_f64 v[5:6], v[0:1], v[9:10], -v[5:6]
	v_fma_f64 v[25:26], v[23:24], s[48:49], s[46:47]
	v_fma_f64 v[17:18], v[27:28], v[15:16], -v[17:18]
	s_mov_b32 s46, 0x2c832e3a
	s_mov_b32 s47, 0xbec469b3
	;; [unrolled: 1-line block ×4, first 2 shown]
	v_mul_f64 v[29:30], v[21:22], v[23:24]
	v_add_f64 v[13:14], v[13:14], -v[19:20]
	v_add_f64 v[5:6], v[5:6], s[50:51]
	s_mov_b32 s50, 0xb6c6df7d
	s_mov_b32 s51, 0x3f40c95d
	v_fma_f64 v[25:26], v[23:24], v[25:26], s[48:49]
	v_add_f64 v[17:18], v[17:18], s[46:47]
	s_mov_b32 s46, 0x16291751
	s_mov_b32 s47, 0x3fcc71c0
	;; [unrolled: 1-line block ×4, first 2 shown]
	v_ldexp_f64 v[13:14], v[13:14], 1
	v_fma_f64 v[9:10], v[0:1], v[5:6], -v[9:10]
	v_fma_f64 v[25:26], v[23:24], v[25:26], s[46:47]
	v_fma_f64 v[15:16], v[27:28], v[17:18], -v[15:16]
	s_mov_b32 s46, 0xe5a3bd02
	s_mov_b32 s47, 0xbf26ade2
	v_add_f64 v[9:10], v[9:10], s[50:51]
	s_mov_b32 s50, 0xe7bb2349
	s_mov_b32 s51, 0x3f9951e3
	v_fma_f64 v[25:26], v[23:24], v[25:26], s[48:49]
	v_add_f64 v[15:16], v[15:16], s[46:47]
	s_mov_b32 s46, 0x998ef7b6
	s_mov_b32 s47, 0x3fd99999
	;; [unrolled: 1-line block ×4, first 2 shown]
	v_fma_f64 v[5:6], v[0:1], v[9:10], -v[5:6]
	v_fma_f64 v[25:26], v[23:24], v[25:26], s[46:47]
	v_fma_f64 v[17:18], v[27:28], v[15:16], -v[17:18]
	s_mov_b32 s46, 0x9d7d4192
	s_mov_b32 s47, 0xbf7c9293
	v_add_f64 v[5:6], v[5:6], s[48:49]
	s_mov_b32 s48, 0x49d3a1b4
	s_mov_b32 s49, 0x3f710653
	v_fma_f64 v[23:24], v[23:24], v[25:26], s[0:1]
	v_add_f64 v[17:18], v[17:18], s[46:47]
	v_ldexp_f64 v[25:26], v[21:22], 1
	s_mov_b32 s0, 0x43c1db74
	s_mov_b32 s1, 0xbfbf6372
	;; [unrolled: 1-line block ×4, first 2 shown]
	v_mul_f64 v[31:32], v[3:4], s[46:47]
	s_mov_b32 s46, 0x757b0dd4
	s_mov_b32 s47, 0xbfd69a1b
	v_fma_f64 v[9:10], v[0:1], v[5:6], -v[9:10]
	v_mul_f64 v[23:24], v[29:30], v[23:24]
	v_fma_f64 v[15:16], v[27:28], v[17:18], -v[15:16]
	v_cvt_f64_i32_e32 v[29:30], v7
	v_add_f64 v[9:10], v[9:10], s[48:49]
	s_mov_b32 s48, 0x7913a26a
	s_mov_b32 s49, 0xbf85a29f
	v_add_f64 v[21:22], v[25:26], v[23:24]
	v_add_f64 v[15:16], v[15:16], s[0:1]
	s_mov_b32 s1, 0x3fe62e42
	s_mov_b32 s0, 0xfefa39ef
	v_mul_f64 v[33:34], v[29:30], s[0:1]
	v_fma_f64 v[5:6], v[0:1], v[9:10], -v[5:6]
	v_add_f64 v[19:20], v[21:22], -v[25:26]
	v_fma_f64 v[17:18], v[27:28], v[15:16], -v[17:18]
	v_rndne_f64_e32 v[25:26], v[31:32]
	v_fma_f64 v[31:32], v[29:30], s[0:1], -v[33:34]
	s_mov_b32 s1, 0xbfe62e42
	v_add_f64 v[5:6], v[5:6], s[48:49]
	s_mov_b32 s48, 0x6a5dcb37
	s_mov_b32 s49, 0x3e5ade15
	v_add_f64 v[19:20], v[23:24], -v[19:20]
	v_add_f64 v[17:18], v[17:18], s[46:47]
	v_fma_f64 v[23:24], v[25:26], s[0:1], v[3:4]
	s_mov_b32 s1, 0x3c7abc9e
	s_mov_b32 s0, 0x3b39803f
	;; [unrolled: 1-line block ×3, first 2 shown]
	v_fma_f64 v[29:30], v[29:30], s[0:1], v[31:32]
	s_mov_b32 s1, 0xbc7abc9e
	s_mov_b32 s47, 0x3e928af3
	v_cvt_i32_f64_e32 v7, v[25:26]
	v_fma_f64 v[9:10], v[0:1], v[5:6], -v[9:10]
	v_add_f64 v[13:14], v[13:14], v[19:20]
	v_fma_f64 v[17:18], v[27:28], v[17:18], -v[15:16]
	v_fma_f64 v[19:20], v[25:26], s[0:1], v[23:24]
	s_mov_b32 s0, 0x361008ca
	s_mov_b32 s1, 0x3ff867a1
	v_add_f64 v[23:24], v[33:34], v[29:30]
	v_add_f64 v[9:10], v[9:10], s[50:51]
	;; [unrolled: 1-line block ×4, first 2 shown]
	v_fma_f64 v[31:32], v[19:20], s[48:49], s[46:47]
	s_mov_b32 s0, 0x623fde64
	s_mov_b32 s1, 0x3ec71dee
	;; [unrolled: 1-line block ×4, first 2 shown]
	v_add_f64 v[33:34], v[23:24], -v[33:34]
	v_fma_f64 v[5:6], v[0:1], v[9:10], -v[5:6]
	v_add_f64 v[35:36], v[23:24], v[27:28]
	v_add_f64 v[15:16], v[17:18], -v[15:16]
	v_fma_f64 v[31:32], v[19:20], v[31:32], s[0:1]
	s_mov_b32 s0, 0x7c89e6b0
	s_mov_b32 s1, 0x3efa0199
	v_add_f64 v[21:22], v[27:28], -v[21:22]
	v_add_f64 v[29:30], v[29:30], -v[33:34]
	v_add_f64 v[5:6], v[5:6], s[46:47]
	s_mov_b32 s46, 0xd536f53c
	s_mov_b32 s47, 0x3fba46da
	v_add_f64 v[17:18], v[35:36], -v[23:24]
	v_mul_f64 v[15:16], v[15:16], 0.5
	v_fma_f64 v[31:32], v[19:20], v[31:32], s[0:1]
	s_mov_b32 s0, 0x14761f6e
	s_mov_b32 s1, 0x3f2a01a0
	v_add_f64 v[13:14], v[13:14], -v[21:22]
	v_fma_f64 v[9:10], v[0:1], v[5:6], -v[9:10]
	v_add_f64 v[37:38], v[35:36], -v[17:18]
	v_div_scale_f64 v[39:40], null, v[3:4], v[3:4], v[15:16]
	v_fma_f64 v[31:32], v[19:20], v[31:32], s[0:1]
	s_mov_b32 s0, 0x1852b7b0
	s_mov_b32 s1, 0x3f56c16c
	v_add_f64 v[17:18], v[27:28], -v[17:18]
	v_add_f64 v[9:10], v[9:10], s[46:47]
	s_mov_b32 s46, 0x469192e
	s_mov_b32 s47, 0xbfc694d1
	v_add_f64 v[21:22], v[23:24], -v[37:38]
	v_rcp_f64_e32 v[27:28], v[39:40]
	v_fma_f64 v[23:24], v[19:20], v[31:32], s[0:1]
	s_mov_b32 s0, 0x11122322
	s_mov_b32 s1, 0x3f811111
	v_add_f64 v[31:32], v[29:30], v[13:14]
	v_fma_f64 v[5:6], v[0:1], v[9:10], -v[5:6]
	v_add_f64 v[17:18], v[17:18], v[21:22]
	v_fma_f64 v[21:22], v[19:20], v[23:24], s[0:1]
	v_fma_f64 v[23:24], -v[39:40], v[27:28], 1.0
	s_mov_b32 s0, 0x555502a1
	s_mov_b32 s1, 0x3fa55555
	v_add_f64 v[33:34], v[31:32], -v[29:30]
	v_add_f64 v[5:6], v[5:6], s[46:47]
	s_mov_b32 s46, 0x724a7ffa
	s_mov_b32 s47, 0x3fd02a63
	v_add_f64 v[17:18], v[31:32], v[17:18]
	v_fma_f64 v[21:22], v[19:20], v[21:22], s[0:1]
	v_fma_f64 v[23:24], v[27:28], v[23:24], v[27:28]
	s_mov_b32 s0, 0x55555511
	s_mov_b32 s1, 0x3fc55555
	v_add_f64 v[27:28], v[31:32], -v[33:34]
	v_add_f64 v[13:14], v[13:14], -v[33:34]
	v_div_scale_f64 v[33:34], vcc_lo, v[15:16], v[3:4], v[15:16]
	v_fma_f64 v[0:1], v[0:1], v[5:6], -v[9:10]
	v_add_f64 v[31:32], v[35:36], v[17:18]
	v_fma_f64 v[21:22], v[19:20], v[21:22], s[0:1]
	v_fma_f64 v[5:6], -v[39:40], v[23:24], 1.0
	s_mov_b32 s0, 11
	s_mov_b32 s1, 0x3fe00000
	v_add_f64 v[27:28], v[29:30], -v[27:28]
	v_add_f64 v[0:1], v[0:1], s[46:47]
	v_add_f64 v[29:30], v[31:32], -v[35:36]
	v_fma_f64 v[21:22], v[19:20], v[21:22], s[0:1]
	v_fma_f64 v[5:6], v[23:24], v[5:6], v[23:24]
	v_cmp_neq_f64_e64 s0, 0, v[11:12]
	v_add_f64 v[13:14], v[13:14], v[27:28]
	v_add_f64 v[0:1], v[0:1], -v[9:10]
	v_add_f64 v[17:18], v[17:18], -v[29:30]
	v_fma_f64 v[21:22], v[19:20], v[21:22], 1.0
	v_mul_f64 v[9:10], v[33:34], v[5:6]
	v_mul_f64 v[0:1], v[0:1], 0.5
	v_add_f64 v[13:14], v[13:14], v[17:18]
	v_fma_f64 v[17:18], v[19:20], v[21:22], 1.0
	v_fma_f64 v[19:20], -v[39:40], v[9:10], v[33:34]
	v_mul_f64 v[0:1], v[3:4], v[0:1]
	v_add_f64 v[13:14], v[31:32], v[13:14]
	v_ldexp_f64 v[17:18], v[17:18], v7
	v_div_fmas_f64 v[5:6], v[19:20], v[5:6], v[9:10]
	v_cmp_neq_f64_e32 vcc_lo, 0x7ff00000, v[11:12]
	v_mul_f64 v[0:1], v[17:18], v[0:1]
	v_div_fixup_f64 v[3:4], v[5:6], v[3:4], v[15:16]
	v_cndmask_b32_e32 v7, 0x7ff00000, v14, vcc_lo
	s_and_b32 vcc_lo, s0, vcc_lo
	v_cndmask_b32_e32 v5, 0, v13, vcc_lo
	v_cndmask_b32_e64 v6, 0xfff00000, v7, s0
	v_fma_f64 v[0:1], v[5:6], v[0:1], v[3:4]
                                        ; implicit-def: $vgpr3_vgpr4
.LBB9_713:
	s_andn2_saveexec_b32 s1, s44
	s_cbranch_execz .LBB9_715
; %bb.714:
	v_div_scale_f64 v[0:1], null, v[3:4], v[3:4], 0x40200000
	v_div_scale_f64 v[11:12], vcc_lo, 0x40200000, v[3:4], 0x40200000
	s_mov_b32 s44, 0x838f5ed3
	s_mov_b32 s45, 0x3c74af1a
	;; [unrolled: 1-line block ×4, first 2 shown]
	v_cmp_nlt_f64_e64 s0, 0x4090cc00, v[3:4]
	v_rcp_f64_e32 v[5:6], v[0:1]
	v_fma_f64 v[9:10], -v[0:1], v[5:6], 1.0
	v_fma_f64 v[5:6], v[5:6], v[9:10], v[5:6]
	v_fma_f64 v[9:10], -v[0:1], v[5:6], 1.0
	v_fma_f64 v[5:6], v[5:6], v[9:10], v[5:6]
	v_mul_f64 v[9:10], v[11:12], v[5:6]
	v_fma_f64 v[0:1], -v[0:1], v[9:10], v[11:12]
	v_div_fmas_f64 v[0:1], v[0:1], v[5:6], v[9:10]
	v_cmp_gt_f64_e32 vcc_lo, 0x10000000, v[3:4]
	v_div_fixup_f64 v[0:1], v[0:1], v[3:4], 0x40200000
	v_cndmask_b32_e64 v7, 0, 0x100, vcc_lo
	v_ldexp_f64 v[17:18], v[3:4], v7
	v_add_f64 v[0:1], v[0:1], -2.0
	v_rsq_f64_e32 v[19:20], v[17:18]
	v_fma_f64 v[5:6], v[0:1], s[46:47], s[44:45]
	s_mov_b32 s47, 0x3c5a8c5d
	s_mov_b32 s44, 0x17771d52
	;; [unrolled: 1-line block ×3, first 2 shown]
	v_mul_f64 v[21:22], v[17:18], v[19:20]
	v_mul_f64 v[19:20], v[19:20], 0.5
	v_fma_f64 v[9:10], v[0:1], v[5:6], s[46:47]
	s_mov_b32 s46, 0x6a5dcb37
	s_mov_b32 s47, 0x3e5ade15
	v_fma_f64 v[23:24], -v[19:20], v[21:22], 0.5
	v_add_f64 v[9:10], v[9:10], s[44:45]
	s_mov_b32 s44, 0x44ee2c0b
	s_mov_b32 s45, 0x3caa7d5e
	v_fma_f64 v[21:22], v[21:22], v[23:24], v[21:22]
	v_fma_f64 v[19:20], v[19:20], v[23:24], v[19:20]
	v_fma_f64 v[5:6], v[0:1], v[9:10], -v[5:6]
	v_fma_f64 v[23:24], -v[21:22], v[21:22], v[17:18]
	v_add_f64 v[5:6], v[5:6], s[44:45]
	s_mov_b32 s44, 0xd8758ef2
	s_mov_b32 s45, 0xbcc5d2a3
	v_fma_f64 v[9:10], v[0:1], v[5:6], -v[9:10]
	v_add_f64 v[9:10], v[9:10], s[44:45]
	s_mov_b32 s44, 0xefee81bd
	s_mov_b32 s45, 0x3ce25ced
	v_fma_f64 v[5:6], v[0:1], v[9:10], -v[5:6]
	;; [unrolled: 4-line block ×14, first 2 shown]
	v_add_f64 v[5:6], v[5:6], s[44:45]
	s_mov_b32 s44, 0x652b82fe
	s_mov_b32 s45, 0xbff71547
	v_mul_f64 v[11:12], v[3:4], s[44:45]
	s_mov_b32 s44, 0x8fada5c6
	s_mov_b32 s45, 0xbe978052
	v_fma_f64 v[9:10], v[0:1], v[5:6], -v[9:10]
	v_rndne_f64_e32 v[11:12], v[11:12]
	v_add_f64 v[9:10], v[9:10], s[44:45]
	s_mov_b32 s44, 0xfefa39ef
	s_mov_b32 s45, 0xbfe62e42
	v_fma_f64 v[13:14], v[11:12], s[44:45], -v[3:4]
	s_mov_b32 s44, 0x3b39803f
	s_mov_b32 s45, 0xbc7abc9e
	v_cvt_i32_f64_e32 v7, v[11:12]
	v_cndmask_b32_e64 v3, 0, 0xffffff80, vcc_lo
	v_cmp_class_f64_e64 vcc_lo, v[17:18], 0x260
	v_fma_f64 v[5:6], v[0:1], v[9:10], -v[5:6]
	v_fma_f64 v[13:14], v[11:12], s[44:45], v[13:14]
	s_mov_b32 s44, 0x1752d1b6
	s_mov_b32 s45, 0x3ec42fe3
	v_add_f64 v[5:6], v[5:6], s[44:45]
	s_mov_b32 s44, 0xfca7ab0c
	s_mov_b32 s45, 0x3e928af3
	v_fma_f64 v[15:16], v[13:14], s[46:47], s[44:45]
	s_mov_b32 s44, 0x623fde64
	s_mov_b32 s45, 0x3ec71dee
	v_fma_f64 v[9:10], v[0:1], v[5:6], -v[9:10]
	v_fma_f64 v[15:16], v[13:14], v[15:16], s[44:45]
	s_mov_b32 s44, 0x1dcdb2e5
	s_mov_b32 s45, 0xbef44d71
	v_add_f64 v[9:10], v[9:10], s[44:45]
	s_mov_b32 s44, 0x7c89e6b0
	s_mov_b32 s45, 0x3efa0199
	v_fma_f64 v[15:16], v[13:14], v[15:16], s[44:45]
	s_mov_b32 s44, 0x14761f6e
	s_mov_b32 s45, 0x3f2a01a0
	;; [unrolled: 10-line block ×5, first 2 shown]
	v_fma_f64 v[0:1], v[0:1], v[5:6], -v[9:10]
	v_fma_f64 v[5:6], v[23:24], v[19:20], v[21:22]
	v_fma_f64 v[15:16], v[13:14], v[15:16], 1.0
	v_add_f64 v[0:1], v[0:1], s[44:45]
	v_fma_f64 v[21:22], -v[5:6], v[5:6], v[17:18]
	v_fma_f64 v[11:12], v[13:14], v[15:16], 1.0
	v_add_f64 v[0:1], v[0:1], -v[9:10]
	v_fma_f64 v[5:6], v[21:22], v[19:20], v[5:6]
	v_ldexp_f64 v[9:10], v[11:12], v7
	v_mul_f64 v[0:1], v[0:1], 0.5
	v_ldexp_f64 v[3:4], v[5:6], v3
	v_cndmask_b32_e64 v6, 0, v10, s0
	v_cndmask_b32_e64 v5, 0, v9, s0
	v_mul_f64 v[0:1], v[5:6], v[0:1]
	v_cndmask_b32_e32 v4, v4, v18, vcc_lo
	v_cndmask_b32_e32 v3, v3, v17, vcc_lo
	v_div_scale_f64 v[5:6], null, v[3:4], v[3:4], v[0:1]
	v_rcp_f64_e32 v[9:10], v[5:6]
	v_fma_f64 v[11:12], -v[5:6], v[9:10], 1.0
	v_fma_f64 v[9:10], v[9:10], v[11:12], v[9:10]
	v_fma_f64 v[11:12], -v[5:6], v[9:10], 1.0
	v_fma_f64 v[9:10], v[9:10], v[11:12], v[9:10]
	v_div_scale_f64 v[11:12], vcc_lo, v[0:1], v[3:4], v[0:1]
	v_mul_f64 v[13:14], v[11:12], v[9:10]
	v_fma_f64 v[5:6], -v[5:6], v[13:14], v[11:12]
	v_div_fmas_f64 v[5:6], v[5:6], v[9:10], v[13:14]
	v_div_fixup_f64 v[0:1], v[5:6], v[3:4], v[0:1]
.LBB9_715:
	s_or_b32 exec_lo, exec_lo, s1
.LBB9_716:
	s_or_b32 exec_lo, exec_lo, s43
.LBB9_717:
	s_or_b32 exec_lo, exec_lo, s23
	v_add_co_u32 v4, s0, s8, v2
	v_add_co_ci_u32_e64 v5, null, s9, 0, s0
	s_and_b32 s1, s29, 0xff
	s_cmp_lt_i32 s1, 11
	s_cbranch_scc1 .LBB9_725
; %bb.718:
	s_and_b32 s23, 0xffff, s1
	s_cmp_gt_i32 s23, 25
	s_cbranch_scc0 .LBB9_726
; %bb.719:
	s_cmp_gt_i32 s23, 28
	s_cbranch_scc0 .LBB9_727
; %bb.720:
	;; [unrolled: 3-line block ×4, first 2 shown]
	s_mov_b32 s44, 0
	s_mov_b32 s0, -1
	s_cmp_eq_u32 s23, 46
	s_mov_b32 s43, 0
	s_cbranch_scc0 .LBB9_730
; %bb.723:
	v_cvt_f32_f64_e32 v2, v[0:1]
	s_mov_b32 s43, -1
	s_mov_b32 s0, 0
	v_bfe_u32 v3, v2, 16, 1
	v_cmp_o_f32_e32 vcc_lo, v2, v2
	v_add3_u32 v2, v2, v3, 0x7fff
	v_mov_b32_e32 v3, 0x7fc0
	v_cndmask_b32_sdwa v2, v3, v2, vcc_lo dst_sel:DWORD dst_unused:UNUSED_PAD src0_sel:DWORD src1_sel:WORD_1
	global_store_dword v[4:5], v2, off
	s_branch .LBB9_730
.LBB9_724:
	s_mov_b32 s1, 0
	s_mov_b32 s0, s40
	s_branch .LBB9_841
.LBB9_725:
	s_mov_b32 s23, -1
	s_mov_b32 s43, 0
	s_mov_b32 s0, s40
	s_branch .LBB9_799
.LBB9_726:
	s_mov_b32 s44, -1
	s_mov_b32 s43, 0
	s_mov_b32 s0, s40
	s_branch .LBB9_757
.LBB9_727:
	s_mov_b32 s44, -1
	s_mov_b32 s43, 0
	s_mov_b32 s0, s40
	s_branch .LBB9_740
.LBB9_728:
	s_mov_b32 s44, -1
	s_mov_b32 s43, 0
	s_mov_b32 s0, s40
	s_branch .LBB9_736
.LBB9_729:
	s_mov_b32 s44, -1
	s_mov_b32 s43, 0
	s_mov_b32 s0, s40
.LBB9_730:
	s_and_b32 vcc_lo, exec_lo, s44
	s_cbranch_vccz .LBB9_735
; %bb.731:
	s_cmp_eq_u32 s23, 44
	s_mov_b32 s0, -1
	s_cbranch_scc0 .LBB9_735
; %bb.732:
	v_cvt_f32_f64_e32 v2, v[0:1]
	v_mov_b32_e32 v3, 0xff
	s_mov_b32 s43, exec_lo
	v_bfe_u32 v6, v2, 23, 8
	v_cmpx_ne_u32_e32 0xff, v6
	s_cbranch_execz .LBB9_734
; %bb.733:
	v_and_b32_e32 v3, 0x400000, v2
	v_and_or_b32 v6, 0x3fffff, v2, v6
	v_lshrrev_b32_e32 v2, 23, v2
	v_cmp_ne_u32_e32 vcc_lo, 0, v3
	v_cmp_ne_u32_e64 s0, 0, v6
	s_and_b32 s0, vcc_lo, s0
	v_cndmask_b32_e64 v3, 0, 1, s0
	v_add_nc_u32_e32 v3, v2, v3
.LBB9_734:
	s_or_b32 exec_lo, exec_lo, s43
	s_mov_b32 s43, -1
	s_mov_b32 s0, 0
	global_store_byte v[4:5], v3, off
.LBB9_735:
	s_mov_b32 s44, 0
.LBB9_736:
	s_and_b32 vcc_lo, exec_lo, s44
	s_cbranch_vccz .LBB9_739
; %bb.737:
	s_cmp_eq_u32 s23, 29
	s_mov_b32 s0, -1
	s_cbranch_scc0 .LBB9_739
; %bb.738:
	v_trunc_f64_e32 v[2:3], v[0:1]
	s_mov_b32 s43, -1
	s_mov_b32 s0, 0
	s_mov_b32 s44, 0
	v_ldexp_f64 v[6:7], v[2:3], 0xffffffe0
	v_floor_f64_e32 v[6:7], v[6:7]
	v_fma_f64 v[2:3], 0xc1f00000, v[6:7], v[2:3]
	v_cvt_u32_f64_e32 v7, v[6:7]
	v_cvt_u32_f64_e32 v6, v[2:3]
	global_store_dwordx2 v[4:5], v[6:7], off
	s_branch .LBB9_740
.LBB9_739:
	s_mov_b32 s44, 0
.LBB9_740:
	s_and_b32 vcc_lo, exec_lo, s44
	s_cbranch_vccz .LBB9_756
; %bb.741:
	s_cmp_lt_i32 s23, 27
	s_mov_b32 s43, -1
	s_cbranch_scc1 .LBB9_747
; %bb.742:
	v_cvt_u32_f64_e32 v2, v[0:1]
	s_cmp_gt_i32 s23, 27
	s_cbranch_scc0 .LBB9_744
; %bb.743:
	s_mov_b32 s43, 0
	global_store_dword v[4:5], v2, off
.LBB9_744:
	s_andn2_b32 vcc_lo, exec_lo, s43
	s_cbranch_vccnz .LBB9_746
; %bb.745:
	global_store_short v[4:5], v2, off
.LBB9_746:
	s_mov_b32 s43, 0
.LBB9_747:
	s_andn2_b32 vcc_lo, exec_lo, s43
	s_cbranch_vccnz .LBB9_755
; %bb.748:
	v_cvt_f32_f64_e32 v2, v[0:1]
	v_mov_b32_e32 v6, 0x80
	s_mov_b32 s43, exec_lo
	v_and_b32_e32 v3, 0x7fffffff, v2
	v_cmpx_gt_u32_e32 0x43800000, v3
	s_cbranch_execz .LBB9_754
; %bb.749:
	v_cmp_lt_u32_e32 vcc_lo, 0x3bffffff, v3
	s_mov_b32 s44, 0
                                        ; implicit-def: $vgpr3
	s_and_saveexec_b32 s45, vcc_lo
	s_xor_b32 s45, exec_lo, s45
	s_cbranch_execz .LBB9_871
; %bb.750:
	v_bfe_u32 v3, v2, 20, 1
	s_mov_b32 s44, exec_lo
	v_add3_u32 v3, v2, v3, 0x487ffff
	v_lshrrev_b32_e32 v3, 20, v3
	s_andn2_saveexec_b32 s45, s45
	s_cbranch_execnz .LBB9_872
.LBB9_751:
	s_or_b32 exec_lo, exec_lo, s45
	v_mov_b32_e32 v6, 0
	s_and_saveexec_b32 s45, s44
.LBB9_752:
	v_lshrrev_b32_e32 v2, 24, v2
	v_and_or_b32 v6, 0x80, v2, v3
.LBB9_753:
	s_or_b32 exec_lo, exec_lo, s45
.LBB9_754:
	s_or_b32 exec_lo, exec_lo, s43
	global_store_byte v[4:5], v6, off
.LBB9_755:
	s_mov_b32 s43, -1
.LBB9_756:
	s_mov_b32 s44, 0
.LBB9_757:
	s_and_b32 vcc_lo, exec_lo, s44
	s_cbranch_vccz .LBB9_798
; %bb.758:
	s_cmp_gt_i32 s23, 22
	s_mov_b32 s44, -1
	s_cbranch_scc0 .LBB9_790
; %bb.759:
	s_cmp_lt_i32 s23, 24
	s_mov_b32 s43, -1
	s_cbranch_scc1 .LBB9_779
; %bb.760:
	s_cmp_gt_i32 s23, 24
	s_cbranch_scc0 .LBB9_768
; %bb.761:
	v_cvt_f32_f64_e32 v2, v[0:1]
	v_mov_b32_e32 v6, 0x80
	s_mov_b32 s43, exec_lo
	v_and_b32_e32 v3, 0x7fffffff, v2
	v_cmpx_gt_u32_e32 0x47800000, v3
	s_cbranch_execz .LBB9_767
; %bb.762:
	v_cmp_lt_u32_e32 vcc_lo, 0x37ffffff, v3
	s_mov_b32 s44, 0
                                        ; implicit-def: $vgpr3
	s_and_saveexec_b32 s45, vcc_lo
	s_xor_b32 s45, exec_lo, s45
	s_cbranch_execz .LBB9_874
; %bb.763:
	v_bfe_u32 v3, v2, 21, 1
	s_mov_b32 s44, exec_lo
	v_add3_u32 v3, v2, v3, 0x88fffff
	v_lshrrev_b32_e32 v3, 21, v3
	s_andn2_saveexec_b32 s45, s45
	s_cbranch_execnz .LBB9_875
.LBB9_764:
	s_or_b32 exec_lo, exec_lo, s45
	v_mov_b32_e32 v6, 0
	s_and_saveexec_b32 s45, s44
.LBB9_765:
	v_lshrrev_b32_e32 v2, 24, v2
	v_and_or_b32 v6, 0x80, v2, v3
.LBB9_766:
	s_or_b32 exec_lo, exec_lo, s45
.LBB9_767:
	s_or_b32 exec_lo, exec_lo, s43
	s_mov_b32 s43, 0
	global_store_byte v[4:5], v6, off
.LBB9_768:
	s_and_b32 vcc_lo, exec_lo, s43
	s_cbranch_vccz .LBB9_778
; %bb.769:
	v_cvt_f32_f64_e32 v2, v[0:1]
	s_mov_b32 s43, exec_lo
                                        ; implicit-def: $vgpr3
	v_and_b32_e32 v6, 0x7fffffff, v2
	v_cmpx_gt_u32_e32 0x43f00000, v6
	s_xor_b32 s43, exec_lo, s43
	s_cbranch_execz .LBB9_775
; %bb.770:
	s_mov_b32 s44, exec_lo
                                        ; implicit-def: $vgpr3
	v_cmpx_lt_u32_e32 0x3c7fffff, v6
	s_xor_b32 s44, exec_lo, s44
; %bb.771:
	v_bfe_u32 v3, v2, 20, 1
	v_add3_u32 v3, v2, v3, 0x407ffff
	v_and_b32_e32 v6, 0xff00000, v3
	v_lshrrev_b32_e32 v3, 20, v3
	v_cmp_ne_u32_e32 vcc_lo, 0x7f00000, v6
	v_cndmask_b32_e32 v3, 0x7e, v3, vcc_lo
; %bb.772:
	s_andn2_saveexec_b32 s44, s44
; %bb.773:
	v_add_f32_e64 v3, 0x46800000, |v2|
; %bb.774:
	s_or_b32 exec_lo, exec_lo, s44
                                        ; implicit-def: $vgpr6
.LBB9_775:
	s_andn2_saveexec_b32 s43, s43
; %bb.776:
	v_mov_b32_e32 v3, 0x7f
	v_cmp_lt_u32_e32 vcc_lo, 0x7f800000, v6
	v_cndmask_b32_e32 v3, 0x7e, v3, vcc_lo
; %bb.777:
	s_or_b32 exec_lo, exec_lo, s43
	v_lshrrev_b32_e32 v2, 24, v2
	v_and_or_b32 v2, 0x80, v2, v3
	global_store_byte v[4:5], v2, off
.LBB9_778:
	s_mov_b32 s43, 0
.LBB9_779:
	s_andn2_b32 vcc_lo, exec_lo, s43
	s_cbranch_vccnz .LBB9_789
; %bb.780:
	v_cvt_f32_f64_e32 v2, v[0:1]
	s_mov_b32 s43, exec_lo
                                        ; implicit-def: $vgpr3
	v_and_b32_e32 v6, 0x7fffffff, v2
	v_cmpx_gt_u32_e32 0x47800000, v6
	s_xor_b32 s43, exec_lo, s43
	s_cbranch_execz .LBB9_786
; %bb.781:
	s_mov_b32 s44, exec_lo
                                        ; implicit-def: $vgpr3
	v_cmpx_lt_u32_e32 0x387fffff, v6
	s_xor_b32 s44, exec_lo, s44
; %bb.782:
	v_bfe_u32 v3, v2, 21, 1
	v_add3_u32 v3, v2, v3, 0x80fffff
	v_lshrrev_b32_e32 v3, 21, v3
; %bb.783:
	s_andn2_saveexec_b32 s44, s44
; %bb.784:
	v_add_f32_e64 v3, 0x43000000, |v2|
; %bb.785:
	s_or_b32 exec_lo, exec_lo, s44
                                        ; implicit-def: $vgpr6
.LBB9_786:
	s_andn2_saveexec_b32 s43, s43
; %bb.787:
	v_mov_b32_e32 v3, 0x7f
	v_cmp_lt_u32_e32 vcc_lo, 0x7f800000, v6
	v_cndmask_b32_e32 v3, 0x7c, v3, vcc_lo
; %bb.788:
	s_or_b32 exec_lo, exec_lo, s43
	v_lshrrev_b32_e32 v2, 24, v2
	v_and_or_b32 v2, 0x80, v2, v3
	global_store_byte v[4:5], v2, off
.LBB9_789:
	s_mov_b32 s44, 0
	s_mov_b32 s43, -1
.LBB9_790:
	s_andn2_b32 vcc_lo, exec_lo, s44
	s_cbranch_vccnz .LBB9_798
; %bb.791:
	s_cmp_gt_i32 s23, 14
	s_mov_b32 s44, -1
	s_cbranch_scc0 .LBB9_795
; %bb.792:
	s_cmp_eq_u32 s23, 15
	s_mov_b32 s0, -1
	s_cbranch_scc0 .LBB9_794
; %bb.793:
	v_cvt_f32_f64_e32 v2, v[0:1]
	s_mov_b32 s43, -1
	s_mov_b32 s0, 0
	v_bfe_u32 v3, v2, 16, 1
	v_cmp_o_f32_e32 vcc_lo, v2, v2
	v_add3_u32 v2, v2, v3, 0x7fff
	v_mov_b32_e32 v3, 0x7fc0
	v_cndmask_b32_sdwa v2, v3, v2, vcc_lo dst_sel:DWORD dst_unused:UNUSED_PAD src0_sel:DWORD src1_sel:WORD_1
	global_store_short v[4:5], v2, off
.LBB9_794:
	s_mov_b32 s44, 0
.LBB9_795:
	s_and_b32 vcc_lo, exec_lo, s44
	s_cbranch_vccz .LBB9_798
; %bb.796:
	s_cmp_eq_u32 s23, 11
	s_mov_b32 s0, -1
	s_cbranch_scc0 .LBB9_798
; %bb.797:
	v_cmp_neq_f64_e32 vcc_lo, 0, v[0:1]
	s_mov_b32 s43, -1
	s_mov_b32 s0, 0
	v_cndmask_b32_e64 v2, 0, 1, vcc_lo
	global_store_byte v[4:5], v2, off
.LBB9_798:
	s_mov_b32 s23, 0
.LBB9_799:
	s_and_b32 vcc_lo, exec_lo, s23
	s_cbranch_vccz .LBB9_838
; %bb.800:
	s_and_b32 s1, 0xffff, s1
	s_mov_b32 s23, -1
	s_cmp_lt_i32 s1, 5
	s_cbranch_scc1 .LBB9_821
; %bb.801:
	s_cmp_lt_i32 s1, 8
	s_cbranch_scc1 .LBB9_811
; %bb.802:
	;; [unrolled: 3-line block ×3, first 2 shown]
	s_cmp_gt_i32 s1, 9
	s_cbranch_scc0 .LBB9_805
; %bb.804:
	v_mov_b32_e32 v2, 0
	s_mov_b32 s23, 0
	v_mov_b32_e32 v3, v2
	global_store_dwordx4 v[4:5], v[0:3], off
.LBB9_805:
	s_andn2_b32 vcc_lo, exec_lo, s23
	s_cbranch_vccnz .LBB9_807
; %bb.806:
	v_cvt_f32_f64_e32 v2, v[0:1]
	v_mov_b32_e32 v3, 0
	global_store_dwordx2 v[4:5], v[2:3], off
.LBB9_807:
	s_mov_b32 s23, 0
.LBB9_808:
	s_andn2_b32 vcc_lo, exec_lo, s23
	s_cbranch_vccnz .LBB9_810
; %bb.809:
	v_and_or_b32 v2, 0x1ff, v1, v0
	v_lshrrev_b32_e32 v3, 8, v1
	v_bfe_u32 v6, v1, 20, 11
	v_cmp_ne_u32_e32 vcc_lo, 0, v2
	v_sub_nc_u32_e32 v7, 0x3f1, v6
	v_add_nc_u32_e32 v6, 0xfffffc10, v6
	v_cndmask_b32_e64 v2, 0, 1, vcc_lo
	v_and_or_b32 v2, 0xffe, v3, v2
	v_med3_i32 v3, v7, 0, 13
	v_or_b32_e32 v7, 0x1000, v2
	v_lshrrev_b32_e32 v9, v3, v7
	v_lshlrev_b32_e32 v3, v3, v9
	v_cmp_ne_u32_e32 vcc_lo, v3, v7
	v_lshl_or_b32 v7, v6, 12, v2
	v_cndmask_b32_e64 v3, 0, 1, vcc_lo
	v_cmp_gt_i32_e32 vcc_lo, 1, v6
	v_or_b32_e32 v3, v9, v3
	v_cndmask_b32_e32 v3, v7, v3, vcc_lo
	v_and_b32_e32 v7, 7, v3
	v_lshrrev_b32_e32 v3, 2, v3
	v_cmp_lt_i32_e32 vcc_lo, 5, v7
	v_cndmask_b32_e64 v9, 0, 1, vcc_lo
	v_cmp_eq_u32_e32 vcc_lo, 3, v7
	v_cndmask_b32_e64 v7, 0, 1, vcc_lo
	v_cmp_ne_u32_e32 vcc_lo, 0, v2
	v_or_b32_e32 v7, v7, v9
	v_mov_b32_e32 v9, 0x7e00
	v_add_nc_u32_e32 v3, v3, v7
	v_cndmask_b32_e32 v2, 0x7c00, v9, vcc_lo
	v_cmp_gt_i32_e32 vcc_lo, 31, v6
	v_cndmask_b32_e32 v3, 0x7c00, v3, vcc_lo
	v_cmp_eq_u32_e32 vcc_lo, 0x40f, v6
	v_cndmask_b32_e32 v2, v3, v2, vcc_lo
	v_lshrrev_b32_e32 v3, 16, v1
	v_and_or_b32 v2, 0x8000, v3, v2
	v_and_b32_e32 v2, 0xffff, v2
	global_store_dword v[4:5], v2, off
.LBB9_810:
	s_mov_b32 s23, 0
.LBB9_811:
	s_andn2_b32 vcc_lo, exec_lo, s23
	s_cbranch_vccnz .LBB9_820
; %bb.812:
	s_cmp_lt_i32 s1, 6
	s_mov_b32 s23, -1
	s_cbranch_scc1 .LBB9_818
; %bb.813:
	s_cmp_gt_i32 s1, 6
	s_cbranch_scc0 .LBB9_815
; %bb.814:
	s_mov_b32 s23, 0
	global_store_dwordx2 v[4:5], v[0:1], off
.LBB9_815:
	s_andn2_b32 vcc_lo, exec_lo, s23
	s_cbranch_vccnz .LBB9_817
; %bb.816:
	v_cvt_f32_f64_e32 v2, v[0:1]
	global_store_dword v[4:5], v2, off
.LBB9_817:
	s_mov_b32 s23, 0
.LBB9_818:
	s_andn2_b32 vcc_lo, exec_lo, s23
	s_cbranch_vccnz .LBB9_820
; %bb.819:
	v_and_or_b32 v2, 0x1ff, v1, v0
	v_lshrrev_b32_e32 v3, 8, v1
	v_bfe_u32 v6, v1, 20, 11
	v_cmp_ne_u32_e32 vcc_lo, 0, v2
	v_sub_nc_u32_e32 v7, 0x3f1, v6
	v_add_nc_u32_e32 v6, 0xfffffc10, v6
	v_cndmask_b32_e64 v2, 0, 1, vcc_lo
	v_and_or_b32 v2, 0xffe, v3, v2
	v_med3_i32 v3, v7, 0, 13
	v_or_b32_e32 v7, 0x1000, v2
	v_lshrrev_b32_e32 v9, v3, v7
	v_lshlrev_b32_e32 v3, v3, v9
	v_cmp_ne_u32_e32 vcc_lo, v3, v7
	v_lshl_or_b32 v7, v6, 12, v2
	v_cndmask_b32_e64 v3, 0, 1, vcc_lo
	v_cmp_gt_i32_e32 vcc_lo, 1, v6
	v_or_b32_e32 v3, v9, v3
	v_cndmask_b32_e32 v3, v7, v3, vcc_lo
	v_and_b32_e32 v7, 7, v3
	v_lshrrev_b32_e32 v3, 2, v3
	v_cmp_lt_i32_e32 vcc_lo, 5, v7
	v_cndmask_b32_e64 v9, 0, 1, vcc_lo
	v_cmp_eq_u32_e32 vcc_lo, 3, v7
	v_cndmask_b32_e64 v7, 0, 1, vcc_lo
	v_cmp_ne_u32_e32 vcc_lo, 0, v2
	v_or_b32_e32 v7, v7, v9
	v_mov_b32_e32 v9, 0x7e00
	v_add_nc_u32_e32 v3, v3, v7
	v_cndmask_b32_e32 v2, 0x7c00, v9, vcc_lo
	v_cmp_gt_i32_e32 vcc_lo, 31, v6
	v_cndmask_b32_e32 v3, 0x7c00, v3, vcc_lo
	v_cmp_eq_u32_e32 vcc_lo, 0x40f, v6
	v_cndmask_b32_e32 v2, v3, v2, vcc_lo
	v_lshrrev_b32_e32 v3, 16, v1
	v_and_or_b32 v2, 0x8000, v3, v2
	global_store_short v[4:5], v2, off
.LBB9_820:
	s_mov_b32 s23, 0
.LBB9_821:
	s_andn2_b32 vcc_lo, exec_lo, s23
	s_cbranch_vccnz .LBB9_837
; %bb.822:
	s_cmp_lt_i32 s1, 2
	s_mov_b32 s23, -1
	s_cbranch_scc1 .LBB9_832
; %bb.823:
	s_cmp_lt_i32 s1, 3
	s_cbranch_scc1 .LBB9_829
; %bb.824:
	s_cmp_gt_i32 s1, 3
	s_cbranch_scc0 .LBB9_826
; %bb.825:
	v_trunc_f64_e32 v[2:3], v[0:1]
	s_mov_b32 s23, 0
	v_ldexp_f64 v[6:7], v[2:3], 0xffffffe0
	v_floor_f64_e32 v[6:7], v[6:7]
	v_fma_f64 v[2:3], 0xc1f00000, v[6:7], v[2:3]
	v_cvt_i32_f64_e32 v7, v[6:7]
	v_cvt_u32_f64_e32 v6, v[2:3]
	global_store_dwordx2 v[4:5], v[6:7], off
.LBB9_826:
	s_andn2_b32 vcc_lo, exec_lo, s23
	s_cbranch_vccnz .LBB9_828
; %bb.827:
	v_cvt_i32_f64_e32 v2, v[0:1]
	global_store_dword v[4:5], v2, off
.LBB9_828:
	s_mov_b32 s23, 0
.LBB9_829:
	s_andn2_b32 vcc_lo, exec_lo, s23
	s_cbranch_vccnz .LBB9_831
; %bb.830:
	v_cvt_i32_f64_e32 v2, v[0:1]
	global_store_short v[4:5], v2, off
.LBB9_831:
	s_mov_b32 s23, 0
.LBB9_832:
	s_andn2_b32 vcc_lo, exec_lo, s23
	s_cbranch_vccnz .LBB9_837
; %bb.833:
	s_cmp_gt_i32 s1, 0
	s_mov_b32 s1, -1
	s_cbranch_scc0 .LBB9_835
; %bb.834:
	v_cvt_i32_f64_e32 v2, v[0:1]
	s_mov_b32 s1, 0
	global_store_byte v[4:5], v2, off
.LBB9_835:
	s_andn2_b32 vcc_lo, exec_lo, s1
	s_cbranch_vccnz .LBB9_837
; %bb.836:
	v_trunc_f64_e32 v[0:1], v[0:1]
	v_ldexp_f64 v[2:3], v[0:1], 0xffffffe0
	v_floor_f64_e32 v[2:3], v[2:3]
	v_fma_f64 v[0:1], 0xc1f00000, v[2:3], v[0:1]
	v_cvt_u32_f64_e32 v0, v[0:1]
	global_store_byte v[4:5], v0, off
.LBB9_837:
	s_mov_b32 s43, -1
.LBB9_838:
	s_andn2_b32 vcc_lo, exec_lo, s43
	s_cbranch_vccnz .LBB9_840
; %bb.839:
	v_add_nc_u32_e32 v8, 0x80, v8
	s_mov_b32 s1, -1
	s_branch .LBB9_842
.LBB9_840:
	s_mov_b32 s1, 0
.LBB9_841:
                                        ; implicit-def: $vgpr8
.LBB9_842:
	s_andn2_b32 s23, s40, exec_lo
	s_and_b32 s0, s0, exec_lo
	s_andn2_b32 s43, s39, exec_lo
	s_and_b32 s22, s22, exec_lo
	s_or_b32 s23, s23, s0
	s_or_b32 s22, s43, s22
	s_orn2_b32 s44, s1, exec_lo
.LBB9_843:
	s_or_b32 exec_lo, exec_lo, s42
	s_mov_b32 s0, 0
	s_mov_b32 s1, 0
	;; [unrolled: 1-line block ×3, first 2 shown]
                                        ; implicit-def: $vgpr0_vgpr1
                                        ; implicit-def: $vgpr2
                                        ; implicit-def: $vgpr3_vgpr4
	s_and_saveexec_b32 s42, s44
	s_cbranch_execz .LBB9_943
; %bb.844:
	v_cmp_gt_i32_e32 vcc_lo, s33, v8
	s_mov_b32 s45, s22
	s_mov_b32 s44, 0
                                        ; implicit-def: $vgpr0_vgpr1
                                        ; implicit-def: $vgpr2
                                        ; implicit-def: $vgpr3_vgpr4
	s_and_saveexec_b32 s33, vcc_lo
	s_cbranch_execz .LBB9_942
; %bb.845:
	s_andn2_b32 vcc_lo, exec_lo, s27
	s_cbranch_vccnz .LBB9_850
; %bb.846:
	s_andn2_b32 vcc_lo, exec_lo, s34
	s_cbranch_vccnz .LBB9_851
; %bb.847:
	s_add_i32 s35, s35, 1
	s_cmp_eq_u32 s25, 2
	s_cbranch_scc1 .LBB9_852
; %bb.848:
	v_mov_b32_e32 v0, 0
	v_mov_b32_e32 v2, 0
	;; [unrolled: 1-line block ×3, first 2 shown]
	s_and_b32 s34, s35, 28
	s_mov_b64 s[0:1], s[2:3]
.LBB9_849:                              ; =>This Inner Loop Header: Depth=1
	s_clause 0x1
	s_load_dwordx8 s[44:51], s[0:1], 0x4
	s_load_dwordx4 s[60:63], s[0:1], 0x24
	s_load_dwordx8 s[52:59], s[20:21], 0x0
	s_add_u32 s0, s0, 48
	s_addc_u32 s1, s1, 0
	s_add_i32 s43, s43, 4
	s_add_u32 s20, s20, 32
	s_addc_u32 s21, s21, 0
	s_cmp_eq_u32 s34, s43
	s_waitcnt vmcnt(0) lgkmcnt(0)
	v_mul_hi_u32 v3, s45, v1
	v_add_nc_u32_e32 v3, v1, v3
	v_lshrrev_b32_e32 v3, s46, v3
	v_mul_hi_u32 v4, s48, v3
	v_mul_lo_u32 v6, v3, s44
	v_add_nc_u32_e32 v4, v3, v4
	v_sub_nc_u32_e32 v1, v1, v6
	v_lshrrev_b32_e32 v4, s49, v4
	v_mul_lo_u32 v6, v1, s52
	v_mul_lo_u32 v9, v1, s53
	v_mul_hi_u32 v5, s51, v4
	v_add_nc_u32_e32 v5, v4, v5
	v_lshrrev_b32_e32 v5, s60, v5
	v_mul_hi_u32 v7, s62, v5
	v_mul_lo_u32 v10, v5, s50
	v_add_nc_u32_e32 v1, v5, v7
	v_mul_lo_u32 v7, v4, s47
	v_sub_nc_u32_e32 v4, v4, v10
	v_lshrrev_b32_e32 v1, s63, v1
	v_mul_lo_u32 v10, v4, s56
	v_mul_lo_u32 v4, v4, s57
	v_sub_nc_u32_e32 v3, v3, v7
	v_mul_lo_u32 v11, v1, s61
	v_mul_lo_u32 v7, v3, s54
	;; [unrolled: 1-line block ×3, first 2 shown]
	v_sub_nc_u32_e32 v5, v5, v11
	v_add3_u32 v2, v6, v2, v7
	v_mul_lo_u32 v11, v5, s58
	v_mul_lo_u32 v5, v5, s59
	v_add3_u32 v0, v9, v0, v3
	v_add3_u32 v2, v10, v2, v11
	;; [unrolled: 1-line block ×3, first 2 shown]
	s_cbranch_scc0 .LBB9_849
	s_branch .LBB9_853
.LBB9_850:
	s_mov_b32 s0, -1
                                        ; implicit-def: $vgpr2
                                        ; implicit-def: $vgpr0
	s_branch .LBB9_857
.LBB9_851:
	v_mov_b32_e32 v2, 0
	v_mov_b32_e32 v0, 0
	s_branch .LBB9_856
.LBB9_852:
	v_mov_b32_e32 v2, 0
	v_mov_b32_e32 v0, 0
	;; [unrolled: 1-line block ×3, first 2 shown]
	s_mov_b32 s34, 0
.LBB9_853:
	s_and_b32 s35, s35, 3
	s_cmp_eq_u32 s35, 0
	s_cbranch_scc1 .LBB9_856
; %bb.854:
	s_lshl_b32 s0, s34, 3
	s_mul_i32 s20, s34, 12
	s_add_u32 s0, s2, s0
	s_addc_u32 s1, s3, 0
	s_add_u32 s0, s0, 0xc4
	s_addc_u32 s1, s1, 0
	;; [unrolled: 2-line block ×3, first 2 shown]
.LBB9_855:                              ; =>This Inner Loop Header: Depth=1
	s_clause 0x1
	s_load_dwordx2 s[44:45], s[20:21], 0x4
	s_load_dword s34, s[20:21], 0xc
	s_load_dwordx2 s[46:47], s[0:1], 0x0
	s_add_u32 s20, s20, 12
	s_addc_u32 s21, s21, 0
	s_add_u32 s0, s0, 8
	s_addc_u32 s1, s1, 0
	s_add_i32 s35, s35, -1
	s_cmp_lg_u32 s35, 0
	s_waitcnt vmcnt(0) lgkmcnt(0)
	v_mul_hi_u32 v3, s45, v1
	v_add_nc_u32_e32 v3, v1, v3
	v_lshrrev_b32_e32 v4, s34, v3
	v_mul_lo_u32 v3, v4, s44
	v_sub_nc_u32_e32 v1, v1, v3
	v_mad_u64_u32 v[2:3], null, v1, s46, v[2:3]
	v_mad_u64_u32 v[0:1], null, v1, s47, v[0:1]
	v_mov_b32_e32 v1, v4
	s_cbranch_scc1 .LBB9_855
.LBB9_856:
	s_mov_b32 s0, 0
.LBB9_857:
	s_andn2_b32 vcc_lo, exec_lo, s0
	s_cbranch_vccnz .LBB9_860
; %bb.858:
	s_waitcnt lgkmcnt(0)
	v_mul_hi_u32 v0, s17, v8
	s_andn2_b32 vcc_lo, exec_lo, s31
	v_add_nc_u32_e32 v0, v8, v0
	v_lshrrev_b32_e32 v1, s18, v0
	v_mul_lo_u32 v0, v1, s16
	v_sub_nc_u32_e32 v0, v8, v0
	v_mul_lo_u32 v2, v0, s12
	v_mul_lo_u32 v0, v0, s13
	s_cbranch_vccnz .LBB9_860
; %bb.859:
	s_waitcnt vmcnt(0)
	v_mul_hi_u32 v3, s6, v1
	v_add_nc_u32_e32 v3, v1, v3
	v_lshrrev_b32_e32 v3, s7, v3
	v_mul_lo_u32 v3, v3, s19
	v_sub_nc_u32_e32 v1, v1, v3
	v_mad_u64_u32 v[2:3], null, v1, s14, v[2:3]
	v_mad_u64_u32 v[0:1], null, v1, s15, v[0:1]
.LBB9_860:
	s_waitcnt lgkmcnt(0)
	v_add_co_u32 v0, s0, s10, v0
	v_add_co_ci_u32_e64 v1, null, s11, 0, s0
	s_and_b32 s0, 0xffff, s30
	s_cmp_lt_i32 s0, 11
	s_cbranch_scc1 .LBB9_867
; %bb.861:
	s_cmp_gt_i32 s0, 25
	s_mov_b32 s6, 0
	s_cbranch_scc0 .LBB9_868
; %bb.862:
	s_cmp_gt_i32 s0, 28
	s_cbranch_scc0 .LBB9_869
; %bb.863:
	s_cmp_gt_i32 s0, 43
	;; [unrolled: 3-line block ×3, first 2 shown]
	s_cbranch_scc0 .LBB9_873
; %bb.865:
	s_cmp_eq_u32 s0, 46
	s_mov_b32 s10, 0
	s_cbranch_scc0 .LBB9_876
; %bb.866:
	global_load_dword v3, v[0:1], off
	s_mov_b32 s1, 0
	s_mov_b32 s7, -1
	s_waitcnt vmcnt(0)
	v_lshlrev_b32_e32 v3, 16, v3
	v_cvt_f64_f32_e32 v[3:4], v3
	s_branch .LBB9_878
.LBB9_867:
	s_mov_b32 s0, -1
	s_mov_b32 s7, 0
	s_mov_b32 s6, 0
	;; [unrolled: 1-line block ×3, first 2 shown]
                                        ; implicit-def: $vgpr3_vgpr4
	s_branch .LBB9_941
.LBB9_868:
	s_mov_b32 s10, -1
	s_mov_b32 s7, 0
	s_mov_b32 s1, s22
                                        ; implicit-def: $vgpr3_vgpr4
	s_branch .LBB9_909
.LBB9_869:
	s_mov_b32 s10, -1
	s_mov_b32 s7, 0
	s_mov_b32 s1, s22
                                        ; implicit-def: $vgpr3_vgpr4
	s_branch .LBB9_888
.LBB9_870:
	s_mov_b32 s10, -1
	s_mov_b32 s7, 0
	s_mov_b32 s1, s22
                                        ; implicit-def: $vgpr3_vgpr4
	s_branch .LBB9_883
.LBB9_871:
	s_andn2_saveexec_b32 s45, s45
	s_cbranch_execz .LBB9_751
.LBB9_872:
	v_add_f32_e64 v3, 0x46000000, |v2|
	s_andn2_b32 s44, s44, exec_lo
	v_and_b32_e32 v3, 0xff, v3
	v_cmp_ne_u32_e32 vcc_lo, 0, v3
	s_and_b32 s46, vcc_lo, exec_lo
	s_or_b32 s44, s44, s46
	s_or_b32 exec_lo, exec_lo, s45
	v_mov_b32_e32 v6, 0
	s_and_saveexec_b32 s45, s44
	s_cbranch_execnz .LBB9_752
	s_branch .LBB9_753
.LBB9_873:
	s_mov_b32 s10, -1
	s_mov_b32 s7, 0
	s_mov_b32 s1, s22
	s_branch .LBB9_877
.LBB9_874:
	s_andn2_saveexec_b32 s45, s45
	s_cbranch_execz .LBB9_764
.LBB9_875:
	v_add_f32_e64 v3, 0x42800000, |v2|
	s_andn2_b32 s44, s44, exec_lo
	v_and_b32_e32 v3, 0xff, v3
	v_cmp_ne_u32_e32 vcc_lo, 0, v3
	s_and_b32 s46, vcc_lo, exec_lo
	s_or_b32 s44, s44, s46
	s_or_b32 exec_lo, exec_lo, s45
	v_mov_b32_e32 v6, 0
	s_and_saveexec_b32 s45, s44
	s_cbranch_execnz .LBB9_765
	s_branch .LBB9_766
.LBB9_876:
	s_mov_b32 s1, -1
	s_mov_b32 s7, 0
.LBB9_877:
                                        ; implicit-def: $vgpr3_vgpr4
.LBB9_878:
	s_and_b32 vcc_lo, exec_lo, s10
	s_cbranch_vccz .LBB9_882
; %bb.879:
	s_cmp_eq_u32 s0, 44
	s_cbranch_scc0 .LBB9_881
; %bb.880:
	global_load_ubyte v5, v[0:1], off
	s_mov_b32 s1, 0
	s_mov_b32 s7, -1
	s_waitcnt vmcnt(0)
	v_lshlrev_b32_e32 v3, 23, v5
	v_cmp_ne_u32_e32 vcc_lo, 0xff, v5
	v_cvt_f64_f32_e32 v[3:4], v3
	v_cndmask_b32_e32 v3, 0x20000000, v3, vcc_lo
	v_cndmask_b32_e32 v4, 0x7ff80000, v4, vcc_lo
	v_cmp_ne_u32_e32 vcc_lo, 0, v5
	v_cndmask_b32_e32 v4, 0x38000000, v4, vcc_lo
	v_cndmask_b32_e32 v3, 0, v3, vcc_lo
	s_branch .LBB9_882
.LBB9_881:
	s_mov_b32 s1, -1
                                        ; implicit-def: $vgpr3_vgpr4
.LBB9_882:
	s_mov_b32 s10, 0
.LBB9_883:
	s_and_b32 vcc_lo, exec_lo, s10
	s_cbranch_vccz .LBB9_887
; %bb.884:
	s_cmp_eq_u32 s0, 29
	s_cbranch_scc0 .LBB9_886
; %bb.885:
	global_load_dwordx2 v[3:4], v[0:1], off
	s_mov_b32 s1, 0
	s_mov_b32 s7, -1
	s_mov_b32 s10, 0
	s_waitcnt vmcnt(0)
	v_cvt_f64_u32_e32 v[4:5], v4
	v_cvt_f64_u32_e32 v[6:7], v3
	v_ldexp_f64 v[4:5], v[4:5], 32
	v_add_f64 v[3:4], v[4:5], v[6:7]
	s_branch .LBB9_888
.LBB9_886:
	s_mov_b32 s1, -1
                                        ; implicit-def: $vgpr3_vgpr4
.LBB9_887:
	s_mov_b32 s10, 0
.LBB9_888:
	s_and_b32 vcc_lo, exec_lo, s10
	s_cbranch_vccz .LBB9_908
; %bb.889:
	s_cmp_lt_i32 s0, 27
	s_cbranch_scc1 .LBB9_892
; %bb.890:
	s_cmp_gt_i32 s0, 27
	s_cbranch_scc0 .LBB9_893
; %bb.891:
	global_load_dword v3, v[0:1], off
	s_mov_b32 s7, 0
	s_waitcnt vmcnt(0)
	v_cvt_f64_u32_e32 v[3:4], v3
	s_branch .LBB9_894
.LBB9_892:
	s_mov_b32 s7, -1
                                        ; implicit-def: $vgpr3_vgpr4
	s_branch .LBB9_897
.LBB9_893:
	s_mov_b32 s7, -1
                                        ; implicit-def: $vgpr3_vgpr4
.LBB9_894:
	s_andn2_b32 vcc_lo, exec_lo, s7
	s_cbranch_vccnz .LBB9_896
; %bb.895:
	global_load_ushort v3, v[0:1], off
	s_waitcnt vmcnt(0)
	v_cvt_f64_u32_e32 v[3:4], v3
.LBB9_896:
	s_mov_b32 s7, 0
.LBB9_897:
	s_andn2_b32 vcc_lo, exec_lo, s7
	s_cbranch_vccnz .LBB9_907
; %bb.898:
	global_load_ubyte v5, v[0:1], off
	s_mov_b32 s7, 0
	s_mov_b32 s10, exec_lo
	s_waitcnt vmcnt(0)
	v_cmpx_lt_i16_e32 0x7f, v5
	s_xor_b32 s10, exec_lo, s10
	s_cbranch_execz .LBB9_902
; %bb.899:
	s_mov_b32 s7, -1
	s_mov_b32 s11, exec_lo
	v_cmpx_eq_u16_e32 0x80, v5
; %bb.900:
	s_xor_b32 s7, exec_lo, -1
; %bb.901:
	s_or_b32 exec_lo, exec_lo, s11
	s_and_b32 s7, s7, exec_lo
.LBB9_902:
	s_or_saveexec_b32 s10, s10
	v_bfrev_b32_e32 v3, 4
	v_mov_b32_e32 v4, 0x7ff80000
	s_xor_b32 exec_lo, exec_lo, s10
; %bb.903:
	v_cmp_ne_u16_e32 vcc_lo, 0, v5
	v_mov_b32_e32 v3, 0
	v_mov_b32_e32 v4, 0
	s_andn2_b32 s7, s7, exec_lo
	s_and_b32 s11, vcc_lo, exec_lo
	s_or_b32 s7, s7, s11
; %bb.904:
	s_or_b32 exec_lo, exec_lo, s10
	s_and_saveexec_b32 s10, s7
	s_cbranch_execz .LBB9_906
; %bb.905:
	v_and_b32_e32 v3, 0xffff, v5
	v_lshlrev_b32_e32 v5, 24, v5
	v_and_b32_e32 v4, 7, v3
	v_bfe_u32 v8, v3, 3, 4
	v_ffbh_u32_e32 v6, v4
	v_cmp_eq_u32_e32 vcc_lo, 0, v8
	v_min_u32_e32 v6, 32, v6
	v_subrev_nc_u32_e32 v7, 28, v6
	v_sub_nc_u32_e32 v6, 29, v6
	v_lshlrev_b32_e32 v3, v7, v3
	v_cndmask_b32_e32 v6, v8, v6, vcc_lo
	v_and_b32_e32 v3, 7, v3
	v_cndmask_b32_e32 v3, v4, v3, vcc_lo
	v_and_b32_e32 v4, 0x80000000, v5
	v_lshl_add_u32 v5, v6, 23, 0x3b800000
	v_lshlrev_b32_e32 v3, 20, v3
	v_or3_b32 v3, v4, v5, v3
	v_cvt_f64_f32_e32 v[3:4], v3
.LBB9_906:
	s_or_b32 exec_lo, exec_lo, s10
.LBB9_907:
	s_mov_b32 s7, -1
.LBB9_908:
	s_mov_b32 s10, 0
.LBB9_909:
	s_and_b32 vcc_lo, exec_lo, s10
	s_cbranch_vccz .LBB9_940
; %bb.910:
	s_cmp_gt_i32 s0, 22
	s_cbranch_scc0 .LBB9_922
; %bb.911:
	s_cmp_lt_i32 s0, 24
	s_cbranch_scc1 .LBB9_923
; %bb.912:
	s_cmp_gt_i32 s0, 24
	s_cbranch_scc0 .LBB9_924
; %bb.913:
	global_load_ubyte v5, v[0:1], off
	s_mov_b32 s7, exec_lo
	s_waitcnt vmcnt(0)
	v_cmpx_lt_i16_e32 0x7f, v5
	s_xor_b32 s7, exec_lo, s7
	s_cbranch_execz .LBB9_917
; %bb.914:
	s_mov_b32 s6, -1
	s_mov_b32 s10, exec_lo
	v_cmpx_eq_u16_e32 0x80, v5
; %bb.915:
	s_xor_b32 s6, exec_lo, -1
; %bb.916:
	s_or_b32 exec_lo, exec_lo, s10
	s_and_b32 s6, s6, exec_lo
.LBB9_917:
	s_or_saveexec_b32 s7, s7
	v_bfrev_b32_e32 v3, 4
	v_mov_b32_e32 v4, 0x7ff80000
	s_xor_b32 exec_lo, exec_lo, s7
; %bb.918:
	v_cmp_ne_u16_e32 vcc_lo, 0, v5
	v_mov_b32_e32 v3, 0
	v_mov_b32_e32 v4, 0
	s_andn2_b32 s6, s6, exec_lo
	s_and_b32 s10, vcc_lo, exec_lo
	s_or_b32 s6, s6, s10
; %bb.919:
	s_or_b32 exec_lo, exec_lo, s7
	s_and_saveexec_b32 s7, s6
	s_cbranch_execz .LBB9_921
; %bb.920:
	v_and_b32_e32 v3, 0xffff, v5
	v_lshlrev_b32_e32 v5, 24, v5
	v_and_b32_e32 v4, 3, v3
	v_bfe_u32 v8, v3, 2, 5
	v_ffbh_u32_e32 v6, v4
	v_cmp_eq_u32_e32 vcc_lo, 0, v8
	v_min_u32_e32 v6, 32, v6
	v_subrev_nc_u32_e32 v7, 29, v6
	v_sub_nc_u32_e32 v6, 30, v6
	v_lshlrev_b32_e32 v3, v7, v3
	v_cndmask_b32_e32 v6, v8, v6, vcc_lo
	v_and_b32_e32 v3, 3, v3
	v_cndmask_b32_e32 v3, v4, v3, vcc_lo
	v_and_b32_e32 v4, 0x80000000, v5
	v_lshl_add_u32 v5, v6, 23, 0x37800000
	v_lshlrev_b32_e32 v3, 21, v3
	v_or3_b32 v3, v4, v5, v3
	v_cvt_f64_f32_e32 v[3:4], v3
.LBB9_921:
	s_or_b32 exec_lo, exec_lo, s7
	s_mov_b32 s6, 0
	s_branch .LBB9_925
.LBB9_922:
	s_mov_b32 s6, -1
                                        ; implicit-def: $vgpr3_vgpr4
	s_branch .LBB9_931
.LBB9_923:
	s_mov_b32 s6, -1
                                        ; implicit-def: $vgpr3_vgpr4
	s_branch .LBB9_928
.LBB9_924:
	s_mov_b32 s6, -1
                                        ; implicit-def: $vgpr3_vgpr4
.LBB9_925:
	s_and_b32 vcc_lo, exec_lo, s6
	s_cbranch_vccz .LBB9_927
; %bb.926:
	global_load_ubyte v3, v[0:1], off
	s_waitcnt vmcnt(0)
	v_lshlrev_b32_e32 v3, 24, v3
	v_and_b32_e32 v4, 0x7f000000, v3
	v_ffbh_u32_e32 v5, v4
	v_add_nc_u32_e32 v7, 0x1000000, v4
	v_cmp_ne_u32_e32 vcc_lo, 0, v4
	v_min_u32_e32 v5, 32, v5
	v_sub_nc_u32_e64 v5, v5, 4 clamp
	v_lshlrev_b32_e32 v6, v5, v4
	v_lshlrev_b32_e32 v5, 23, v5
	v_lshrrev_b32_e32 v6, 4, v6
	v_sub_nc_u32_e32 v5, v6, v5
	v_ashrrev_i32_e32 v6, 8, v7
	v_add_nc_u32_e32 v5, 0x3c000000, v5
	v_and_or_b32 v5, 0x7f800000, v6, v5
	v_cndmask_b32_e32 v4, 0, v5, vcc_lo
	v_and_or_b32 v3, 0x80000000, v3, v4
	v_cvt_f64_f32_e32 v[3:4], v3
.LBB9_927:
	s_mov_b32 s6, 0
.LBB9_928:
	s_andn2_b32 vcc_lo, exec_lo, s6
	s_cbranch_vccnz .LBB9_930
; %bb.929:
	global_load_ubyte v3, v[0:1], off
	s_waitcnt vmcnt(0)
	v_lshlrev_b32_e32 v4, 25, v3
	v_lshlrev_b16 v3, 8, v3
	v_lshrrev_b32_e32 v5, 4, v4
	v_and_or_b32 v6, 0x7f00, v3, 0.5
	v_cmp_gt_u32_e32 vcc_lo, 0x8000000, v4
	v_bfe_i32 v3, v3, 0, 16
	v_or_b32_e32 v5, 0x70000000, v5
	v_add_f32_e32 v6, -0.5, v6
	v_mul_f32_e32 v5, 0x7800000, v5
	v_cndmask_b32_e32 v4, v5, v6, vcc_lo
	v_and_or_b32 v3, 0x80000000, v3, v4
	v_cvt_f64_f32_e32 v[3:4], v3
.LBB9_930:
	s_mov_b32 s6, 0
	s_mov_b32 s7, -1
.LBB9_931:
	s_andn2_b32 vcc_lo, exec_lo, s6
	s_mov_b32 s6, 0
	s_cbranch_vccnz .LBB9_940
; %bb.932:
	s_cmp_gt_i32 s0, 14
	s_cbranch_scc0 .LBB9_935
; %bb.933:
	s_cmp_eq_u32 s0, 15
	s_cbranch_scc0 .LBB9_936
; %bb.934:
	global_load_ushort v3, v[0:1], off
	s_mov_b32 s1, 0
	s_mov_b32 s7, -1
	s_waitcnt vmcnt(0)
	v_lshlrev_b32_e32 v3, 16, v3
	v_cvt_f64_f32_e32 v[3:4], v3
	s_branch .LBB9_938
.LBB9_935:
	s_mov_b32 s6, -1
	s_branch .LBB9_937
.LBB9_936:
	s_mov_b32 s1, -1
.LBB9_937:
                                        ; implicit-def: $vgpr3_vgpr4
.LBB9_938:
	s_and_b32 vcc_lo, exec_lo, s6
	s_mov_b32 s6, 0
	s_cbranch_vccz .LBB9_940
; %bb.939:
	s_cmp_lg_u32 s0, 11
	s_mov_b32 s6, -1
	s_cselect_b32 s0, -1, 0
	s_andn2_b32 s1, s1, exec_lo
	s_and_b32 s0, s0, exec_lo
	s_or_b32 s1, s1, s0
.LBB9_940:
	s_mov_b32 s0, 0
.LBB9_941:
	s_and_b32 s43, s7, exec_lo
	s_andn2_b32 s7, s22, exec_lo
	s_and_b32 s1, s1, exec_lo
	s_and_b32 s44, s0, exec_lo
	;; [unrolled: 1-line block ×3, first 2 shown]
	s_or_b32 s45, s7, s1
.LBB9_942:
	s_or_b32 exec_lo, exec_lo, s33
	s_waitcnt lgkmcnt(0)
	s_andn2_b32 s6, s22, exec_lo
	s_and_b32 s7, s45, exec_lo
	s_and_b32 s43, s43, exec_lo
	;; [unrolled: 1-line block ×4, first 2 shown]
	s_or_b32 s22, s6, s7
.LBB9_943:
	s_or_b32 exec_lo, exec_lo, s42
	s_waitcnt lgkmcnt(0)
	s_andn2_b32 s6, s40, exec_lo
	s_and_b32 s7, s23, exec_lo
	s_and_b32 s42, s43, exec_lo
	s_or_b32 s40, s6, s7
	s_andn2_b32 s6, s39, exec_lo
	s_and_b32 s7, s22, exec_lo
	s_and_b32 s23, s1, exec_lo
	;; [unrolled: 1-line block ×3, first 2 shown]
	s_or_b32 s39, s6, s7
.LBB9_944:
	s_or_b32 exec_lo, exec_lo, s41
	s_andn2_b32 s0, s36, exec_lo
	s_waitcnt lgkmcnt(0)
	s_and_b32 s6, s40, exec_lo
	s_and_b32 s7, s39, exec_lo
	s_or_b32 s36, s0, s6
	s_andn2_b32 s6, s37, exec_lo
	s_and_b32 s0, s42, exec_lo
	s_and_b32 s22, s23, exec_lo
	;; [unrolled: 1-line block ×3, first 2 shown]
	s_or_b32 s37, s6, s7
	s_or_b32 exec_lo, exec_lo, s38
	s_mov_b32 s6, 0
	s_and_saveexec_b32 s1, s37
	s_cbranch_execz .LBB9_282
.LBB9_945:
	s_mov_b32 s6, exec_lo
	s_andn2_b32 s39, s39, exec_lo
	s_trap 2
	s_or_b32 exec_lo, exec_lo, s1
	s_and_saveexec_b32 s1, s39
	s_xor_b32 s1, exec_lo, s1
	s_cbranch_execnz .LBB9_283
.LBB9_946:
	s_or_b32 exec_lo, exec_lo, s1
	s_and_saveexec_b32 s1, s22
	s_cbranch_execz .LBB9_992
.LBB9_947:
	s_sext_i32_i16 s7, s30
	s_cmp_lt_i32 s7, 5
	s_cbranch_scc1 .LBB9_952
; %bb.948:
	s_cmp_lt_i32 s7, 8
	s_cbranch_scc1 .LBB9_953
; %bb.949:
	;; [unrolled: 3-line block ×3, first 2 shown]
	s_cmp_gt_i32 s7, 9
	s_cbranch_scc0 .LBB9_955
; %bb.951:
	global_load_dwordx2 v[3:4], v[0:1], off
	s_mov_b32 s7, 0
	s_branch .LBB9_956
.LBB9_952:
                                        ; implicit-def: $vgpr3_vgpr4
	s_branch .LBB9_973
.LBB9_953:
                                        ; implicit-def: $vgpr3_vgpr4
	s_branch .LBB9_962
.LBB9_954:
	s_mov_b32 s7, -1
                                        ; implicit-def: $vgpr3_vgpr4
	s_branch .LBB9_959
.LBB9_955:
	s_mov_b32 s7, -1
                                        ; implicit-def: $vgpr3_vgpr4
.LBB9_956:
	s_andn2_b32 vcc_lo, exec_lo, s7
	s_cbranch_vccnz .LBB9_958
; %bb.957:
	global_load_dword v3, v[0:1], off
	s_waitcnt vmcnt(0)
	v_cvt_f64_f32_e32 v[3:4], v3
.LBB9_958:
	s_mov_b32 s7, 0
.LBB9_959:
	s_andn2_b32 vcc_lo, exec_lo, s7
	s_cbranch_vccnz .LBB9_961
; %bb.960:
	global_load_dword v3, v[0:1], off
	s_waitcnt vmcnt(0)
	v_cvt_f32_f16_e32 v3, v3
	v_cvt_f64_f32_e32 v[3:4], v3
.LBB9_961:
	s_cbranch_execnz .LBB9_972
.LBB9_962:
	s_sext_i32_i16 s7, s30
	s_cmp_lt_i32 s7, 6
	s_cbranch_scc1 .LBB9_965
; %bb.963:
	s_cmp_gt_i32 s7, 6
	s_cbranch_scc0 .LBB9_966
; %bb.964:
	global_load_dwordx2 v[3:4], v[0:1], off
	s_mov_b32 s7, 0
	s_branch .LBB9_967
.LBB9_965:
	s_mov_b32 s7, -1
                                        ; implicit-def: $vgpr3_vgpr4
	s_branch .LBB9_970
.LBB9_966:
	s_mov_b32 s7, -1
                                        ; implicit-def: $vgpr3_vgpr4
.LBB9_967:
	s_andn2_b32 vcc_lo, exec_lo, s7
	s_cbranch_vccnz .LBB9_969
; %bb.968:
	global_load_dword v3, v[0:1], off
	s_waitcnt vmcnt(0)
	v_cvt_f64_f32_e32 v[3:4], v3
.LBB9_969:
	s_mov_b32 s7, 0
.LBB9_970:
	s_andn2_b32 vcc_lo, exec_lo, s7
	s_cbranch_vccnz .LBB9_972
; %bb.971:
	global_load_ushort v3, v[0:1], off
	s_waitcnt vmcnt(0)
	v_cvt_f32_f16_e32 v3, v3
	v_cvt_f64_f32_e32 v[3:4], v3
.LBB9_972:
	s_cbranch_execnz .LBB9_991
.LBB9_973:
	s_sext_i32_i16 s7, s30
	s_cmp_lt_i32 s7, 2
	s_cbranch_scc1 .LBB9_977
; %bb.974:
	s_cmp_lt_i32 s7, 3
	s_cbranch_scc1 .LBB9_978
; %bb.975:
	s_cmp_gt_i32 s7, 3
	s_cbranch_scc0 .LBB9_979
; %bb.976:
	global_load_dwordx2 v[3:4], v[0:1], off
	s_mov_b32 s7, 0
	s_waitcnt vmcnt(0)
	v_cvt_f64_i32_e32 v[4:5], v4
	v_cvt_f64_u32_e32 v[6:7], v3
	v_ldexp_f64 v[4:5], v[4:5], 32
	v_add_f64 v[3:4], v[4:5], v[6:7]
	s_branch .LBB9_980
.LBB9_977:
                                        ; implicit-def: $vgpr3_vgpr4
	s_branch .LBB9_986
.LBB9_978:
	s_mov_b32 s7, -1
                                        ; implicit-def: $vgpr3_vgpr4
	s_branch .LBB9_983
.LBB9_979:
	s_mov_b32 s7, -1
                                        ; implicit-def: $vgpr3_vgpr4
.LBB9_980:
	s_andn2_b32 vcc_lo, exec_lo, s7
	s_cbranch_vccnz .LBB9_982
; %bb.981:
	global_load_dword v3, v[0:1], off
	s_waitcnt vmcnt(0)
	v_cvt_f64_i32_e32 v[3:4], v3
.LBB9_982:
	s_mov_b32 s7, 0
.LBB9_983:
	s_andn2_b32 vcc_lo, exec_lo, s7
	s_cbranch_vccnz .LBB9_985
; %bb.984:
	global_load_sshort v3, v[0:1], off
	s_waitcnt vmcnt(0)
	v_cvt_f64_i32_e32 v[3:4], v3
.LBB9_985:
	s_cbranch_execnz .LBB9_991
.LBB9_986:
	s_sext_i32_i16 s7, s30
	s_cmp_gt_i32 s7, 0
	s_mov_b32 s7, 0
	s_cbranch_scc0 .LBB9_988
; %bb.987:
	global_load_sbyte v3, v[0:1], off
	s_waitcnt vmcnt(0)
	v_cvt_f64_i32_e32 v[3:4], v3
	s_branch .LBB9_989
.LBB9_988:
	s_mov_b32 s7, -1
                                        ; implicit-def: $vgpr3_vgpr4
.LBB9_989:
	s_andn2_b32 vcc_lo, exec_lo, s7
	s_cbranch_vccnz .LBB9_991
; %bb.990:
	global_load_ubyte v0, v[0:1], off
	s_waitcnt vmcnt(0)
	v_cvt_f64_u32_e32 v[3:4], v0
.LBB9_991:
	s_or_b32 s0, s0, exec_lo
.LBB9_992:
	s_or_b32 exec_lo, exec_lo, s1
	s_mov_b32 s11, 0
	s_mov_b32 s10, 0
                                        ; implicit-def: $sgpr1
                                        ; implicit-def: $vgpr5_vgpr6
                                        ; implicit-def: $vgpr0_vgpr1
	s_and_saveexec_b32 s7, s0
	s_cbranch_execz .LBB9_1008
; %bb.993:
	v_mov_b32_e32 v0, 0
	v_mov_b32_e32 v1, 0x7ff00000
	s_mov_b32 s10, exec_lo
	s_waitcnt vmcnt(0)
	v_cmpx_neq_f64_e32 0, v[3:4]
	s_cbranch_execz .LBB9_1001
; %bb.994:
	v_mov_b32_e32 v0, 0
	v_mov_b32_e32 v1, 0x7ff80000
	s_mov_b32 s11, exec_lo
	v_cmpx_ngt_f64_e32 0, v[3:4]
	s_cbranch_execz .LBB9_1000
; %bb.995:
                                        ; implicit-def: $vgpr0_vgpr1
	s_mov_b32 s0, exec_lo
	v_cmpx_ge_f64_e32 2.0, v[3:4]
	s_xor_b32 s12, exec_lo, s0
	s_cbranch_execz .LBB9_997
; %bb.996:
	v_fma_f64 v[0:1], v[3:4], 0.5, -2.0
	s_mov_b32 s0, 0xc38a0576
	s_mov_b32 s1, 0xbc7857d0
	;; [unrolled: 1-line block ×4, first 2 shown]
	v_mul_f64 v[9:10], v[3:4], 0.5
	v_fma_f64 v[25:26], v[3:4], v[3:4], -2.0
	s_mov_b32 s17, 0xbc603228
	s_mov_b32 s16, 0x3d3cda56
	;; [unrolled: 1-line block ×4, first 2 shown]
	v_fma_f64 v[5:6], v[0:1], s[14:15], s[0:1]
	s_mov_b32 s15, 0xbc499f2a
	s_mov_b32 s0, 0xe593bfac
	;; [unrolled: 1-line block ×3, first 2 shown]
	v_frexp_mant_f64_e32 v[11:12], v[9:10]
	v_frexp_exp_i32_f64_e32 v29, v[9:10]
	v_fma_f64 v[7:8], v[0:1], v[5:6], s[14:15]
	s_mov_b32 s14, 0x97eb07de
	s_mov_b32 s15, 0xbdd25103
	v_add_f64 v[7:8], v[7:8], s[0:1]
	s_mov_b32 s0, 0x7e0d1573
	s_mov_b32 s1, 0xbcd3eaaa
	v_fma_f64 v[5:6], v[0:1], v[7:8], -v[5:6]
	v_add_f64 v[5:6], v[5:6], s[0:1]
	s_mov_b32 s0, 0x615290c
	s_mov_b32 s1, 0x3d011d7f
	v_fma_f64 v[7:8], v[0:1], v[5:6], -v[7:8]
	;; [unrolled: 4-line block ×6, first 2 shown]
	v_add_f64 v[7:8], v[7:8], s[0:1]
	s_mov_b32 s1, 0x3fe55555
	s_mov_b32 s0, 0x55555555
	v_cmp_gt_f64_e32 vcc_lo, s[0:1], v[11:12]
	s_mov_b32 s0, 0x55555780
	v_fma_f64 v[5:6], v[0:1], v[7:8], -v[5:6]
	v_cndmask_b32_e64 v13, 0, 1, vcc_lo
	v_ldexp_f64 v[11:12], v[11:12], v13
	v_add_f64 v[5:6], v[5:6], s[14:15]
	s_mov_b32 s14, 0xb43fdf6c
	s_mov_b32 s15, 0x3df8ea34
	v_add_f64 v[13:14], v[11:12], 1.0
	v_add_f64 v[19:20], v[11:12], -1.0
	v_fma_f64 v[7:8], v[0:1], v[5:6], -v[7:8]
	v_rcp_f64_e32 v[15:16], v[13:14]
	v_add_f64 v[21:22], v[13:14], -1.0
	v_add_f64 v[7:8], v[7:8], s[14:15]
	s_mov_b32 s14, 0x28ea67e6
	s_mov_b32 s15, 0xbe20361b
	v_add_f64 v[11:12], v[11:12], -v[21:22]
	v_fma_f64 v[17:18], -v[13:14], v[15:16], 1.0
	v_fma_f64 v[5:6], v[0:1], v[7:8], -v[5:6]
	v_fma_f64 v[15:16], v[17:18], v[15:16], v[15:16]
	v_add_f64 v[5:6], v[5:6], s[14:15]
	s_mov_b32 s14, 0x2395010
	s_mov_b32 s15, 0x3e44258e
	v_fma_f64 v[17:18], -v[13:14], v[15:16], 1.0
	v_fma_f64 v[7:8], v[0:1], v[5:6], -v[7:8]
	v_fma_f64 v[15:16], v[17:18], v[15:16], v[15:16]
	v_add_f64 v[7:8], v[7:8], s[14:15]
	s_mov_b32 s14, 0x24b8c3e8
	s_mov_b32 s15, 0xbe67dd3e
	v_mul_f64 v[17:18], v[19:20], v[15:16]
	v_fma_f64 v[5:6], v[0:1], v[7:8], -v[5:6]
	v_mul_f64 v[23:24], v[13:14], v[17:18]
	v_add_f64 v[5:6], v[5:6], s[14:15]
	s_mov_b32 s14, 0xb347d108
	s_mov_b32 s15, 0x3e8ae344
	v_fma_f64 v[13:14], v[17:18], v[13:14], -v[23:24]
	v_fma_f64 v[7:8], v[0:1], v[5:6], -v[7:8]
	v_fma_f64 v[11:12], v[17:18], v[11:12], v[13:14]
	v_add_f64 v[7:8], v[7:8], s[14:15]
	s_mov_b32 s14, 0x7a0399e0
	s_mov_b32 s15, 0xbce5dd51
	v_fma_f64 v[27:28], v[25:26], s[16:17], s[14:15]
	s_mov_b32 s17, 0x3c603228
	s_mov_b32 s14, 0xddd0e045
	;; [unrolled: 1-line block ×3, first 2 shown]
	v_add_f64 v[13:14], v[23:24], v[11:12]
	v_fma_f64 v[5:6], v[0:1], v[7:8], -v[5:6]
	v_add_f64 v[21:22], v[19:20], -v[13:14]
	v_add_f64 v[23:24], v[13:14], -v[23:24]
	v_add_f64 v[5:6], v[5:6], s[18:19]
	s_mov_b32 s18, 0xd3d694fe
	s_mov_b32 s19, 0xbf2533ca
	v_add_f64 v[19:20], v[19:20], -v[21:22]
	v_add_f64 v[11:12], v[23:24], -v[11:12]
	v_fma_f64 v[7:8], v[0:1], v[5:6], -v[7:8]
	v_add_f64 v[13:14], v[19:20], -v[13:14]
	v_fma_f64 v[19:20], v[25:26], v[27:28], s[16:17]
	s_mov_b32 s16, 0xd511afc5
	s_mov_b32 s17, 0x3ecd1c4e
	v_add_f64 v[7:8], v[7:8], s[16:17]
	s_mov_b32 s16, 0xb8debbcf
	s_mov_b32 s17, 0xbeebd5f9
	v_add_f64 v[11:12], v[11:12], v[13:14]
	v_add_f64 v[13:14], v[19:20], s[14:15]
	s_mov_b32 s14, 0xb84626ca
	s_mov_b32 s15, 0xbde3663b
	v_fma_f64 v[5:6], v[0:1], v[7:8], -v[5:6]
	v_add_f64 v[11:12], v[21:22], v[11:12]
	v_fma_f64 v[19:20], v[25:26], v[13:14], -v[27:28]
	v_add_f64 v[5:6], v[5:6], s[16:17]
	s_mov_b32 s16, 0x42c70d0b
	s_mov_b32 s17, 0x3f0911b5
	v_mul_f64 v[11:12], v[15:16], v[11:12]
	v_add_f64 v[15:16], v[19:20], s[14:15]
	s_mov_b32 s14, 0x145c31d0
	s_mov_b32 s15, 0xbe57c41d
	v_fma_f64 v[7:8], v[0:1], v[5:6], -v[7:8]
	v_add_f64 v[19:20], v[17:18], v[11:12]
	v_fma_f64 v[13:14], v[25:26], v[15:16], -v[13:14]
	v_add_f64 v[7:8], v[7:8], s[16:17]
	s_mov_b32 s16, 0xbf559e2b
	s_mov_b32 s17, 0x3fc3ab76
	v_mul_f64 v[21:22], v[19:20], v[19:20]
	v_add_f64 v[13:14], v[13:14], s[14:15]
	s_mov_b32 s14, 0x6b47b09a
	s_mov_b32 s15, 0x3fc38538
	v_add_f64 v[17:18], v[19:20], -v[17:18]
	v_fma_f64 v[5:6], v[0:1], v[7:8], -v[5:6]
	v_fma_f64 v[23:24], v[21:22], s[16:17], s[14:15]
	v_fma_f64 v[15:16], v[25:26], v[13:14], -v[15:16]
	s_mov_b32 s14, 0x2c832e3a
	s_mov_b32 s15, 0xbec469b3
	;; [unrolled: 1-line block ×4, first 2 shown]
	v_mul_f64 v[27:28], v[19:20], v[21:22]
	v_add_f64 v[11:12], v[11:12], -v[17:18]
	v_add_f64 v[5:6], v[5:6], s[18:19]
	s_mov_b32 s18, 0xb6c6df7d
	s_mov_b32 s19, 0x3f40c95d
	v_fma_f64 v[23:24], v[21:22], v[23:24], s[16:17]
	v_add_f64 v[15:16], v[15:16], s[14:15]
	s_mov_b32 s14, 0x16291751
	s_mov_b32 s15, 0x3fcc71c0
	;; [unrolled: 1-line block ×4, first 2 shown]
	v_ldexp_f64 v[11:12], v[11:12], 1
	v_fma_f64 v[7:8], v[0:1], v[5:6], -v[7:8]
	v_fma_f64 v[23:24], v[21:22], v[23:24], s[14:15]
	v_fma_f64 v[13:14], v[25:26], v[15:16], -v[13:14]
	s_mov_b32 s14, 0xe5a3bd02
	s_mov_b32 s15, 0xbf26ade2
	v_add_f64 v[7:8], v[7:8], s[18:19]
	s_mov_b32 s18, 0xe7bb2349
	s_mov_b32 s19, 0x3f9951e3
	v_fma_f64 v[23:24], v[21:22], v[23:24], s[16:17]
	v_add_f64 v[13:14], v[13:14], s[14:15]
	s_mov_b32 s14, 0x998ef7b6
	s_mov_b32 s15, 0x3fd99999
	;; [unrolled: 1-line block ×4, first 2 shown]
	v_fma_f64 v[5:6], v[0:1], v[7:8], -v[5:6]
	v_fma_f64 v[23:24], v[21:22], v[23:24], s[14:15]
	v_fma_f64 v[15:16], v[25:26], v[13:14], -v[15:16]
	s_mov_b32 s14, 0x9d7d4192
	s_mov_b32 s15, 0xbf7c9293
	v_add_f64 v[5:6], v[5:6], s[16:17]
	s_mov_b32 s16, 0x49d3a1b4
	s_mov_b32 s17, 0x3f710653
	v_fma_f64 v[21:22], v[21:22], v[23:24], s[0:1]
	v_add_f64 v[15:16], v[15:16], s[14:15]
	v_ldexp_f64 v[23:24], v[19:20], 1
	s_mov_b32 s0, 0x43c1db74
	s_mov_b32 s1, 0xbfbf6372
	;; [unrolled: 1-line block ×4, first 2 shown]
	v_fma_f64 v[7:8], v[0:1], v[5:6], -v[7:8]
	v_mul_f64 v[21:22], v[27:28], v[21:22]
	v_fma_f64 v[13:14], v[25:26], v[15:16], -v[13:14]
	v_subrev_co_ci_u32_e64 v27, null, 0, v29, vcc_lo
	v_mul_f64 v[29:30], v[3:4], s[14:15]
	s_mov_b32 s14, 0x757b0dd4
	s_mov_b32 s15, 0xbfd69a1b
	v_cvt_f64_i32_e32 v[27:28], v27
	v_add_f64 v[7:8], v[7:8], s[16:17]
	s_mov_b32 s16, 0x7913a26a
	s_mov_b32 s17, 0xbf85a29f
	v_add_f64 v[19:20], v[23:24], v[21:22]
	v_add_f64 v[13:14], v[13:14], s[0:1]
	s_mov_b32 s1, 0x3fe62e42
	s_mov_b32 s0, 0xfefa39ef
	v_mul_f64 v[31:32], v[27:28], s[0:1]
	v_fma_f64 v[5:6], v[0:1], v[7:8], -v[5:6]
	v_add_f64 v[17:18], v[19:20], -v[23:24]
	v_fma_f64 v[15:16], v[25:26], v[13:14], -v[15:16]
	v_rndne_f64_e32 v[23:24], v[29:30]
	v_fma_f64 v[29:30], v[27:28], s[0:1], -v[31:32]
	s_mov_b32 s1, 0xbfe62e42
	v_add_f64 v[5:6], v[5:6], s[16:17]
	s_mov_b32 s16, 0x6a5dcb37
	s_mov_b32 s17, 0x3e5ade15
	v_add_f64 v[17:18], v[21:22], -v[17:18]
	v_add_f64 v[15:16], v[15:16], s[14:15]
	v_fma_f64 v[21:22], v[23:24], s[0:1], v[3:4]
	s_mov_b32 s1, 0x3c7abc9e
	s_mov_b32 s0, 0x3b39803f
	;; [unrolled: 1-line block ×4, first 2 shown]
	v_fma_f64 v[27:28], v[27:28], s[0:1], v[29:30]
	s_mov_b32 s1, 0xbc7abc9e
	v_fma_f64 v[7:8], v[0:1], v[5:6], -v[7:8]
	v_add_f64 v[11:12], v[11:12], v[17:18]
	v_fma_f64 v[15:16], v[25:26], v[15:16], -v[13:14]
	v_fma_f64 v[17:18], v[23:24], s[0:1], v[21:22]
	s_mov_b32 s0, 0x361008ca
	s_mov_b32 s1, 0x3ff867a1
	v_add_f64 v[21:22], v[31:32], v[27:28]
	v_add_f64 v[7:8], v[7:8], s[18:19]
	;; [unrolled: 1-line block ×4, first 2 shown]
	v_fma_f64 v[29:30], v[17:18], s[16:17], s[14:15]
	s_mov_b32 s0, 0x623fde64
	s_mov_b32 s1, 0x3ec71dee
	;; [unrolled: 1-line block ×4, first 2 shown]
	v_add_f64 v[31:32], v[21:22], -v[31:32]
	v_fma_f64 v[5:6], v[0:1], v[7:8], -v[5:6]
	v_add_f64 v[33:34], v[21:22], v[25:26]
	v_add_f64 v[13:14], v[15:16], -v[13:14]
	v_fma_f64 v[29:30], v[17:18], v[29:30], s[0:1]
	s_mov_b32 s0, 0x7c89e6b0
	s_mov_b32 s1, 0x3efa0199
	v_add_f64 v[19:20], v[25:26], -v[19:20]
	v_add_f64 v[27:28], v[27:28], -v[31:32]
	v_add_f64 v[5:6], v[5:6], s[14:15]
	s_mov_b32 s14, 0xd536f53c
	s_mov_b32 s15, 0x3fba46da
	v_add_f64 v[15:16], v[33:34], -v[21:22]
	v_mul_f64 v[13:14], v[13:14], 0.5
	v_fma_f64 v[29:30], v[17:18], v[29:30], s[0:1]
	s_mov_b32 s0, 0x14761f6e
	s_mov_b32 s1, 0x3f2a01a0
	v_add_f64 v[11:12], v[11:12], -v[19:20]
	v_fma_f64 v[7:8], v[0:1], v[5:6], -v[7:8]
	v_add_f64 v[35:36], v[33:34], -v[15:16]
	v_div_scale_f64 v[37:38], null, v[3:4], v[3:4], v[13:14]
	v_fma_f64 v[29:30], v[17:18], v[29:30], s[0:1]
	s_mov_b32 s0, 0x1852b7b0
	s_mov_b32 s1, 0x3f56c16c
	v_add_f64 v[15:16], v[25:26], -v[15:16]
	v_add_f64 v[7:8], v[7:8], s[14:15]
	s_mov_b32 s14, 0x469192e
	s_mov_b32 s15, 0xbfc694d1
	v_add_f64 v[19:20], v[21:22], -v[35:36]
	v_rcp_f64_e32 v[25:26], v[37:38]
	v_fma_f64 v[21:22], v[17:18], v[29:30], s[0:1]
	s_mov_b32 s0, 0x11122322
	s_mov_b32 s1, 0x3f811111
	v_add_f64 v[29:30], v[27:28], v[11:12]
	v_fma_f64 v[5:6], v[0:1], v[7:8], -v[5:6]
	v_add_f64 v[15:16], v[15:16], v[19:20]
	v_fma_f64 v[19:20], v[17:18], v[21:22], s[0:1]
	v_fma_f64 v[21:22], -v[37:38], v[25:26], 1.0
	s_mov_b32 s0, 0x555502a1
	s_mov_b32 s1, 0x3fa55555
	v_add_f64 v[31:32], v[29:30], -v[27:28]
	v_add_f64 v[5:6], v[5:6], s[14:15]
	s_mov_b32 s14, 0x724a7ffa
	s_mov_b32 s15, 0x3fd02a63
	v_add_f64 v[15:16], v[29:30], v[15:16]
	v_fma_f64 v[19:20], v[17:18], v[19:20], s[0:1]
	v_fma_f64 v[21:22], v[25:26], v[21:22], v[25:26]
	s_mov_b32 s0, 0x55555511
	s_mov_b32 s1, 0x3fc55555
	v_add_f64 v[25:26], v[29:30], -v[31:32]
	v_add_f64 v[11:12], v[11:12], -v[31:32]
	v_div_scale_f64 v[31:32], vcc_lo, v[13:14], v[3:4], v[13:14]
	v_fma_f64 v[0:1], v[0:1], v[5:6], -v[7:8]
	v_add_f64 v[29:30], v[33:34], v[15:16]
	v_fma_f64 v[19:20], v[17:18], v[19:20], s[0:1]
	v_fma_f64 v[5:6], -v[37:38], v[21:22], 1.0
	s_mov_b32 s0, 11
	s_mov_b32 s1, 0x3fe00000
	v_add_f64 v[25:26], v[27:28], -v[25:26]
	v_add_f64 v[0:1], v[0:1], s[14:15]
	v_add_f64 v[27:28], v[29:30], -v[33:34]
	v_fma_f64 v[19:20], v[17:18], v[19:20], s[0:1]
	v_fma_f64 v[5:6], v[21:22], v[5:6], v[21:22]
	v_cvt_i32_f64_e32 v21, v[23:24]
	v_cmp_neq_f64_e64 s0, 0, v[9:10]
	v_add_f64 v[11:12], v[11:12], v[25:26]
	v_add_f64 v[0:1], v[0:1], -v[7:8]
	v_add_f64 v[15:16], v[15:16], -v[27:28]
	v_fma_f64 v[19:20], v[17:18], v[19:20], 1.0
	v_mul_f64 v[7:8], v[31:32], v[5:6]
	v_mul_f64 v[0:1], v[0:1], 0.5
	v_add_f64 v[11:12], v[11:12], v[15:16]
	v_fma_f64 v[15:16], v[17:18], v[19:20], 1.0
	v_fma_f64 v[17:18], -v[37:38], v[7:8], v[31:32]
	v_mul_f64 v[0:1], v[3:4], v[0:1]
	v_add_f64 v[11:12], v[29:30], v[11:12]
	v_ldexp_f64 v[15:16], v[15:16], v21
	v_div_fmas_f64 v[5:6], v[17:18], v[5:6], v[7:8]
	v_cmp_neq_f64_e32 vcc_lo, 0x7ff00000, v[9:10]
	v_mul_f64 v[0:1], v[15:16], v[0:1]
	v_div_fixup_f64 v[3:4], v[5:6], v[3:4], v[13:14]
	v_cndmask_b32_e32 v7, 0x7ff00000, v12, vcc_lo
	s_and_b32 vcc_lo, s0, vcc_lo
	v_cndmask_b32_e32 v5, 0, v11, vcc_lo
	v_cndmask_b32_e64 v6, 0xfff00000, v7, s0
	v_fma_f64 v[0:1], v[5:6], v[0:1], v[3:4]
                                        ; implicit-def: $vgpr3_vgpr4
.LBB9_997:
	s_andn2_saveexec_b32 s1, s12
	s_cbranch_execz .LBB9_999
; %bb.998:
	v_div_scale_f64 v[0:1], null, v[3:4], v[3:4], 0x40200000
	v_div_scale_f64 v[9:10], vcc_lo, 0x40200000, v[3:4], 0x40200000
	s_mov_b32 s12, 0x838f5ed3
	s_mov_b32 s13, 0x3c74af1a
	;; [unrolled: 1-line block ×4, first 2 shown]
	v_cmp_nlt_f64_e64 s0, 0x4090cc00, v[3:4]
	v_rcp_f64_e32 v[5:6], v[0:1]
	v_fma_f64 v[7:8], -v[0:1], v[5:6], 1.0
	v_fma_f64 v[5:6], v[5:6], v[7:8], v[5:6]
	v_fma_f64 v[7:8], -v[0:1], v[5:6], 1.0
	v_fma_f64 v[5:6], v[5:6], v[7:8], v[5:6]
	v_mul_f64 v[7:8], v[9:10], v[5:6]
	v_fma_f64 v[0:1], -v[0:1], v[7:8], v[9:10]
	v_div_fmas_f64 v[0:1], v[0:1], v[5:6], v[7:8]
	v_cmp_gt_f64_e32 vcc_lo, 0x10000000, v[3:4]
	v_div_fixup_f64 v[0:1], v[0:1], v[3:4], 0x40200000
	v_cndmask_b32_e64 v15, 0, 0x100, vcc_lo
	v_ldexp_f64 v[15:16], v[3:4], v15
	v_add_f64 v[0:1], v[0:1], -2.0
	v_rsq_f64_e32 v[17:18], v[15:16]
	v_fma_f64 v[5:6], v[0:1], s[14:15], s[12:13]
	s_mov_b32 s15, 0x3c5a8c5d
	s_mov_b32 s12, 0x17771d52
	;; [unrolled: 1-line block ×3, first 2 shown]
	v_mul_f64 v[19:20], v[15:16], v[17:18]
	v_mul_f64 v[17:18], v[17:18], 0.5
	v_fma_f64 v[7:8], v[0:1], v[5:6], s[14:15]
	s_mov_b32 s14, 0x6a5dcb37
	s_mov_b32 s15, 0x3e5ade15
	v_fma_f64 v[21:22], -v[17:18], v[19:20], 0.5
	v_add_f64 v[7:8], v[7:8], s[12:13]
	s_mov_b32 s12, 0x44ee2c0b
	s_mov_b32 s13, 0x3caa7d5e
	v_fma_f64 v[19:20], v[19:20], v[21:22], v[19:20]
	v_fma_f64 v[17:18], v[17:18], v[21:22], v[17:18]
	v_fma_f64 v[5:6], v[0:1], v[7:8], -v[5:6]
	v_fma_f64 v[21:22], -v[19:20], v[19:20], v[15:16]
	v_add_f64 v[5:6], v[5:6], s[12:13]
	s_mov_b32 s12, 0xd8758ef2
	s_mov_b32 s13, 0xbcc5d2a3
	v_fma_f64 v[7:8], v[0:1], v[5:6], -v[7:8]
	v_add_f64 v[7:8], v[7:8], s[12:13]
	s_mov_b32 s12, 0xefee81bd
	s_mov_b32 s13, 0x3ce25ced
	v_fma_f64 v[5:6], v[0:1], v[7:8], -v[5:6]
	;; [unrolled: 4-line block ×14, first 2 shown]
	v_add_f64 v[5:6], v[5:6], s[12:13]
	s_mov_b32 s12, 0x652b82fe
	s_mov_b32 s13, 0xbff71547
	v_mul_f64 v[9:10], v[3:4], s[12:13]
	s_mov_b32 s12, 0x8fada5c6
	s_mov_b32 s13, 0xbe978052
	v_fma_f64 v[7:8], v[0:1], v[5:6], -v[7:8]
	v_rndne_f64_e32 v[9:10], v[9:10]
	v_add_f64 v[7:8], v[7:8], s[12:13]
	s_mov_b32 s12, 0xfefa39ef
	s_mov_b32 s13, 0xbfe62e42
	v_fma_f64 v[11:12], v[9:10], s[12:13], -v[3:4]
	s_mov_b32 s12, 0x3b39803f
	s_mov_b32 s13, 0xbc7abc9e
	v_cndmask_b32_e64 v3, 0, 0xffffff80, vcc_lo
	v_cmp_class_f64_e64 vcc_lo, v[15:16], 0x260
	v_fma_f64 v[5:6], v[0:1], v[7:8], -v[5:6]
	v_fma_f64 v[11:12], v[9:10], s[12:13], v[11:12]
	s_mov_b32 s12, 0x1752d1b6
	s_mov_b32 s13, 0x3ec42fe3
	v_add_f64 v[5:6], v[5:6], s[12:13]
	s_mov_b32 s12, 0xfca7ab0c
	s_mov_b32 s13, 0x3e928af3
	v_fma_f64 v[13:14], v[11:12], s[14:15], s[12:13]
	s_mov_b32 s12, 0x623fde64
	s_mov_b32 s13, 0x3ec71dee
	v_fma_f64 v[7:8], v[0:1], v[5:6], -v[7:8]
	v_fma_f64 v[13:14], v[11:12], v[13:14], s[12:13]
	s_mov_b32 s12, 0x1dcdb2e5
	s_mov_b32 s13, 0xbef44d71
	v_add_f64 v[7:8], v[7:8], s[12:13]
	s_mov_b32 s12, 0x7c89e6b0
	s_mov_b32 s13, 0x3efa0199
	v_fma_f64 v[13:14], v[11:12], v[13:14], s[12:13]
	s_mov_b32 s12, 0x14761f6e
	s_mov_b32 s13, 0x3f2a01a0
	;; [unrolled: 10-line block ×5, first 2 shown]
	v_fma_f64 v[0:1], v[0:1], v[5:6], -v[7:8]
	v_fma_f64 v[5:6], v[21:22], v[17:18], v[19:20]
	v_cvt_i32_f64_e32 v21, v[9:10]
	v_fma_f64 v[13:14], v[11:12], v[13:14], 1.0
	v_add_f64 v[0:1], v[0:1], s[12:13]
	v_fma_f64 v[19:20], -v[5:6], v[5:6], v[15:16]
	v_fma_f64 v[9:10], v[11:12], v[13:14], 1.0
	v_add_f64 v[0:1], v[0:1], -v[7:8]
	v_fma_f64 v[5:6], v[19:20], v[17:18], v[5:6]
	v_ldexp_f64 v[7:8], v[9:10], v21
	v_mul_f64 v[0:1], v[0:1], 0.5
	v_ldexp_f64 v[3:4], v[5:6], v3
	v_cndmask_b32_e64 v6, 0, v8, s0
	v_cndmask_b32_e64 v5, 0, v7, s0
	v_mul_f64 v[0:1], v[5:6], v[0:1]
	v_cndmask_b32_e32 v4, v4, v16, vcc_lo
	v_cndmask_b32_e32 v3, v3, v15, vcc_lo
	v_div_scale_f64 v[5:6], null, v[3:4], v[3:4], v[0:1]
	v_rcp_f64_e32 v[7:8], v[5:6]
	v_fma_f64 v[9:10], -v[5:6], v[7:8], 1.0
	v_fma_f64 v[7:8], v[7:8], v[9:10], v[7:8]
	v_fma_f64 v[9:10], -v[5:6], v[7:8], 1.0
	v_fma_f64 v[7:8], v[7:8], v[9:10], v[7:8]
	v_div_scale_f64 v[9:10], vcc_lo, v[0:1], v[3:4], v[0:1]
	v_mul_f64 v[11:12], v[9:10], v[7:8]
	v_fma_f64 v[5:6], -v[5:6], v[11:12], v[9:10]
	v_div_fmas_f64 v[5:6], v[5:6], v[7:8], v[11:12]
	v_div_fixup_f64 v[0:1], v[5:6], v[3:4], v[0:1]
.LBB9_999:
	s_or_b32 exec_lo, exec_lo, s1
.LBB9_1000:
	s_or_b32 exec_lo, exec_lo, s11
.LBB9_1001:
	s_or_b32 exec_lo, exec_lo, s10
	v_add_co_u32 v5, s0, s8, v2
	v_add_co_ci_u32_e64 v6, null, s9, 0, s0
	s_and_b32 s1, s29, 0xff
	s_cmp_lt_i32 s1, 11
	s_cbranch_scc1 .LBB9_1011
; %bb.1002:
	s_and_b32 s8, 0xffff, s1
	s_mov_b32 s9, -1
	s_cmp_gt_i32 s8, 25
	s_mov_b32 s0, s36
	s_cbranch_scc0 .LBB9_1039
; %bb.1003:
	s_cmp_gt_i32 s8, 28
	s_mov_b32 s0, s36
	s_cbranch_scc0 .LBB9_1023
; %bb.1004:
	;; [unrolled: 4-line block ×4, first 2 shown]
	s_cmp_eq_u32 s8, 46
	s_mov_b32 s0, -1
	s_cbranch_scc0 .LBB9_1012
; %bb.1007:
	v_cvt_f32_f64_e32 v2, v[0:1]
	s_mov_b32 s0, 0
	s_mov_b32 s9, 0
	v_bfe_u32 v3, v2, 16, 1
	v_cmp_o_f32_e32 vcc_lo, v2, v2
	v_add3_u32 v2, v2, v3, 0x7fff
	v_mov_b32_e32 v3, 0x7fc0
	v_cndmask_b32_sdwa v2, v3, v2, vcc_lo dst_sel:DWORD dst_unused:UNUSED_PAD src0_sel:DWORD src1_sel:WORD_1
	global_store_dword v[5:6], v2, off
	s_branch .LBB9_1013
.LBB9_1008:
	s_or_b32 exec_lo, exec_lo, s7
	s_and_saveexec_b32 s0, s36
	s_cbranch_execnz .LBB9_1081
.LBB9_1009:
	s_or_b32 exec_lo, exec_lo, s0
	s_and_saveexec_b32 s0, s11
	s_xor_b32 s0, exec_lo, s0
	s_cbranch_execz .LBB9_1082
.LBB9_1010:
	v_cmp_neq_f64_e32 vcc_lo, 0, v[0:1]
	v_cndmask_b32_e64 v2, 0, 1, vcc_lo
	global_store_byte v[5:6], v2, off
	s_or_b32 exec_lo, exec_lo, s0
	s_and_saveexec_b32 s0, s10
	s_xor_b32 s0, exec_lo, s0
	s_cbranch_execz .LBB9_1120
	s_branch .LBB9_1083
.LBB9_1011:
	s_mov_b32 s11, 0
	s_mov_b32 s9, -1
	s_mov_b32 s0, s36
	s_branch .LBB9_1080
.LBB9_1012:
	s_mov_b32 s9, 0
.LBB9_1013:
	s_and_b32 vcc_lo, exec_lo, s9
	s_cbranch_vccz .LBB9_1018
; %bb.1014:
	s_cmp_eq_u32 s8, 44
	s_mov_b32 s0, -1
	s_cbranch_scc0 .LBB9_1018
; %bb.1015:
	v_cvt_f32_f64_e32 v2, v[0:1]
	v_mov_b32_e32 v3, 0xff
	s_mov_b32 s9, exec_lo
	v_bfe_u32 v4, v2, 23, 8
	v_cmpx_ne_u32_e32 0xff, v4
	s_cbranch_execz .LBB9_1017
; %bb.1016:
	v_and_b32_e32 v3, 0x400000, v2
	v_and_or_b32 v4, 0x3fffff, v2, v4
	v_lshrrev_b32_e32 v2, 23, v2
	v_cmp_ne_u32_e32 vcc_lo, 0, v3
	v_cmp_ne_u32_e64 s0, 0, v4
	s_and_b32 s0, vcc_lo, s0
	v_cndmask_b32_e64 v3, 0, 1, s0
	v_add_nc_u32_e32 v3, v2, v3
.LBB9_1017:
	s_or_b32 exec_lo, exec_lo, s9
	s_mov_b32 s0, 0
	global_store_byte v[5:6], v3, off
.LBB9_1018:
	s_mov_b32 s9, 0
.LBB9_1019:
	s_and_b32 vcc_lo, exec_lo, s9
	s_cbranch_vccz .LBB9_1022
; %bb.1020:
	s_cmp_eq_u32 s8, 29
	s_mov_b32 s0, -1
	s_cbranch_scc0 .LBB9_1022
; %bb.1021:
	v_trunc_f64_e32 v[2:3], v[0:1]
	s_mov_b32 s0, 0
	s_mov_b32 s9, 0
	v_ldexp_f64 v[7:8], v[2:3], 0xffffffe0
	v_floor_f64_e32 v[7:8], v[7:8]
	v_fma_f64 v[2:3], 0xc1f00000, v[7:8], v[2:3]
	v_cvt_u32_f64_e32 v4, v[7:8]
	v_cvt_u32_f64_e32 v3, v[2:3]
	global_store_dwordx2 v[5:6], v[3:4], off
	s_branch .LBB9_1023
.LBB9_1022:
	s_mov_b32 s9, 0
.LBB9_1023:
	s_and_b32 vcc_lo, exec_lo, s9
	s_cbranch_vccz .LBB9_1038
; %bb.1024:
	s_cmp_lt_i32 s8, 27
	s_mov_b32 s9, -1
	s_cbranch_scc1 .LBB9_1030
; %bb.1025:
	s_cmp_gt_i32 s8, 27
	s_cbranch_scc0 .LBB9_1027
; %bb.1026:
	v_cvt_u32_f64_e32 v2, v[0:1]
	s_mov_b32 s9, 0
	global_store_dword v[5:6], v2, off
.LBB9_1027:
	s_andn2_b32 vcc_lo, exec_lo, s9
	s_cbranch_vccnz .LBB9_1029
; %bb.1028:
	v_cvt_u32_f64_e32 v2, v[0:1]
	global_store_short v[5:6], v2, off
.LBB9_1029:
	s_mov_b32 s9, 0
.LBB9_1030:
	s_andn2_b32 vcc_lo, exec_lo, s9
	s_cbranch_vccnz .LBB9_1038
; %bb.1031:
	v_cvt_f32_f64_e32 v2, v[0:1]
	v_mov_b32_e32 v4, 0x80
	s_mov_b32 s9, exec_lo
	v_and_b32_e32 v3, 0x7fffffff, v2
	v_cmpx_gt_u32_e32 0x43800000, v3
	s_cbranch_execz .LBB9_1037
; %bb.1032:
	v_cmp_lt_u32_e32 vcc_lo, 0x3bffffff, v3
	s_mov_b32 s10, 0
                                        ; implicit-def: $vgpr3
	s_and_saveexec_b32 s11, vcc_lo
	s_xor_b32 s11, exec_lo, s11
	s_cbranch_execz .LBB9_1191
; %bb.1033:
	v_bfe_u32 v3, v2, 20, 1
	s_mov_b32 s10, exec_lo
	v_add3_u32 v3, v2, v3, 0x487ffff
	v_lshrrev_b32_e32 v3, 20, v3
	s_andn2_saveexec_b32 s11, s11
	s_cbranch_execnz .LBB9_1192
.LBB9_1034:
	s_or_b32 exec_lo, exec_lo, s11
	v_mov_b32_e32 v4, 0
	s_and_saveexec_b32 s11, s10
.LBB9_1035:
	v_lshrrev_b32_e32 v2, 24, v2
	v_and_or_b32 v4, 0x80, v2, v3
.LBB9_1036:
	s_or_b32 exec_lo, exec_lo, s11
.LBB9_1037:
	s_or_b32 exec_lo, exec_lo, s9
	global_store_byte v[5:6], v4, off
.LBB9_1038:
	s_mov_b32 s9, 0
.LBB9_1039:
	s_and_b32 vcc_lo, exec_lo, s9
	s_mov_b32 s9, 0
	s_cbranch_vccz .LBB9_1079
; %bb.1040:
	s_cmp_gt_i32 s8, 22
	s_mov_b32 s10, -1
	s_cbranch_scc0 .LBB9_1072
; %bb.1041:
	s_cmp_lt_i32 s8, 24
	s_cbranch_scc1 .LBB9_1061
; %bb.1042:
	s_cmp_gt_i32 s8, 24
	s_cbranch_scc0 .LBB9_1050
; %bb.1043:
	v_cvt_f32_f64_e32 v2, v[0:1]
	v_mov_b32_e32 v4, 0x80
	s_mov_b32 s10, exec_lo
	v_and_b32_e32 v3, 0x7fffffff, v2
	v_cmpx_gt_u32_e32 0x47800000, v3
	s_cbranch_execz .LBB9_1049
; %bb.1044:
	v_cmp_lt_u32_e32 vcc_lo, 0x37ffffff, v3
	s_mov_b32 s11, 0
                                        ; implicit-def: $vgpr3
	s_and_saveexec_b32 s12, vcc_lo
	s_xor_b32 s12, exec_lo, s12
	s_cbranch_execz .LBB9_1325
; %bb.1045:
	v_bfe_u32 v3, v2, 21, 1
	s_mov_b32 s11, exec_lo
	v_add3_u32 v3, v2, v3, 0x88fffff
	v_lshrrev_b32_e32 v3, 21, v3
	s_andn2_saveexec_b32 s12, s12
	s_cbranch_execnz .LBB9_1326
.LBB9_1046:
	s_or_b32 exec_lo, exec_lo, s12
	v_mov_b32_e32 v4, 0
	s_and_saveexec_b32 s12, s11
.LBB9_1047:
	v_lshrrev_b32_e32 v2, 24, v2
	v_and_or_b32 v4, 0x80, v2, v3
.LBB9_1048:
	s_or_b32 exec_lo, exec_lo, s12
.LBB9_1049:
	s_or_b32 exec_lo, exec_lo, s10
	s_mov_b32 s10, 0
	global_store_byte v[5:6], v4, off
.LBB9_1050:
	s_and_b32 vcc_lo, exec_lo, s10
	s_cbranch_vccz .LBB9_1060
; %bb.1051:
	v_cvt_f32_f64_e32 v2, v[0:1]
	s_mov_b32 s10, exec_lo
                                        ; implicit-def: $vgpr3
	v_and_b32_e32 v4, 0x7fffffff, v2
	v_cmpx_gt_u32_e32 0x43f00000, v4
	s_xor_b32 s10, exec_lo, s10
	s_cbranch_execz .LBB9_1057
; %bb.1052:
	s_mov_b32 s11, exec_lo
                                        ; implicit-def: $vgpr3
	v_cmpx_lt_u32_e32 0x3c7fffff, v4
	s_xor_b32 s11, exec_lo, s11
; %bb.1053:
	v_bfe_u32 v3, v2, 20, 1
	v_add3_u32 v3, v2, v3, 0x407ffff
	v_and_b32_e32 v4, 0xff00000, v3
	v_lshrrev_b32_e32 v3, 20, v3
	v_cmp_ne_u32_e32 vcc_lo, 0x7f00000, v4
	v_cndmask_b32_e32 v3, 0x7e, v3, vcc_lo
; %bb.1054:
	s_andn2_saveexec_b32 s11, s11
; %bb.1055:
	v_add_f32_e64 v3, 0x46800000, |v2|
; %bb.1056:
	s_or_b32 exec_lo, exec_lo, s11
                                        ; implicit-def: $vgpr4
.LBB9_1057:
	s_andn2_saveexec_b32 s10, s10
; %bb.1058:
	v_mov_b32_e32 v3, 0x7f
	v_cmp_lt_u32_e32 vcc_lo, 0x7f800000, v4
	v_cndmask_b32_e32 v3, 0x7e, v3, vcc_lo
; %bb.1059:
	s_or_b32 exec_lo, exec_lo, s10
	v_lshrrev_b32_e32 v2, 24, v2
	v_and_or_b32 v2, 0x80, v2, v3
	global_store_byte v[5:6], v2, off
.LBB9_1060:
	s_mov_b32 s10, 0
.LBB9_1061:
	s_andn2_b32 vcc_lo, exec_lo, s10
	s_cbranch_vccnz .LBB9_1071
; %bb.1062:
	v_cvt_f32_f64_e32 v2, v[0:1]
	s_mov_b32 s10, exec_lo
                                        ; implicit-def: $vgpr3
	v_and_b32_e32 v4, 0x7fffffff, v2
	v_cmpx_gt_u32_e32 0x47800000, v4
	s_xor_b32 s10, exec_lo, s10
	s_cbranch_execz .LBB9_1068
; %bb.1063:
	s_mov_b32 s11, exec_lo
                                        ; implicit-def: $vgpr3
	v_cmpx_lt_u32_e32 0x387fffff, v4
	s_xor_b32 s11, exec_lo, s11
; %bb.1064:
	v_bfe_u32 v3, v2, 21, 1
	v_add3_u32 v3, v2, v3, 0x80fffff
	v_lshrrev_b32_e32 v3, 21, v3
; %bb.1065:
	s_andn2_saveexec_b32 s11, s11
; %bb.1066:
	v_add_f32_e64 v3, 0x43000000, |v2|
; %bb.1067:
	s_or_b32 exec_lo, exec_lo, s11
                                        ; implicit-def: $vgpr4
.LBB9_1068:
	s_andn2_saveexec_b32 s10, s10
; %bb.1069:
	v_mov_b32_e32 v3, 0x7f
	v_cmp_lt_u32_e32 vcc_lo, 0x7f800000, v4
	v_cndmask_b32_e32 v3, 0x7c, v3, vcc_lo
; %bb.1070:
	s_or_b32 exec_lo, exec_lo, s10
	v_lshrrev_b32_e32 v2, 24, v2
	v_and_or_b32 v2, 0x80, v2, v3
	global_store_byte v[5:6], v2, off
.LBB9_1071:
	s_mov_b32 s10, 0
.LBB9_1072:
	s_andn2_b32 vcc_lo, exec_lo, s10
	s_mov_b32 s11, 0
	s_cbranch_vccnz .LBB9_1080
; %bb.1073:
	s_cmp_gt_i32 s8, 14
	s_mov_b32 s10, -1
	s_cbranch_scc0 .LBB9_1077
; %bb.1074:
	s_cmp_eq_u32 s8, 15
	s_mov_b32 s0, -1
	s_cbranch_scc0 .LBB9_1076
; %bb.1075:
	v_cvt_f32_f64_e32 v2, v[0:1]
	s_mov_b32 s0, 0
	v_bfe_u32 v3, v2, 16, 1
	v_cmp_o_f32_e32 vcc_lo, v2, v2
	v_add3_u32 v2, v2, v3, 0x7fff
	v_mov_b32_e32 v3, 0x7fc0
	v_cndmask_b32_sdwa v2, v3, v2, vcc_lo dst_sel:DWORD dst_unused:UNUSED_PAD src0_sel:DWORD src1_sel:WORD_1
	global_store_short v[5:6], v2, off
.LBB9_1076:
	s_mov_b32 s10, 0
.LBB9_1077:
	s_and_b32 vcc_lo, exec_lo, s10
	s_cbranch_vccz .LBB9_1080
; %bb.1078:
	s_cmp_lg_u32 s8, 11
	s_mov_b32 s11, -1
	s_cselect_b32 s8, -1, 0
	s_andn2_b32 s0, s0, exec_lo
	s_and_b32 s8, s8, exec_lo
	s_or_b32 s0, s0, s8
	s_branch .LBB9_1080
.LBB9_1079:
	s_mov_b32 s11, 0
.LBB9_1080:
	s_andn2_b32 s8, s36, exec_lo
	s_and_b32 s0, s0, exec_lo
	s_and_b32 s10, s9, exec_lo
	;; [unrolled: 1-line block ×3, first 2 shown]
	s_or_b32 s36, s8, s0
	s_or_b32 exec_lo, exec_lo, s7
	s_and_saveexec_b32 s0, s36
	s_cbranch_execz .LBB9_1009
.LBB9_1081:
	s_or_b32 s6, s6, exec_lo
	s_andn2_b32 s11, s11, exec_lo
	s_trap 2
	s_or_b32 exec_lo, exec_lo, s0
	s_and_saveexec_b32 s0, s11
	s_xor_b32 s0, exec_lo, s0
	s_cbranch_execnz .LBB9_1010
.LBB9_1082:
	s_or_b32 exec_lo, exec_lo, s0
	s_and_saveexec_b32 s0, s10
	s_xor_b32 s0, exec_lo, s0
	s_cbranch_execz .LBB9_1120
.LBB9_1083:
	s_sext_i32_i16 s8, s1
	s_mov_b32 s7, -1
	s_cmp_lt_i32 s8, 5
	s_cbranch_scc1 .LBB9_1104
; %bb.1084:
	s_cmp_lt_i32 s8, 8
	s_cbranch_scc1 .LBB9_1094
; %bb.1085:
	;; [unrolled: 3-line block ×3, first 2 shown]
	s_cmp_gt_i32 s8, 9
	s_cbranch_scc0 .LBB9_1088
; %bb.1087:
	v_mov_b32_e32 v2, 0
	s_mov_b32 s7, 0
	s_waitcnt vmcnt(0)
	v_mov_b32_e32 v3, v2
	global_store_dwordx4 v[5:6], v[0:3], off
.LBB9_1088:
	s_andn2_b32 vcc_lo, exec_lo, s7
	s_cbranch_vccnz .LBB9_1090
; %bb.1089:
	v_cvt_f32_f64_e32 v2, v[0:1]
	s_waitcnt vmcnt(0)
	v_mov_b32_e32 v3, 0
	global_store_dwordx2 v[5:6], v[2:3], off
.LBB9_1090:
	s_mov_b32 s7, 0
.LBB9_1091:
	s_andn2_b32 vcc_lo, exec_lo, s7
	s_cbranch_vccnz .LBB9_1093
; %bb.1092:
	v_and_or_b32 v2, 0x1ff, v1, v0
	s_waitcnt vmcnt(0)
	v_lshrrev_b32_e32 v3, 8, v1
	v_bfe_u32 v4, v1, 20, 11
	v_cmp_ne_u32_e32 vcc_lo, 0, v2
	v_sub_nc_u32_e32 v7, 0x3f1, v4
	v_add_nc_u32_e32 v4, 0xfffffc10, v4
	v_cndmask_b32_e64 v2, 0, 1, vcc_lo
	v_and_or_b32 v2, 0xffe, v3, v2
	v_med3_i32 v3, v7, 0, 13
	v_or_b32_e32 v7, 0x1000, v2
	v_lshrrev_b32_e32 v8, v3, v7
	v_lshlrev_b32_e32 v3, v3, v8
	v_cmp_ne_u32_e32 vcc_lo, v3, v7
	v_lshl_or_b32 v7, v4, 12, v2
	v_cndmask_b32_e64 v3, 0, 1, vcc_lo
	v_cmp_gt_i32_e32 vcc_lo, 1, v4
	v_or_b32_e32 v3, v8, v3
	v_cndmask_b32_e32 v3, v7, v3, vcc_lo
	v_and_b32_e32 v7, 7, v3
	v_lshrrev_b32_e32 v3, 2, v3
	v_cmp_lt_i32_e32 vcc_lo, 5, v7
	v_cndmask_b32_e64 v8, 0, 1, vcc_lo
	v_cmp_eq_u32_e32 vcc_lo, 3, v7
	v_cndmask_b32_e64 v7, 0, 1, vcc_lo
	v_cmp_ne_u32_e32 vcc_lo, 0, v2
	v_or_b32_e32 v7, v7, v8
	v_mov_b32_e32 v8, 0x7e00
	v_add_nc_u32_e32 v3, v3, v7
	v_cndmask_b32_e32 v2, 0x7c00, v8, vcc_lo
	v_cmp_gt_i32_e32 vcc_lo, 31, v4
	v_cndmask_b32_e32 v3, 0x7c00, v3, vcc_lo
	v_cmp_eq_u32_e32 vcc_lo, 0x40f, v4
	v_cndmask_b32_e32 v2, v3, v2, vcc_lo
	v_lshrrev_b32_e32 v3, 16, v1
	v_and_or_b32 v2, 0x8000, v3, v2
	v_and_b32_e32 v2, 0xffff, v2
	global_store_dword v[5:6], v2, off
.LBB9_1093:
	s_mov_b32 s7, 0
.LBB9_1094:
	s_andn2_b32 vcc_lo, exec_lo, s7
	s_cbranch_vccnz .LBB9_1103
; %bb.1095:
	s_sext_i32_i16 s8, s1
	s_mov_b32 s7, -1
	s_cmp_lt_i32 s8, 6
	s_cbranch_scc1 .LBB9_1101
; %bb.1096:
	s_cmp_gt_i32 s8, 6
	s_cbranch_scc0 .LBB9_1098
; %bb.1097:
	s_mov_b32 s7, 0
	global_store_dwordx2 v[5:6], v[0:1], off
.LBB9_1098:
	s_andn2_b32 vcc_lo, exec_lo, s7
	s_cbranch_vccnz .LBB9_1100
; %bb.1099:
	v_cvt_f32_f64_e32 v2, v[0:1]
	global_store_dword v[5:6], v2, off
.LBB9_1100:
	s_mov_b32 s7, 0
.LBB9_1101:
	s_andn2_b32 vcc_lo, exec_lo, s7
	s_cbranch_vccnz .LBB9_1103
; %bb.1102:
	v_and_or_b32 v2, 0x1ff, v1, v0
	s_waitcnt vmcnt(0)
	v_lshrrev_b32_e32 v3, 8, v1
	v_bfe_u32 v4, v1, 20, 11
	v_cmp_ne_u32_e32 vcc_lo, 0, v2
	v_sub_nc_u32_e32 v7, 0x3f1, v4
	v_add_nc_u32_e32 v4, 0xfffffc10, v4
	v_cndmask_b32_e64 v2, 0, 1, vcc_lo
	v_and_or_b32 v2, 0xffe, v3, v2
	v_med3_i32 v3, v7, 0, 13
	v_or_b32_e32 v7, 0x1000, v2
	v_lshrrev_b32_e32 v8, v3, v7
	v_lshlrev_b32_e32 v3, v3, v8
	v_cmp_ne_u32_e32 vcc_lo, v3, v7
	v_lshl_or_b32 v7, v4, 12, v2
	v_cndmask_b32_e64 v3, 0, 1, vcc_lo
	v_cmp_gt_i32_e32 vcc_lo, 1, v4
	v_or_b32_e32 v3, v8, v3
	v_cndmask_b32_e32 v3, v7, v3, vcc_lo
	v_and_b32_e32 v7, 7, v3
	v_lshrrev_b32_e32 v3, 2, v3
	v_cmp_lt_i32_e32 vcc_lo, 5, v7
	v_cndmask_b32_e64 v8, 0, 1, vcc_lo
	v_cmp_eq_u32_e32 vcc_lo, 3, v7
	v_cndmask_b32_e64 v7, 0, 1, vcc_lo
	v_cmp_ne_u32_e32 vcc_lo, 0, v2
	v_or_b32_e32 v7, v7, v8
	v_mov_b32_e32 v8, 0x7e00
	v_add_nc_u32_e32 v3, v3, v7
	v_cndmask_b32_e32 v2, 0x7c00, v8, vcc_lo
	v_cmp_gt_i32_e32 vcc_lo, 31, v4
	v_cndmask_b32_e32 v3, 0x7c00, v3, vcc_lo
	v_cmp_eq_u32_e32 vcc_lo, 0x40f, v4
	v_cndmask_b32_e32 v2, v3, v2, vcc_lo
	v_lshrrev_b32_e32 v3, 16, v1
	v_and_or_b32 v2, 0x8000, v3, v2
	global_store_short v[5:6], v2, off
.LBB9_1103:
	s_mov_b32 s7, 0
.LBB9_1104:
	s_andn2_b32 vcc_lo, exec_lo, s7
	s_cbranch_vccnz .LBB9_1120
; %bb.1105:
	s_sext_i32_i16 s8, s1
	s_mov_b32 s7, -1
	s_cmp_lt_i32 s8, 2
	s_cbranch_scc1 .LBB9_1115
; %bb.1106:
	s_cmp_lt_i32 s8, 3
	s_cbranch_scc1 .LBB9_1112
; %bb.1107:
	s_cmp_gt_i32 s8, 3
	s_cbranch_scc0 .LBB9_1109
; %bb.1108:
	s_waitcnt vmcnt(0)
	v_trunc_f64_e32 v[2:3], v[0:1]
	s_mov_b32 s7, 0
	v_ldexp_f64 v[7:8], v[2:3], 0xffffffe0
	v_floor_f64_e32 v[7:8], v[7:8]
	v_fma_f64 v[2:3], 0xc1f00000, v[7:8], v[2:3]
	v_cvt_i32_f64_e32 v4, v[7:8]
	v_cvt_u32_f64_e32 v3, v[2:3]
	global_store_dwordx2 v[5:6], v[3:4], off
.LBB9_1109:
	s_andn2_b32 vcc_lo, exec_lo, s7
	s_cbranch_vccnz .LBB9_1111
; %bb.1110:
	v_cvt_i32_f64_e32 v2, v[0:1]
	global_store_dword v[5:6], v2, off
.LBB9_1111:
	s_mov_b32 s7, 0
.LBB9_1112:
	s_andn2_b32 vcc_lo, exec_lo, s7
	s_cbranch_vccnz .LBB9_1114
; %bb.1113:
	v_cvt_i32_f64_e32 v2, v[0:1]
	global_store_short v[5:6], v2, off
.LBB9_1114:
	s_mov_b32 s7, 0
.LBB9_1115:
	s_andn2_b32 vcc_lo, exec_lo, s7
	s_cbranch_vccnz .LBB9_1120
; %bb.1116:
	s_sext_i32_i16 s1, s1
	s_cmp_gt_i32 s1, 0
	s_mov_b32 s1, -1
	s_cbranch_scc0 .LBB9_1118
; %bb.1117:
	v_cvt_i32_f64_e32 v2, v[0:1]
	s_mov_b32 s1, 0
	global_store_byte v[5:6], v2, off
.LBB9_1118:
	s_andn2_b32 vcc_lo, exec_lo, s1
	s_cbranch_vccnz .LBB9_1120
; %bb.1119:
	v_trunc_f64_e32 v[0:1], v[0:1]
	s_waitcnt vmcnt(0)
	v_ldexp_f64 v[2:3], v[0:1], 0xffffffe0
	v_floor_f64_e32 v[2:3], v[2:3]
	v_fma_f64 v[0:1], 0xc1f00000, v[2:3], v[0:1]
	v_cvt_u32_f64_e32 v0, v[0:1]
	global_store_byte v[5:6], v0, off
.LBB9_1120:
	s_or_b32 exec_lo, exec_lo, s0
	s_and_b32 s12, s6, exec_lo
                                        ; implicit-def: $vgpr5
                                        ; implicit-def: $vgpr8
.LBB9_1121:
	s_or_saveexec_b32 s13, s28
	s_mov_b32 s0, 0
                                        ; implicit-def: $vgpr0_vgpr1
                                        ; implicit-def: $sgpr1
                                        ; implicit-def: $vgpr12_vgpr13
	s_xor_b32 exec_lo, exec_lo, s13
	s_cbranch_execz .LBB9_1806
; %bb.1122:
	s_waitcnt vmcnt(0)
	v_cndmask_b32_e64 v4, 0, 1, s27
	s_andn2_b32 vcc_lo, exec_lo, s27
	s_cbranch_vccnz .LBB9_1128
; %bb.1123:
	s_cmp_lg_u32 s24, 0
	s_mov_b32 s8, 0
	s_cbranch_scc0 .LBB9_1129
; %bb.1124:
	s_min_u32 s10, s25, 15
	s_add_i32 s10, s10, 1
	s_cmp_eq_u32 s25, 2
	s_cbranch_scc1 .LBB9_1130
; %bb.1125:
	v_mov_b32_e32 v0, 0
	v_mov_b32_e32 v2, 0
	;; [unrolled: 1-line block ×3, first 2 shown]
	s_and_b32 s9, s10, 28
	s_add_u32 s0, s2, 0xc4
	s_addc_u32 s1, s3, 0
	s_mov_b32 s11, 0
	s_mov_b64 s[6:7], s[2:3]
.LBB9_1126:                             ; =>This Inner Loop Header: Depth=1
	s_clause 0x1
	s_load_dwordx8 s[16:23], s[6:7], 0x4
	s_load_dwordx4 s[28:31], s[6:7], 0x24
	s_load_dwordx8 s[36:43], s[0:1], 0x0
	s_add_u32 s6, s6, 48
	s_addc_u32 s7, s7, 0
	s_add_i32 s11, s11, 4
	s_add_u32 s0, s0, 32
	s_addc_u32 s1, s1, 0
	s_cmp_lg_u32 s9, s11
	s_waitcnt lgkmcnt(0)
	v_mul_hi_u32 v3, s17, v1
	v_add_nc_u32_e32 v3, v1, v3
	v_lshrrev_b32_e32 v3, s18, v3
	v_mul_hi_u32 v6, s20, v3
	v_mul_lo_u32 v9, v3, s16
	v_add_nc_u32_e32 v6, v3, v6
	v_sub_nc_u32_e32 v1, v1, v9
	v_lshrrev_b32_e32 v6, s21, v6
	v_mul_lo_u32 v9, v1, s36
	v_mul_lo_u32 v11, v1, s37
	v_mul_hi_u32 v7, s23, v6
	v_add_nc_u32_e32 v7, v6, v7
	v_lshrrev_b32_e32 v7, s28, v7
	v_mul_hi_u32 v10, s30, v7
	v_mul_lo_u32 v12, v7, s22
	v_add_nc_u32_e32 v1, v7, v10
	v_mul_lo_u32 v10, v6, s19
	v_sub_nc_u32_e32 v6, v6, v12
	v_lshrrev_b32_e32 v1, s31, v1
	v_mul_lo_u32 v12, v6, s40
	v_mul_lo_u32 v6, v6, s41
	v_sub_nc_u32_e32 v3, v3, v10
	v_mul_lo_u32 v13, v1, s29
	v_mul_lo_u32 v10, v3, s38
	;; [unrolled: 1-line block ×3, first 2 shown]
	v_sub_nc_u32_e32 v7, v7, v13
	v_add3_u32 v2, v9, v2, v10
	v_mul_lo_u32 v13, v7, s42
	v_mul_lo_u32 v7, v7, s43
	v_add3_u32 v0, v11, v0, v3
	v_add3_u32 v2, v12, v2, v13
	;; [unrolled: 1-line block ×3, first 2 shown]
	s_cbranch_scc1 .LBB9_1126
; %bb.1127:
	s_and_b32 s10, s10, 3
	s_cmp_eq_u32 s10, 0
	s_cbranch_scc0 .LBB9_1131
	s_branch .LBB9_1133
.LBB9_1128:
	s_mov_b32 s8, -1
                                        ; implicit-def: $vgpr2
                                        ; implicit-def: $vgpr0
	s_branch .LBB9_1133
.LBB9_1129:
	v_mov_b32_e32 v2, 0
	v_mov_b32_e32 v0, 0
	s_branch .LBB9_1133
.LBB9_1130:
	v_mov_b32_e32 v2, 0
	v_mov_b32_e32 v0, 0
	v_mov_b32_e32 v1, v8
	s_mov_b32 s9, 0
	s_and_b32 s10, s10, 3
	s_cmp_eq_u32 s10, 0
	s_cbranch_scc1 .LBB9_1133
.LBB9_1131:
	s_lshl_b32 s0, s9, 3
	s_mul_i32 s6, s9, 12
	s_add_u32 s0, s2, s0
	s_addc_u32 s1, s3, 0
	s_add_u32 s0, s0, 0xc4
	s_addc_u32 s1, s1, 0
	;; [unrolled: 2-line block ×3, first 2 shown]
	.p2align	6
.LBB9_1132:                             ; =>This Inner Loop Header: Depth=1
	s_clause 0x1
	s_load_dwordx2 s[14:15], s[6:7], 0x4
	s_load_dword s9, s[6:7], 0xc
	s_load_dwordx2 s[16:17], s[0:1], 0x0
	s_add_u32 s6, s6, 12
	s_addc_u32 s7, s7, 0
	s_add_u32 s0, s0, 8
	s_addc_u32 s1, s1, 0
	s_add_i32 s10, s10, -1
	s_cmp_lg_u32 s10, 0
	s_waitcnt lgkmcnt(0)
	v_mul_hi_u32 v3, s15, v1
	v_add_nc_u32_e32 v3, v1, v3
	v_lshrrev_b32_e32 v6, s9, v3
	v_mul_lo_u32 v3, v6, s14
	v_sub_nc_u32_e32 v1, v1, v3
	v_mad_u64_u32 v[2:3], null, v1, s16, v[2:3]
	v_mad_u64_u32 v[0:1], null, v1, s17, v[0:1]
	v_mov_b32_e32 v1, v6
	s_cbranch_scc1 .LBB9_1132
.LBB9_1133:
	s_andn2_b32 vcc_lo, exec_lo, s8
	s_cbranch_vccnz .LBB9_1136
; %bb.1134:
	s_clause 0x1
	s_load_dwordx4 s[8:11], s[2:3], 0x4
	s_load_dwordx2 s[0:1], s[2:3], 0xc4
	s_cmp_lt_u32 s24, 2
	s_waitcnt lgkmcnt(0)
	v_mul_hi_u32 v0, s9, v8
	v_add_nc_u32_e32 v0, v8, v0
	v_lshrrev_b32_e32 v1, s10, v0
	v_mul_lo_u32 v0, v1, s8
	v_sub_nc_u32_e32 v0, v8, v0
	v_mul_lo_u32 v2, v0, s0
	v_mul_lo_u32 v0, v0, s1
	s_cbranch_scc1 .LBB9_1136
; %bb.1135:
	s_clause 0x1
	s_load_dwordx4 s[8:11], s[2:3], 0x10
	s_load_dwordx2 s[0:1], s[2:3], 0xcc
	s_waitcnt lgkmcnt(0)
	v_mul_hi_u32 v3, s9, v1
	v_add_nc_u32_e32 v3, v1, v3
	v_lshrrev_b32_e32 v3, s10, v3
	v_mul_lo_u32 v3, v3, s8
	v_sub_nc_u32_e32 v1, v1, v3
	v_mad_u64_u32 v[2:3], null, v1, s0, v[2:3]
	v_mad_u64_u32 v[0:1], null, v1, s1, v[0:1]
.LBB9_1136:
	v_cmp_ne_u32_e32 vcc_lo, 1, v4
	v_add_nc_u32_e32 v1, 0x80, v8
	s_cbranch_vccnz .LBB9_1142
; %bb.1137:
	s_cmp_lg_u32 s24, 0
	s_mov_b32 s8, 0
	s_cbranch_scc0 .LBB9_1143
; %bb.1138:
	s_min_u32 s10, s25, 15
	s_add_i32 s10, s10, 1
	s_cmp_eq_u32 s25, 2
	s_cbranch_scc1 .LBB9_1144
; %bb.1139:
	v_mov_b32_e32 v9, 0
	v_mov_b32_e32 v6, 0
	;; [unrolled: 1-line block ×3, first 2 shown]
	s_and_b32 s9, s10, 28
	s_add_u32 s0, s2, 0xc4
	s_addc_u32 s1, s3, 0
	s_mov_b32 s11, 0
	s_mov_b64 s[6:7], s[2:3]
.LBB9_1140:                             ; =>This Inner Loop Header: Depth=1
	s_clause 0x1
	s_load_dwordx8 s[16:23], s[6:7], 0x4
	s_load_dwordx4 s[28:31], s[6:7], 0x24
	s_load_dwordx8 s[36:43], s[0:1], 0x0
	s_add_u32 s6, s6, 48
	s_addc_u32 s7, s7, 0
	s_add_i32 s11, s11, 4
	s_add_u32 s0, s0, 32
	s_addc_u32 s1, s1, 0
	s_cmp_lg_u32 s9, s11
	s_waitcnt lgkmcnt(0)
	v_mul_hi_u32 v7, s17, v3
	v_add_nc_u32_e32 v7, v3, v7
	v_lshrrev_b32_e32 v7, s18, v7
	v_mul_hi_u32 v10, s20, v7
	v_mul_lo_u32 v12, v7, s16
	v_add_nc_u32_e32 v10, v7, v10
	v_sub_nc_u32_e32 v3, v3, v12
	v_lshrrev_b32_e32 v10, s21, v10
	v_mul_lo_u32 v12, v3, s36
	v_mul_lo_u32 v14, v3, s37
	v_mul_hi_u32 v11, s23, v10
	v_add_nc_u32_e32 v11, v10, v11
	v_lshrrev_b32_e32 v11, s28, v11
	v_mul_hi_u32 v13, s30, v11
	v_mul_lo_u32 v15, v11, s22
	v_add_nc_u32_e32 v3, v11, v13
	v_mul_lo_u32 v13, v10, s19
	v_sub_nc_u32_e32 v10, v10, v15
	v_lshrrev_b32_e32 v3, s31, v3
	v_mul_lo_u32 v15, v10, s40
	v_mul_lo_u32 v10, v10, s41
	v_sub_nc_u32_e32 v7, v7, v13
	v_mul_lo_u32 v16, v3, s29
	v_mul_lo_u32 v13, v7, s38
	;; [unrolled: 1-line block ×3, first 2 shown]
	v_sub_nc_u32_e32 v11, v11, v16
	v_add3_u32 v6, v12, v6, v13
	v_mul_lo_u32 v16, v11, s42
	v_mul_lo_u32 v11, v11, s43
	v_add3_u32 v7, v14, v9, v7
	v_add3_u32 v6, v15, v6, v16
	;; [unrolled: 1-line block ×3, first 2 shown]
	s_cbranch_scc1 .LBB9_1140
; %bb.1141:
	s_and_b32 s10, s10, 3
	s_cmp_eq_u32 s10, 0
	s_cbranch_scc0 .LBB9_1145
	s_branch .LBB9_1147
.LBB9_1142:
	s_mov_b32 s8, -1
                                        ; implicit-def: $vgpr6
                                        ; implicit-def: $vgpr9
	s_branch .LBB9_1147
.LBB9_1143:
	v_mov_b32_e32 v6, 0
	v_mov_b32_e32 v9, 0
	s_branch .LBB9_1147
.LBB9_1144:
	v_mov_b32_e32 v6, 0
	v_mov_b32_e32 v9, 0
	;; [unrolled: 1-line block ×3, first 2 shown]
	s_mov_b32 s9, 0
	s_and_b32 s10, s10, 3
	s_cmp_eq_u32 s10, 0
	s_cbranch_scc1 .LBB9_1147
.LBB9_1145:
	s_lshl_b32 s0, s9, 3
	s_mul_i32 s6, s9, 12
	s_add_u32 s0, s2, s0
	s_addc_u32 s1, s3, 0
	s_add_u32 s0, s0, 0xc4
	s_addc_u32 s1, s1, 0
	;; [unrolled: 2-line block ×3, first 2 shown]
	.p2align	6
.LBB9_1146:                             ; =>This Inner Loop Header: Depth=1
	s_clause 0x1
	s_load_dwordx2 s[14:15], s[6:7], 0x4
	s_load_dword s9, s[6:7], 0xc
	s_load_dwordx2 s[16:17], s[0:1], 0x0
	s_add_u32 s6, s6, 12
	s_addc_u32 s7, s7, 0
	s_add_u32 s0, s0, 8
	s_addc_u32 s1, s1, 0
	s_add_i32 s10, s10, -1
	s_cmp_lg_u32 s10, 0
	s_waitcnt lgkmcnt(0)
	v_mul_hi_u32 v7, s15, v3
	v_add_nc_u32_e32 v7, v3, v7
	v_lshrrev_b32_e32 v11, s9, v7
	v_mul_lo_u32 v7, v11, s14
	v_sub_nc_u32_e32 v3, v3, v7
	v_mad_u64_u32 v[6:7], null, v3, s16, v[6:7]
	v_mad_u64_u32 v[9:10], null, v3, s17, v[9:10]
	v_mov_b32_e32 v3, v11
	s_cbranch_scc1 .LBB9_1146
.LBB9_1147:
	s_andn2_b32 vcc_lo, exec_lo, s8
	s_cbranch_vccnz .LBB9_1150
; %bb.1148:
	s_clause 0x1
	s_load_dwordx4 s[8:11], s[2:3], 0x4
	s_load_dwordx2 s[0:1], s[2:3], 0xc4
	s_cmp_lt_u32 s24, 2
	s_waitcnt lgkmcnt(0)
	v_mul_hi_u32 v3, s9, v1
	v_add_nc_u32_e32 v3, v1, v3
	v_lshrrev_b32_e32 v3, s10, v3
	v_mul_lo_u32 v6, v3, s8
	v_sub_nc_u32_e32 v1, v1, v6
	v_mul_lo_u32 v6, v1, s0
	v_mul_lo_u32 v9, v1, s1
	s_cbranch_scc1 .LBB9_1150
; %bb.1149:
	s_clause 0x1
	s_load_dwordx4 s[8:11], s[2:3], 0x10
	s_load_dwordx2 s[0:1], s[2:3], 0xcc
	s_waitcnt lgkmcnt(0)
	v_mul_hi_u32 v1, s9, v3
	v_add_nc_u32_e32 v1, v3, v1
	v_lshrrev_b32_e32 v1, s10, v1
	v_mul_lo_u32 v1, v1, s8
	v_sub_nc_u32_e32 v1, v3, v1
	v_mad_u64_u32 v[6:7], null, v1, s0, v[6:7]
	v_mad_u64_u32 v[9:10], null, v1, s1, v[9:10]
.LBB9_1150:
	v_cmp_ne_u32_e32 vcc_lo, 1, v4
	v_add_nc_u32_e32 v1, 0x100, v8
	s_cbranch_vccnz .LBB9_1156
; %bb.1151:
	s_cmp_lg_u32 s24, 0
	s_mov_b32 s8, 0
	s_cbranch_scc0 .LBB9_1157
; %bb.1152:
	s_min_u32 s10, s25, 15
	s_add_i32 s10, s10, 1
	s_cmp_eq_u32 s25, 2
	s_cbranch_scc1 .LBB9_1158
; %bb.1153:
	v_mov_b32_e32 v7, 0
	v_mov_b32_e32 v10, 0
	;; [unrolled: 1-line block ×3, first 2 shown]
	s_and_b32 s9, s10, 28
	s_add_u32 s0, s2, 0xc4
	s_addc_u32 s1, s3, 0
	s_mov_b32 s11, 0
	s_mov_b64 s[6:7], s[2:3]
.LBB9_1154:                             ; =>This Inner Loop Header: Depth=1
	s_clause 0x1
	s_load_dwordx8 s[16:23], s[6:7], 0x4
	s_load_dwordx4 s[28:31], s[6:7], 0x24
	s_load_dwordx8 s[36:43], s[0:1], 0x0
	s_add_u32 s6, s6, 48
	s_addc_u32 s7, s7, 0
	s_add_i32 s11, s11, 4
	s_add_u32 s0, s0, 32
	s_addc_u32 s1, s1, 0
	s_cmp_lg_u32 s9, s11
	s_waitcnt lgkmcnt(0)
	v_mul_hi_u32 v8, s17, v3
	v_add_nc_u32_e32 v8, v3, v8
	v_lshrrev_b32_e32 v8, s18, v8
	v_mul_hi_u32 v11, s20, v8
	v_mul_lo_u32 v13, v8, s16
	v_add_nc_u32_e32 v11, v8, v11
	v_sub_nc_u32_e32 v3, v3, v13
	v_lshrrev_b32_e32 v11, s21, v11
	v_mul_lo_u32 v13, v3, s36
	v_mul_lo_u32 v15, v3, s37
	v_mul_hi_u32 v12, s23, v11
	v_add_nc_u32_e32 v12, v11, v12
	v_lshrrev_b32_e32 v12, s28, v12
	v_mul_hi_u32 v14, s30, v12
	v_mul_lo_u32 v16, v12, s22
	v_add_nc_u32_e32 v3, v12, v14
	v_mul_lo_u32 v14, v11, s19
	v_sub_nc_u32_e32 v11, v11, v16
	v_lshrrev_b32_e32 v3, s31, v3
	v_mul_lo_u32 v16, v11, s40
	v_mul_lo_u32 v11, v11, s41
	v_sub_nc_u32_e32 v8, v8, v14
	v_mul_lo_u32 v17, v3, s29
	v_mul_lo_u32 v14, v8, s38
	;; [unrolled: 1-line block ×3, first 2 shown]
	v_sub_nc_u32_e32 v12, v12, v17
	v_add3_u32 v10, v13, v10, v14
	v_mul_lo_u32 v17, v12, s42
	v_mul_lo_u32 v12, v12, s43
	v_add3_u32 v7, v15, v7, v8
	v_add3_u32 v10, v16, v10, v17
	;; [unrolled: 1-line block ×3, first 2 shown]
	s_cbranch_scc1 .LBB9_1154
; %bb.1155:
	s_and_b32 s10, s10, 3
	s_cmp_eq_u32 s10, 0
	s_cbranch_scc0 .LBB9_1159
	s_branch .LBB9_1161
.LBB9_1156:
	s_mov_b32 s8, -1
                                        ; implicit-def: $vgpr10
                                        ; implicit-def: $vgpr7
	s_branch .LBB9_1161
.LBB9_1157:
	v_mov_b32_e32 v10, 0
	v_mov_b32_e32 v7, 0
	s_branch .LBB9_1161
.LBB9_1158:
	v_mov_b32_e32 v10, 0
	v_mov_b32_e32 v7, 0
	v_mov_b32_e32 v3, v1
	s_mov_b32 s9, 0
	s_and_b32 s10, s10, 3
	s_cmp_eq_u32 s10, 0
	s_cbranch_scc1 .LBB9_1161
.LBB9_1159:
	s_lshl_b32 s0, s9, 3
	s_mul_i32 s6, s9, 12
	s_add_u32 s0, s2, s0
	s_addc_u32 s1, s3, 0
	s_add_u32 s0, s0, 0xc4
	s_addc_u32 s1, s1, 0
	;; [unrolled: 2-line block ×3, first 2 shown]
	.p2align	6
.LBB9_1160:                             ; =>This Inner Loop Header: Depth=1
	s_clause 0x1
	s_load_dwordx2 s[14:15], s[6:7], 0x4
	s_load_dword s9, s[6:7], 0xc
	s_load_dwordx2 s[16:17], s[0:1], 0x0
	s_add_u32 s6, s6, 12
	s_addc_u32 s7, s7, 0
	s_add_u32 s0, s0, 8
	s_addc_u32 s1, s1, 0
	s_add_i32 s10, s10, -1
	s_cmp_lg_u32 s10, 0
	s_waitcnt lgkmcnt(0)
	v_mul_hi_u32 v8, s15, v3
	v_add_nc_u32_e32 v8, v3, v8
	v_lshrrev_b32_e32 v12, s9, v8
	v_mul_lo_u32 v8, v12, s14
	v_sub_nc_u32_e32 v3, v3, v8
	v_mad_u64_u32 v[10:11], null, v3, s16, v[10:11]
	v_mad_u64_u32 v[7:8], null, v3, s17, v[7:8]
	v_mov_b32_e32 v3, v12
	s_cbranch_scc1 .LBB9_1160
.LBB9_1161:
	s_andn2_b32 vcc_lo, exec_lo, s8
	s_cbranch_vccnz .LBB9_1164
; %bb.1162:
	s_clause 0x1
	s_load_dwordx4 s[8:11], s[2:3], 0x4
	s_load_dwordx2 s[0:1], s[2:3], 0xc4
	s_cmp_lt_u32 s24, 2
	s_waitcnt lgkmcnt(0)
	v_mul_hi_u32 v3, s9, v1
	v_add_nc_u32_e32 v3, v1, v3
	v_lshrrev_b32_e32 v3, s10, v3
	v_mul_lo_u32 v7, v3, s8
	v_sub_nc_u32_e32 v1, v1, v7
	v_mul_lo_u32 v10, v1, s0
	v_mul_lo_u32 v7, v1, s1
	s_cbranch_scc1 .LBB9_1164
; %bb.1163:
	s_clause 0x1
	s_load_dwordx4 s[8:11], s[2:3], 0x10
	s_load_dwordx2 s[0:1], s[2:3], 0xcc
	s_waitcnt lgkmcnt(0)
	v_mul_hi_u32 v1, s9, v3
	v_add_nc_u32_e32 v1, v3, v1
	v_lshrrev_b32_e32 v1, s10, v1
	v_mul_lo_u32 v1, v1, s8
	v_sub_nc_u32_e32 v1, v3, v1
	v_mad_u64_u32 v[10:11], null, v1, s0, v[10:11]
	v_mad_u64_u32 v[7:8], null, v1, s1, v[7:8]
.LBB9_1164:
	v_cmp_ne_u32_e32 vcc_lo, 1, v4
	s_cbranch_vccnz .LBB9_1170
; %bb.1165:
	s_cmp_lg_u32 s24, 0
	s_mov_b32 s8, 0
	s_cbranch_scc0 .LBB9_1171
; %bb.1166:
	s_min_u32 s10, s25, 15
	s_add_i32 s10, s10, 1
	s_cmp_eq_u32 s25, 2
	s_cbranch_scc1 .LBB9_1172
; %bb.1167:
	v_mov_b32_e32 v3, 0
	v_mov_b32_e32 v14, 0
	;; [unrolled: 1-line block ×3, first 2 shown]
	s_and_b32 s9, s10, 28
	s_add_u32 s0, s2, 0xc4
	s_addc_u32 s1, s3, 0
	s_mov_b32 s11, 0
	s_mov_b64 s[6:7], s[2:3]
.LBB9_1168:                             ; =>This Inner Loop Header: Depth=1
	s_clause 0x1
	s_load_dwordx8 s[16:23], s[6:7], 0x4
	s_load_dwordx4 s[28:31], s[6:7], 0x24
	s_load_dwordx8 s[36:43], s[0:1], 0x0
	s_add_u32 s6, s6, 48
	s_addc_u32 s7, s7, 0
	s_add_i32 s11, s11, 4
	s_add_u32 s0, s0, 32
	s_addc_u32 s1, s1, 0
	s_cmp_lg_u32 s9, s11
	s_waitcnt lgkmcnt(0)
	v_mul_hi_u32 v4, s17, v1
	v_add_nc_u32_e32 v4, v1, v4
	v_lshrrev_b32_e32 v4, s18, v4
	v_mul_hi_u32 v8, s20, v4
	v_mul_lo_u32 v12, v4, s16
	v_add_nc_u32_e32 v8, v4, v8
	v_sub_nc_u32_e32 v1, v1, v12
	v_lshrrev_b32_e32 v8, s21, v8
	v_mul_lo_u32 v12, v1, s36
	v_mul_lo_u32 v15, v1, s37
	v_mul_hi_u32 v11, s23, v8
	v_add_nc_u32_e32 v11, v8, v11
	v_lshrrev_b32_e32 v11, s28, v11
	v_mul_hi_u32 v13, s30, v11
	v_mul_lo_u32 v16, v11, s22
	v_add_nc_u32_e32 v1, v11, v13
	v_mul_lo_u32 v13, v8, s19
	v_sub_nc_u32_e32 v8, v8, v16
	v_lshrrev_b32_e32 v1, s31, v1
	v_mul_lo_u32 v16, v8, s40
	v_mul_lo_u32 v8, v8, s41
	v_sub_nc_u32_e32 v4, v4, v13
	v_mul_lo_u32 v17, v1, s29
	v_mul_lo_u32 v13, v4, s38
	;; [unrolled: 1-line block ×3, first 2 shown]
	v_sub_nc_u32_e32 v11, v11, v17
	v_add3_u32 v12, v12, v14, v13
	v_mul_lo_u32 v17, v11, s42
	v_mul_lo_u32 v11, v11, s43
	v_add3_u32 v3, v15, v3, v4
	v_add3_u32 v14, v16, v12, v17
	v_add3_u32 v3, v8, v3, v11
	s_cbranch_scc1 .LBB9_1168
; %bb.1169:
	s_and_b32 s10, s10, 3
	s_cmp_eq_u32 s10, 0
	s_cbranch_scc0 .LBB9_1173
	s_branch .LBB9_1175
.LBB9_1170:
	s_mov_b32 s8, -1
                                        ; implicit-def: $vgpr14
                                        ; implicit-def: $vgpr3
	s_branch .LBB9_1175
.LBB9_1171:
	v_mov_b32_e32 v14, 0
	v_mov_b32_e32 v3, 0
	s_branch .LBB9_1175
.LBB9_1172:
	v_mov_b32_e32 v14, 0
	v_mov_b32_e32 v3, 0
	;; [unrolled: 1-line block ×3, first 2 shown]
	s_mov_b32 s9, 0
	s_and_b32 s10, s10, 3
	s_cmp_eq_u32 s10, 0
	s_cbranch_scc1 .LBB9_1175
.LBB9_1173:
	s_lshl_b32 s0, s9, 3
	s_mul_i32 s6, s9, 12
	s_add_u32 s0, s2, s0
	s_addc_u32 s1, s3, 0
	s_add_u32 s0, s0, 0xc4
	s_addc_u32 s1, s1, 0
	;; [unrolled: 2-line block ×3, first 2 shown]
	.p2align	6
.LBB9_1174:                             ; =>This Inner Loop Header: Depth=1
	s_clause 0x1
	s_load_dwordx2 s[14:15], s[6:7], 0x4
	s_load_dword s9, s[6:7], 0xc
	s_load_dwordx2 s[16:17], s[0:1], 0x0
	s_add_u32 s6, s6, 12
	s_addc_u32 s7, s7, 0
	s_add_u32 s0, s0, 8
	s_addc_u32 s1, s1, 0
	s_add_i32 s10, s10, -1
	s_cmp_lg_u32 s10, 0
	s_waitcnt lgkmcnt(0)
	v_mul_hi_u32 v4, s15, v1
	v_add_nc_u32_e32 v4, v1, v4
	v_lshrrev_b32_e32 v8, s9, v4
	v_mul_lo_u32 v4, v8, s14
	v_sub_nc_u32_e32 v1, v1, v4
	v_mad_u64_u32 v[14:15], null, v1, s16, v[14:15]
	v_mad_u64_u32 v[3:4], null, v1, s17, v[3:4]
	v_mov_b32_e32 v1, v8
	s_cbranch_scc1 .LBB9_1174
.LBB9_1175:
	s_andn2_b32 vcc_lo, exec_lo, s8
	s_cbranch_vccnz .LBB9_1178
; %bb.1176:
	s_clause 0x1
	s_load_dwordx4 s[8:11], s[2:3], 0x4
	s_load_dwordx2 s[0:1], s[2:3], 0xc4
	s_cmp_lt_u32 s24, 2
	s_waitcnt lgkmcnt(0)
	v_mul_hi_u32 v1, s9, v5
	v_add_nc_u32_e32 v1, v5, v1
	v_lshrrev_b32_e32 v1, s10, v1
	v_mul_lo_u32 v3, v1, s8
	v_sub_nc_u32_e32 v3, v5, v3
	v_mul_lo_u32 v14, v3, s0
	v_mul_lo_u32 v3, v3, s1
	s_cbranch_scc1 .LBB9_1178
; %bb.1177:
	s_clause 0x1
	s_load_dwordx4 s[8:11], s[2:3], 0x10
	s_load_dwordx2 s[0:1], s[2:3], 0xcc
	s_waitcnt lgkmcnt(0)
	v_mul_hi_u32 v4, s9, v1
	v_add_nc_u32_e32 v4, v1, v4
	v_lshrrev_b32_e32 v4, s10, v4
	v_mul_lo_u32 v4, v4, s8
	v_sub_nc_u32_e32 v1, v1, v4
	v_mad_u64_u32 v[14:15], null, v1, s0, v[14:15]
	v_mad_u64_u32 v[3:4], null, v1, s1, v[3:4]
.LBB9_1178:
	s_clause 0x1
	s_load_dwordx4 s[8:11], s[2:3], 0x148
	s_load_dword s3, s[4:5], 0x160
	s_waitcnt lgkmcnt(0)
	v_add_co_u32 v0, s0, s10, v0
	v_add_co_ci_u32_e64 v1, null, s11, 0, s0
	s_bfe_u32 s0, s3, 0x80010
	s_cmp_lt_i32 s0, 11
	s_cbranch_scc1 .LBB9_1185
; %bb.1179:
	s_and_b32 s1, 0xffff, s0
	s_mov_b32 s4, 0
	s_cmp_gt_i32 s1, 25
	s_cbranch_scc0 .LBB9_1187
; %bb.1180:
	s_cmp_gt_i32 s1, 28
	s_cbranch_scc0 .LBB9_1188
; %bb.1181:
	;; [unrolled: 3-line block ×4, first 2 shown]
	s_cmp_eq_u32 s1, 46
	s_mov_b32 s6, 0
	s_cbranch_scc0 .LBB9_1193
; %bb.1184:
	global_load_dword v4, v[0:1], off
	s_mov_b32 s2, 0
	s_mov_b32 s5, -1
	s_waitcnt vmcnt(0)
	v_lshlrev_b32_e32 v4, 16, v4
	v_cvt_f64_f32_e32 v[4:5], v4
	s_branch .LBB9_1195
.LBB9_1185:
	s_mov_b32 s5, 0
	s_mov_b32 s2, s12
                                        ; implicit-def: $vgpr4_vgpr5
	s_cbranch_execnz .LBB9_1258
.LBB9_1186:
	s_andn2_b32 vcc_lo, exec_lo, s5
	s_cbranch_vccz .LBB9_1303
	s_branch .LBB9_1804
.LBB9_1187:
	s_mov_b32 s5, 0
	s_mov_b32 s2, 0
                                        ; implicit-def: $vgpr4_vgpr5
	s_cbranch_execnz .LBB9_1225
	s_branch .LBB9_1254
.LBB9_1188:
	s_mov_b32 s6, -1
	s_mov_b32 s5, 0
	s_mov_b32 s2, 0
                                        ; implicit-def: $vgpr4_vgpr5
	s_branch .LBB9_1204
.LBB9_1189:
	s_mov_b32 s5, 0
	s_mov_b32 s2, 0
                                        ; implicit-def: $vgpr4_vgpr5
	s_cbranch_execnz .LBB9_1200
	s_branch .LBB9_1203
.LBB9_1190:
	s_mov_b32 s6, -1
	s_mov_b32 s5, 0
	s_mov_b32 s2, 0
	s_branch .LBB9_1194
.LBB9_1191:
	s_andn2_saveexec_b32 s11, s11
	s_cbranch_execz .LBB9_1034
.LBB9_1192:
	v_add_f32_e64 v3, 0x46000000, |v2|
	s_andn2_b32 s10, s10, exec_lo
	v_and_b32_e32 v3, 0xff, v3
	v_cmp_ne_u32_e32 vcc_lo, 0, v3
	s_and_b32 s12, vcc_lo, exec_lo
	s_or_b32 s10, s10, s12
	s_or_b32 exec_lo, exec_lo, s11
	v_mov_b32_e32 v4, 0
	s_and_saveexec_b32 s11, s10
	s_cbranch_execnz .LBB9_1035
	s_branch .LBB9_1036
.LBB9_1193:
	s_mov_b32 s2, -1
	s_mov_b32 s5, 0
.LBB9_1194:
                                        ; implicit-def: $vgpr4_vgpr5
.LBB9_1195:
	s_and_b32 vcc_lo, exec_lo, s6
	s_cbranch_vccz .LBB9_1198
; %bb.1196:
	s_cmp_eq_u32 s1, 44
	s_cbranch_scc0 .LBB9_1199
; %bb.1197:
	global_load_ubyte v8, v[0:1], off
	s_mov_b32 s2, 0
	s_mov_b32 s5, -1
	s_waitcnt vmcnt(0)
	v_lshlrev_b32_e32 v4, 23, v8
	v_cmp_ne_u32_e32 vcc_lo, 0xff, v8
	v_cvt_f64_f32_e32 v[4:5], v4
	v_cndmask_b32_e32 v4, 0x20000000, v4, vcc_lo
	v_cndmask_b32_e32 v5, 0x7ff80000, v5, vcc_lo
	v_cmp_ne_u32_e32 vcc_lo, 0, v8
	v_cndmask_b32_e32 v5, 0x38000000, v5, vcc_lo
	v_cndmask_b32_e32 v4, 0, v4, vcc_lo
.LBB9_1198:
	s_branch .LBB9_1203
.LBB9_1199:
	s_mov_b32 s2, -1
                                        ; implicit-def: $vgpr4_vgpr5
	s_branch .LBB9_1203
.LBB9_1200:
	s_cmp_eq_u32 s1, 29
	s_cbranch_scc0 .LBB9_1202
; %bb.1201:
	global_load_dwordx2 v[4:5], v[0:1], off
	s_mov_b32 s2, 0
	s_mov_b32 s5, -1
	s_mov_b32 s6, 0
	s_waitcnt vmcnt(0)
	v_cvt_f64_u32_e32 v[11:12], v5
	v_cvt_f64_u32_e32 v[4:5], v4
	v_ldexp_f64 v[11:12], v[11:12], 32
	v_add_f64 v[4:5], v[11:12], v[4:5]
	s_branch .LBB9_1204
.LBB9_1202:
	s_mov_b32 s2, -1
                                        ; implicit-def: $vgpr4_vgpr5
.LBB9_1203:
	s_mov_b32 s6, 0
.LBB9_1204:
	s_and_b32 vcc_lo, exec_lo, s6
	s_cbranch_vccz .LBB9_1224
; %bb.1205:
	s_cmp_lt_i32 s1, 27
	s_cbranch_scc1 .LBB9_1208
; %bb.1206:
	s_cmp_gt_i32 s1, 27
	s_cbranch_scc0 .LBB9_1209
; %bb.1207:
	global_load_dword v4, v[0:1], off
	s_mov_b32 s5, 0
	s_waitcnt vmcnt(0)
	v_cvt_f64_u32_e32 v[4:5], v4
	s_branch .LBB9_1210
.LBB9_1208:
	s_mov_b32 s5, -1
                                        ; implicit-def: $vgpr4_vgpr5
	s_branch .LBB9_1213
.LBB9_1209:
	s_mov_b32 s5, -1
                                        ; implicit-def: $vgpr4_vgpr5
.LBB9_1210:
	s_andn2_b32 vcc_lo, exec_lo, s5
	s_cbranch_vccnz .LBB9_1212
; %bb.1211:
	global_load_ushort v4, v[0:1], off
	s_waitcnt vmcnt(0)
	v_cvt_f64_u32_e32 v[4:5], v4
.LBB9_1212:
	s_mov_b32 s5, 0
.LBB9_1213:
	s_andn2_b32 vcc_lo, exec_lo, s5
	s_cbranch_vccnz .LBB9_1223
; %bb.1214:
	global_load_ubyte v8, v[0:1], off
	s_mov_b32 s5, 0
	s_mov_b32 s6, exec_lo
	s_waitcnt vmcnt(0)
	v_cmpx_lt_i16_e32 0x7f, v8
	s_xor_b32 s6, exec_lo, s6
	s_cbranch_execz .LBB9_1218
; %bb.1215:
	s_mov_b32 s5, -1
	s_mov_b32 s7, exec_lo
	v_cmpx_eq_u16_e32 0x80, v8
; %bb.1216:
	s_xor_b32 s5, exec_lo, -1
; %bb.1217:
	s_or_b32 exec_lo, exec_lo, s7
	s_and_b32 s5, s5, exec_lo
.LBB9_1218:
	s_or_saveexec_b32 s6, s6
	v_bfrev_b32_e32 v4, 4
	v_mov_b32_e32 v5, 0x7ff80000
	s_xor_b32 exec_lo, exec_lo, s6
; %bb.1219:
	v_cmp_ne_u16_e32 vcc_lo, 0, v8
	v_mov_b32_e32 v4, 0
	v_mov_b32_e32 v5, 0
	s_andn2_b32 s5, s5, exec_lo
	s_and_b32 s7, vcc_lo, exec_lo
	s_or_b32 s5, s5, s7
; %bb.1220:
	s_or_b32 exec_lo, exec_lo, s6
	s_and_saveexec_b32 s6, s5
	s_cbranch_execz .LBB9_1222
; %bb.1221:
	v_and_b32_e32 v4, 0xffff, v8
	v_lshlrev_b32_e32 v8, 24, v8
	v_and_b32_e32 v5, 7, v4
	v_bfe_u32 v13, v4, 3, 4
	v_ffbh_u32_e32 v11, v5
	v_cmp_eq_u32_e32 vcc_lo, 0, v13
	v_min_u32_e32 v11, 32, v11
	v_subrev_nc_u32_e32 v12, 28, v11
	v_sub_nc_u32_e32 v11, 29, v11
	v_lshlrev_b32_e32 v4, v12, v4
	v_cndmask_b32_e32 v11, v13, v11, vcc_lo
	v_and_b32_e32 v4, 7, v4
	v_cndmask_b32_e32 v4, v5, v4, vcc_lo
	v_and_b32_e32 v5, 0x80000000, v8
	v_lshl_add_u32 v8, v11, 23, 0x3b800000
	v_lshlrev_b32_e32 v4, 20, v4
	v_or3_b32 v4, v5, v8, v4
	v_cvt_f64_f32_e32 v[4:5], v4
.LBB9_1222:
	s_or_b32 exec_lo, exec_lo, s6
.LBB9_1223:
	s_mov_b32 s5, -1
.LBB9_1224:
	s_branch .LBB9_1254
.LBB9_1225:
	s_cmp_gt_i32 s1, 22
	s_cbranch_scc0 .LBB9_1237
; %bb.1226:
	s_cmp_lt_i32 s1, 24
	s_cbranch_scc1 .LBB9_1238
; %bb.1227:
	s_cmp_gt_i32 s1, 24
	s_cbranch_scc0 .LBB9_1239
; %bb.1228:
	global_load_ubyte v8, v[0:1], off
	s_mov_b32 s5, exec_lo
	s_waitcnt vmcnt(0)
	v_cmpx_lt_i16_e32 0x7f, v8
	s_xor_b32 s5, exec_lo, s5
	s_cbranch_execz .LBB9_1232
; %bb.1229:
	s_mov_b32 s4, -1
	s_mov_b32 s6, exec_lo
	v_cmpx_eq_u16_e32 0x80, v8
; %bb.1230:
	s_xor_b32 s4, exec_lo, -1
; %bb.1231:
	s_or_b32 exec_lo, exec_lo, s6
	s_and_b32 s4, s4, exec_lo
.LBB9_1232:
	s_or_saveexec_b32 s5, s5
	v_bfrev_b32_e32 v4, 4
	v_mov_b32_e32 v5, 0x7ff80000
	s_xor_b32 exec_lo, exec_lo, s5
; %bb.1233:
	v_cmp_ne_u16_e32 vcc_lo, 0, v8
	v_mov_b32_e32 v4, 0
	v_mov_b32_e32 v5, 0
	s_andn2_b32 s4, s4, exec_lo
	s_and_b32 s6, vcc_lo, exec_lo
	s_or_b32 s4, s4, s6
; %bb.1234:
	s_or_b32 exec_lo, exec_lo, s5
	s_and_saveexec_b32 s5, s4
	s_cbranch_execz .LBB9_1236
; %bb.1235:
	v_and_b32_e32 v4, 0xffff, v8
	v_lshlrev_b32_e32 v8, 24, v8
	v_and_b32_e32 v5, 3, v4
	v_bfe_u32 v13, v4, 2, 5
	v_ffbh_u32_e32 v11, v5
	v_cmp_eq_u32_e32 vcc_lo, 0, v13
	v_min_u32_e32 v11, 32, v11
	v_subrev_nc_u32_e32 v12, 29, v11
	v_sub_nc_u32_e32 v11, 30, v11
	v_lshlrev_b32_e32 v4, v12, v4
	v_cndmask_b32_e32 v11, v13, v11, vcc_lo
	v_and_b32_e32 v4, 3, v4
	v_cndmask_b32_e32 v4, v5, v4, vcc_lo
	v_and_b32_e32 v5, 0x80000000, v8
	v_lshl_add_u32 v8, v11, 23, 0x37800000
	v_lshlrev_b32_e32 v4, 21, v4
	v_or3_b32 v4, v5, v8, v4
	v_cvt_f64_f32_e32 v[4:5], v4
.LBB9_1236:
	s_or_b32 exec_lo, exec_lo, s5
	s_mov_b32 s4, 0
	s_branch .LBB9_1240
.LBB9_1237:
                                        ; implicit-def: $vgpr4_vgpr5
	s_mov_b32 s4, 0
	s_branch .LBB9_1246
.LBB9_1238:
	s_mov_b32 s4, -1
                                        ; implicit-def: $vgpr4_vgpr5
	s_branch .LBB9_1243
.LBB9_1239:
	s_mov_b32 s4, -1
                                        ; implicit-def: $vgpr4_vgpr5
.LBB9_1240:
	s_and_b32 vcc_lo, exec_lo, s4
	s_cbranch_vccz .LBB9_1242
; %bb.1241:
	global_load_ubyte v4, v[0:1], off
	s_waitcnt vmcnt(0)
	v_lshlrev_b32_e32 v4, 24, v4
	v_and_b32_e32 v5, 0x7f000000, v4
	v_ffbh_u32_e32 v8, v5
	v_add_nc_u32_e32 v12, 0x1000000, v5
	v_cmp_ne_u32_e32 vcc_lo, 0, v5
	v_min_u32_e32 v8, 32, v8
	v_sub_nc_u32_e64 v8, v8, 4 clamp
	v_lshlrev_b32_e32 v11, v8, v5
	v_lshlrev_b32_e32 v8, 23, v8
	v_lshrrev_b32_e32 v11, 4, v11
	v_sub_nc_u32_e32 v8, v11, v8
	v_ashrrev_i32_e32 v11, 8, v12
	v_add_nc_u32_e32 v8, 0x3c000000, v8
	v_and_or_b32 v8, 0x7f800000, v11, v8
	v_cndmask_b32_e32 v5, 0, v8, vcc_lo
	v_and_or_b32 v4, 0x80000000, v4, v5
	v_cvt_f64_f32_e32 v[4:5], v4
.LBB9_1242:
	s_mov_b32 s4, 0
.LBB9_1243:
	s_andn2_b32 vcc_lo, exec_lo, s4
	s_cbranch_vccnz .LBB9_1245
; %bb.1244:
	global_load_ubyte v4, v[0:1], off
	s_waitcnt vmcnt(0)
	v_lshlrev_b32_e32 v5, 25, v4
	v_lshlrev_b16 v4, 8, v4
	v_lshrrev_b32_e32 v8, 4, v5
	v_and_or_b32 v11, 0x7f00, v4, 0.5
	v_cmp_gt_u32_e32 vcc_lo, 0x8000000, v5
	v_bfe_i32 v4, v4, 0, 16
	v_or_b32_e32 v8, 0x70000000, v8
	v_add_f32_e32 v11, -0.5, v11
	v_mul_f32_e32 v8, 0x7800000, v8
	v_cndmask_b32_e32 v5, v8, v11, vcc_lo
	v_and_or_b32 v4, 0x80000000, v4, v5
	v_cvt_f64_f32_e32 v[4:5], v4
.LBB9_1245:
	s_mov_b32 s5, -1
	s_mov_b32 s4, 0
	s_cbranch_execnz .LBB9_1254
.LBB9_1246:
	s_cmp_gt_i32 s1, 14
	s_cbranch_scc0 .LBB9_1249
; %bb.1247:
	s_cmp_eq_u32 s1, 15
	s_cbranch_scc0 .LBB9_1250
; %bb.1248:
	global_load_ushort v4, v[0:1], off
	s_mov_b32 s2, 0
	s_mov_b32 s5, -1
	s_waitcnt vmcnt(0)
	v_lshlrev_b32_e32 v4, 16, v4
	v_cvt_f64_f32_e32 v[4:5], v4
	s_branch .LBB9_1252
.LBB9_1249:
	s_mov_b32 s4, -1
	s_branch .LBB9_1251
.LBB9_1250:
	s_mov_b32 s2, -1
.LBB9_1251:
                                        ; implicit-def: $vgpr4_vgpr5
.LBB9_1252:
	s_and_b32 vcc_lo, exec_lo, s4
	s_mov_b32 s4, 0
	s_cbranch_vccz .LBB9_1254
; %bb.1253:
	s_cmp_lg_u32 s1, 11
	s_mov_b32 s4, -1
	s_cselect_b32 s2, -1, 0
.LBB9_1254:
	s_and_b32 vcc_lo, exec_lo, s2
	s_mov_b32 s2, s12
	s_cbranch_vccnz .LBB9_1323
; %bb.1255:
	s_andn2_b32 vcc_lo, exec_lo, s4
	s_cbranch_vccnz .LBB9_1257
.LBB9_1256:
	global_load_ubyte v4, v[0:1], off
	s_mov_b32 s5, -1
	s_waitcnt vmcnt(0)
	v_cmp_ne_u16_e32 vcc_lo, 0, v4
	v_mov_b32_e32 v4, 0
	v_cndmask_b32_e64 v5, 0, 0x3ff00000, vcc_lo
.LBB9_1257:
	s_branch .LBB9_1186
.LBB9_1258:
	s_and_b32 s0, 0xffff, s0
	s_cmp_lt_i32 s0, 5
	s_cbranch_scc1 .LBB9_1263
; %bb.1259:
	s_cmp_lt_i32 s0, 8
	s_cbranch_scc1 .LBB9_1264
; %bb.1260:
	;; [unrolled: 3-line block ×3, first 2 shown]
	s_cmp_gt_i32 s0, 9
	s_cbranch_scc0 .LBB9_1266
; %bb.1262:
	global_load_dwordx2 v[4:5], v[0:1], off
	s_mov_b32 s1, 0
	s_branch .LBB9_1267
.LBB9_1263:
                                        ; implicit-def: $vgpr4_vgpr5
	s_branch .LBB9_1284
.LBB9_1264:
                                        ; implicit-def: $vgpr4_vgpr5
	s_branch .LBB9_1273
.LBB9_1265:
	s_mov_b32 s1, -1
                                        ; implicit-def: $vgpr4_vgpr5
	s_branch .LBB9_1270
.LBB9_1266:
	s_mov_b32 s1, -1
                                        ; implicit-def: $vgpr4_vgpr5
.LBB9_1267:
	s_andn2_b32 vcc_lo, exec_lo, s1
	s_cbranch_vccnz .LBB9_1269
; %bb.1268:
	global_load_dword v4, v[0:1], off
	s_waitcnt vmcnt(0)
	v_cvt_f64_f32_e32 v[4:5], v4
.LBB9_1269:
	s_mov_b32 s1, 0
.LBB9_1270:
	s_andn2_b32 vcc_lo, exec_lo, s1
	s_cbranch_vccnz .LBB9_1272
; %bb.1271:
	global_load_dword v4, v[0:1], off
	s_waitcnt vmcnt(0)
	v_cvt_f32_f16_e32 v4, v4
	v_cvt_f64_f32_e32 v[4:5], v4
.LBB9_1272:
	s_cbranch_execnz .LBB9_1283
.LBB9_1273:
	s_cmp_lt_i32 s0, 6
	s_cbranch_scc1 .LBB9_1276
; %bb.1274:
	s_cmp_gt_i32 s0, 6
	s_cbranch_scc0 .LBB9_1277
; %bb.1275:
	global_load_dwordx2 v[4:5], v[0:1], off
	s_mov_b32 s1, 0
	s_branch .LBB9_1278
.LBB9_1276:
	s_mov_b32 s1, -1
                                        ; implicit-def: $vgpr4_vgpr5
	s_branch .LBB9_1281
.LBB9_1277:
	s_mov_b32 s1, -1
                                        ; implicit-def: $vgpr4_vgpr5
.LBB9_1278:
	s_andn2_b32 vcc_lo, exec_lo, s1
	s_cbranch_vccnz .LBB9_1280
; %bb.1279:
	global_load_dword v4, v[0:1], off
	s_waitcnt vmcnt(0)
	v_cvt_f64_f32_e32 v[4:5], v4
.LBB9_1280:
	s_mov_b32 s1, 0
.LBB9_1281:
	s_andn2_b32 vcc_lo, exec_lo, s1
	s_cbranch_vccnz .LBB9_1283
; %bb.1282:
	global_load_ushort v4, v[0:1], off
	s_waitcnt vmcnt(0)
	v_cvt_f32_f16_e32 v4, v4
	v_cvt_f64_f32_e32 v[4:5], v4
.LBB9_1283:
	s_cbranch_execnz .LBB9_1302
.LBB9_1284:
	s_cmp_lt_i32 s0, 2
	s_cbranch_scc1 .LBB9_1288
; %bb.1285:
	s_cmp_lt_i32 s0, 3
	s_cbranch_scc1 .LBB9_1289
; %bb.1286:
	s_cmp_gt_i32 s0, 3
	s_cbranch_scc0 .LBB9_1290
; %bb.1287:
	global_load_dwordx2 v[4:5], v[0:1], off
	s_mov_b32 s1, 0
	s_waitcnt vmcnt(0)
	v_cvt_f64_i32_e32 v[11:12], v5
	v_cvt_f64_u32_e32 v[4:5], v4
	v_ldexp_f64 v[11:12], v[11:12], 32
	v_add_f64 v[4:5], v[11:12], v[4:5]
	s_branch .LBB9_1291
.LBB9_1288:
                                        ; implicit-def: $vgpr4_vgpr5
	s_branch .LBB9_1297
.LBB9_1289:
	s_mov_b32 s1, -1
                                        ; implicit-def: $vgpr4_vgpr5
	s_branch .LBB9_1294
.LBB9_1290:
	s_mov_b32 s1, -1
                                        ; implicit-def: $vgpr4_vgpr5
.LBB9_1291:
	s_andn2_b32 vcc_lo, exec_lo, s1
	s_cbranch_vccnz .LBB9_1293
; %bb.1292:
	global_load_dword v4, v[0:1], off
	s_waitcnt vmcnt(0)
	v_cvt_f64_i32_e32 v[4:5], v4
.LBB9_1293:
	s_mov_b32 s1, 0
.LBB9_1294:
	s_andn2_b32 vcc_lo, exec_lo, s1
	s_cbranch_vccnz .LBB9_1296
; %bb.1295:
	global_load_sshort v4, v[0:1], off
	s_waitcnt vmcnt(0)
	v_cvt_f64_i32_e32 v[4:5], v4
.LBB9_1296:
	s_cbranch_execnz .LBB9_1302
.LBB9_1297:
	s_cmp_gt_i32 s0, 0
	s_mov_b32 s0, 0
	s_cbranch_scc0 .LBB9_1299
; %bb.1298:
	global_load_sbyte v4, v[0:1], off
	s_waitcnt vmcnt(0)
	v_cvt_f64_i32_e32 v[4:5], v4
	s_branch .LBB9_1300
.LBB9_1299:
	s_mov_b32 s0, -1
                                        ; implicit-def: $vgpr4_vgpr5
.LBB9_1300:
	s_andn2_b32 vcc_lo, exec_lo, s0
	s_cbranch_vccnz .LBB9_1302
; %bb.1301:
	global_load_ubyte v0, v[0:1], off
	s_waitcnt vmcnt(0)
	v_cvt_f64_u32_e32 v[4:5], v0
.LBB9_1302:
.LBB9_1303:
	v_mov_b32_e32 v0, 0
	v_mov_b32_e32 v1, 0x7ff00000
	s_mov_b32 s4, exec_lo
	s_waitcnt vmcnt(0)
	v_cmpx_neq_f64_e32 0, v[4:5]
	s_cbranch_execz .LBB9_1311
; %bb.1304:
	v_mov_b32_e32 v0, 0
	v_mov_b32_e32 v1, 0x7ff80000
	s_mov_b32 s5, exec_lo
	v_cmpx_ngt_f64_e32 0, v[4:5]
	s_cbranch_execz .LBB9_1310
; %bb.1305:
                                        ; implicit-def: $vgpr0_vgpr1
	s_mov_b32 s0, exec_lo
	v_cmpx_ge_f64_e32 2.0, v[4:5]
	s_xor_b32 s6, exec_lo, s0
	s_cbranch_execz .LBB9_1307
; %bb.1306:
	v_fma_f64 v[0:1], v[4:5], 0.5, -2.0
	s_mov_b32 s0, 0xc38a0576
	s_mov_b32 s1, 0xbc7857d0
	;; [unrolled: 1-line block ×4, first 2 shown]
	v_mul_f64 v[17:18], v[4:5], 0.5
	v_fma_f64 v[33:34], v[4:5], v[4:5], -2.0
	s_mov_b32 s17, 0xbc603228
	s_mov_b32 s16, 0x3d3cda56
	;; [unrolled: 1-line block ×4, first 2 shown]
	v_fma_f64 v[11:12], v[0:1], s[14:15], s[0:1]
	s_mov_b32 s15, 0xbc499f2a
	s_mov_b32 s0, 0xe593bfac
	;; [unrolled: 1-line block ×3, first 2 shown]
	v_frexp_mant_f64_e32 v[19:20], v[17:18]
	v_fma_f64 v[15:16], v[0:1], v[11:12], s[14:15]
	s_mov_b32 s14, 0x97eb07de
	s_mov_b32 s15, 0xbdd25103
	v_add_f64 v[15:16], v[15:16], s[0:1]
	s_mov_b32 s0, 0x7e0d1573
	s_mov_b32 s1, 0xbcd3eaaa
	v_fma_f64 v[11:12], v[0:1], v[15:16], -v[11:12]
	v_add_f64 v[11:12], v[11:12], s[0:1]
	s_mov_b32 s0, 0x615290c
	s_mov_b32 s1, 0x3d011d7f
	v_fma_f64 v[15:16], v[0:1], v[11:12], -v[15:16]
	;; [unrolled: 4-line block ×6, first 2 shown]
	v_add_f64 v[15:16], v[15:16], s[0:1]
	s_mov_b32 s1, 0x3fe55555
	s_mov_b32 s0, 0x55555555
	v_cmp_gt_f64_e32 vcc_lo, s[0:1], v[19:20]
	s_mov_b32 s0, 0x55555780
	v_fma_f64 v[11:12], v[0:1], v[15:16], -v[11:12]
	v_cndmask_b32_e64 v8, 0, 1, vcc_lo
	v_ldexp_f64 v[19:20], v[19:20], v8
	v_frexp_exp_i32_f64_e32 v8, v[17:18]
	v_add_f64 v[11:12], v[11:12], s[14:15]
	s_mov_b32 s14, 0xb43fdf6c
	s_mov_b32 s15, 0x3df8ea34
	v_add_f64 v[21:22], v[19:20], 1.0
	v_add_f64 v[27:28], v[19:20], -1.0
	v_subrev_co_ci_u32_e64 v8, null, 0, v8, vcc_lo
	v_fma_f64 v[15:16], v[0:1], v[11:12], -v[15:16]
	v_rcp_f64_e32 v[23:24], v[21:22]
	v_add_f64 v[29:30], v[21:22], -1.0
	v_add_f64 v[15:16], v[15:16], s[14:15]
	s_mov_b32 s14, 0x28ea67e6
	s_mov_b32 s15, 0xbe20361b
	v_add_f64 v[19:20], v[19:20], -v[29:30]
	v_fma_f64 v[25:26], -v[21:22], v[23:24], 1.0
	v_fma_f64 v[11:12], v[0:1], v[15:16], -v[11:12]
	v_fma_f64 v[23:24], v[25:26], v[23:24], v[23:24]
	v_add_f64 v[11:12], v[11:12], s[14:15]
	s_mov_b32 s14, 0x2395010
	s_mov_b32 s15, 0x3e44258e
	v_fma_f64 v[25:26], -v[21:22], v[23:24], 1.0
	v_fma_f64 v[15:16], v[0:1], v[11:12], -v[15:16]
	v_fma_f64 v[23:24], v[25:26], v[23:24], v[23:24]
	v_add_f64 v[15:16], v[15:16], s[14:15]
	s_mov_b32 s14, 0x24b8c3e8
	s_mov_b32 s15, 0xbe67dd3e
	v_mul_f64 v[25:26], v[27:28], v[23:24]
	v_fma_f64 v[11:12], v[0:1], v[15:16], -v[11:12]
	v_mul_f64 v[31:32], v[21:22], v[25:26]
	v_add_f64 v[11:12], v[11:12], s[14:15]
	s_mov_b32 s14, 0xb347d108
	s_mov_b32 s15, 0x3e8ae344
	v_fma_f64 v[21:22], v[25:26], v[21:22], -v[31:32]
	v_fma_f64 v[15:16], v[0:1], v[11:12], -v[15:16]
	v_fma_f64 v[19:20], v[25:26], v[19:20], v[21:22]
	v_add_f64 v[15:16], v[15:16], s[14:15]
	s_mov_b32 s14, 0x7a0399e0
	s_mov_b32 s15, 0xbce5dd51
	v_fma_f64 v[35:36], v[33:34], s[16:17], s[14:15]
	s_mov_b32 s17, 0x3c603228
	s_mov_b32 s14, 0xddd0e045
	;; [unrolled: 1-line block ×3, first 2 shown]
	v_add_f64 v[21:22], v[31:32], v[19:20]
	v_fma_f64 v[11:12], v[0:1], v[15:16], -v[11:12]
	v_add_f64 v[29:30], v[27:28], -v[21:22]
	v_add_f64 v[31:32], v[21:22], -v[31:32]
	v_add_f64 v[11:12], v[11:12], s[18:19]
	s_mov_b32 s18, 0xd3d694fe
	s_mov_b32 s19, 0xbf2533ca
	v_add_f64 v[27:28], v[27:28], -v[29:30]
	v_add_f64 v[19:20], v[31:32], -v[19:20]
	v_fma_f64 v[15:16], v[0:1], v[11:12], -v[15:16]
	v_add_f64 v[21:22], v[27:28], -v[21:22]
	v_fma_f64 v[27:28], v[33:34], v[35:36], s[16:17]
	s_mov_b32 s16, 0xd511afc5
	s_mov_b32 s17, 0x3ecd1c4e
	v_add_f64 v[15:16], v[15:16], s[16:17]
	s_mov_b32 s16, 0xb8debbcf
	s_mov_b32 s17, 0xbeebd5f9
	v_add_f64 v[19:20], v[19:20], v[21:22]
	v_add_f64 v[21:22], v[27:28], s[14:15]
	s_mov_b32 s14, 0xb84626ca
	s_mov_b32 s15, 0xbde3663b
	v_fma_f64 v[11:12], v[0:1], v[15:16], -v[11:12]
	v_add_f64 v[19:20], v[29:30], v[19:20]
	v_fma_f64 v[27:28], v[33:34], v[21:22], -v[35:36]
	v_add_f64 v[11:12], v[11:12], s[16:17]
	s_mov_b32 s16, 0x42c70d0b
	s_mov_b32 s17, 0x3f0911b5
	v_mul_f64 v[19:20], v[23:24], v[19:20]
	v_add_f64 v[23:24], v[27:28], s[14:15]
	s_mov_b32 s14, 0x145c31d0
	s_mov_b32 s15, 0xbe57c41d
	v_fma_f64 v[15:16], v[0:1], v[11:12], -v[15:16]
	v_add_f64 v[27:28], v[25:26], v[19:20]
	v_fma_f64 v[21:22], v[33:34], v[23:24], -v[21:22]
	v_add_f64 v[15:16], v[15:16], s[16:17]
	s_mov_b32 s16, 0xbf559e2b
	s_mov_b32 s17, 0x3fc3ab76
	v_mul_f64 v[29:30], v[27:28], v[27:28]
	v_add_f64 v[21:22], v[21:22], s[14:15]
	s_mov_b32 s14, 0x6b47b09a
	s_mov_b32 s15, 0x3fc38538
	v_add_f64 v[25:26], v[27:28], -v[25:26]
	v_fma_f64 v[11:12], v[0:1], v[15:16], -v[11:12]
	v_fma_f64 v[31:32], v[29:30], s[16:17], s[14:15]
	v_fma_f64 v[23:24], v[33:34], v[21:22], -v[23:24]
	s_mov_b32 s14, 0x2c832e3a
	s_mov_b32 s15, 0xbec469b3
	;; [unrolled: 1-line block ×4, first 2 shown]
	v_mul_f64 v[35:36], v[27:28], v[29:30]
	v_add_f64 v[19:20], v[19:20], -v[25:26]
	v_add_f64 v[11:12], v[11:12], s[18:19]
	s_mov_b32 s18, 0xb6c6df7d
	s_mov_b32 s19, 0x3f40c95d
	v_fma_f64 v[31:32], v[29:30], v[31:32], s[16:17]
	v_add_f64 v[23:24], v[23:24], s[14:15]
	s_mov_b32 s14, 0x16291751
	s_mov_b32 s15, 0x3fcc71c0
	;; [unrolled: 1-line block ×4, first 2 shown]
	v_ldexp_f64 v[19:20], v[19:20], 1
	v_fma_f64 v[15:16], v[0:1], v[11:12], -v[15:16]
	v_fma_f64 v[31:32], v[29:30], v[31:32], s[14:15]
	v_fma_f64 v[21:22], v[33:34], v[23:24], -v[21:22]
	s_mov_b32 s14, 0xe5a3bd02
	s_mov_b32 s15, 0xbf26ade2
	v_add_f64 v[15:16], v[15:16], s[18:19]
	s_mov_b32 s18, 0xe7bb2349
	s_mov_b32 s19, 0x3f9951e3
	v_fma_f64 v[31:32], v[29:30], v[31:32], s[16:17]
	v_add_f64 v[21:22], v[21:22], s[14:15]
	s_mov_b32 s14, 0x998ef7b6
	s_mov_b32 s15, 0x3fd99999
	;; [unrolled: 1-line block ×4, first 2 shown]
	v_fma_f64 v[11:12], v[0:1], v[15:16], -v[11:12]
	v_fma_f64 v[31:32], v[29:30], v[31:32], s[14:15]
	v_fma_f64 v[23:24], v[33:34], v[21:22], -v[23:24]
	s_mov_b32 s14, 0x9d7d4192
	s_mov_b32 s15, 0xbf7c9293
	v_add_f64 v[11:12], v[11:12], s[16:17]
	s_mov_b32 s16, 0x49d3a1b4
	s_mov_b32 s17, 0x3f710653
	v_fma_f64 v[29:30], v[29:30], v[31:32], s[0:1]
	v_add_f64 v[23:24], v[23:24], s[14:15]
	v_ldexp_f64 v[31:32], v[27:28], 1
	s_mov_b32 s0, 0x43c1db74
	s_mov_b32 s1, 0xbfbf6372
	;; [unrolled: 1-line block ×4, first 2 shown]
	v_mul_f64 v[37:38], v[4:5], s[14:15]
	s_mov_b32 s14, 0x757b0dd4
	s_mov_b32 s15, 0xbfd69a1b
	v_fma_f64 v[15:16], v[0:1], v[11:12], -v[15:16]
	v_mul_f64 v[29:30], v[35:36], v[29:30]
	v_fma_f64 v[21:22], v[33:34], v[23:24], -v[21:22]
	v_cvt_f64_i32_e32 v[35:36], v8
	v_add_f64 v[15:16], v[15:16], s[16:17]
	s_mov_b32 s16, 0x7913a26a
	s_mov_b32 s17, 0xbf85a29f
	v_add_f64 v[27:28], v[31:32], v[29:30]
	v_add_f64 v[21:22], v[21:22], s[0:1]
	s_mov_b32 s1, 0x3fe62e42
	s_mov_b32 s0, 0xfefa39ef
	v_mul_f64 v[39:40], v[35:36], s[0:1]
	v_fma_f64 v[11:12], v[0:1], v[15:16], -v[11:12]
	v_add_f64 v[25:26], v[27:28], -v[31:32]
	v_fma_f64 v[23:24], v[33:34], v[21:22], -v[23:24]
	v_rndne_f64_e32 v[31:32], v[37:38]
	v_fma_f64 v[37:38], v[35:36], s[0:1], -v[39:40]
	s_mov_b32 s1, 0xbfe62e42
	v_add_f64 v[11:12], v[11:12], s[16:17]
	s_mov_b32 s16, 0x6a5dcb37
	s_mov_b32 s17, 0x3e5ade15
	v_add_f64 v[25:26], v[29:30], -v[25:26]
	v_add_f64 v[23:24], v[23:24], s[14:15]
	v_fma_f64 v[29:30], v[31:32], s[0:1], v[4:5]
	s_mov_b32 s1, 0x3c7abc9e
	s_mov_b32 s0, 0x3b39803f
	;; [unrolled: 1-line block ×3, first 2 shown]
	v_fma_f64 v[35:36], v[35:36], s[0:1], v[37:38]
	s_mov_b32 s1, 0xbc7abc9e
	s_mov_b32 s15, 0x3e928af3
	v_cvt_i32_f64_e32 v8, v[31:32]
	v_fma_f64 v[15:16], v[0:1], v[11:12], -v[15:16]
	v_add_f64 v[19:20], v[19:20], v[25:26]
	v_fma_f64 v[23:24], v[33:34], v[23:24], -v[21:22]
	v_fma_f64 v[25:26], v[31:32], s[0:1], v[29:30]
	s_mov_b32 s0, 0x361008ca
	s_mov_b32 s1, 0x3ff867a1
	v_add_f64 v[29:30], v[39:40], v[35:36]
	v_add_f64 v[15:16], v[15:16], s[18:19]
	;; [unrolled: 1-line block ×4, first 2 shown]
	v_fma_f64 v[37:38], v[25:26], s[16:17], s[14:15]
	s_mov_b32 s0, 0x623fde64
	s_mov_b32 s1, 0x3ec71dee
	s_mov_b32 s14, 0x537c9ebc
	s_mov_b32 s15, 0xbfab1bbc
	v_add_f64 v[39:40], v[29:30], -v[39:40]
	v_fma_f64 v[11:12], v[0:1], v[15:16], -v[11:12]
	v_add_f64 v[41:42], v[29:30], v[33:34]
	v_add_f64 v[21:22], v[23:24], -v[21:22]
	v_fma_f64 v[37:38], v[25:26], v[37:38], s[0:1]
	s_mov_b32 s0, 0x7c89e6b0
	s_mov_b32 s1, 0x3efa0199
	v_add_f64 v[27:28], v[33:34], -v[27:28]
	v_add_f64 v[35:36], v[35:36], -v[39:40]
	v_add_f64 v[11:12], v[11:12], s[14:15]
	s_mov_b32 s14, 0xd536f53c
	s_mov_b32 s15, 0x3fba46da
	v_add_f64 v[23:24], v[41:42], -v[29:30]
	v_mul_f64 v[21:22], v[21:22], 0.5
	v_fma_f64 v[37:38], v[25:26], v[37:38], s[0:1]
	s_mov_b32 s0, 0x14761f6e
	s_mov_b32 s1, 0x3f2a01a0
	v_add_f64 v[19:20], v[19:20], -v[27:28]
	v_fma_f64 v[15:16], v[0:1], v[11:12], -v[15:16]
	v_add_f64 v[43:44], v[41:42], -v[23:24]
	v_div_scale_f64 v[45:46], null, v[4:5], v[4:5], v[21:22]
	v_fma_f64 v[37:38], v[25:26], v[37:38], s[0:1]
	s_mov_b32 s0, 0x1852b7b0
	s_mov_b32 s1, 0x3f56c16c
	v_add_f64 v[23:24], v[33:34], -v[23:24]
	v_add_f64 v[15:16], v[15:16], s[14:15]
	s_mov_b32 s14, 0x469192e
	s_mov_b32 s15, 0xbfc694d1
	v_add_f64 v[27:28], v[29:30], -v[43:44]
	v_rcp_f64_e32 v[33:34], v[45:46]
	v_fma_f64 v[29:30], v[25:26], v[37:38], s[0:1]
	s_mov_b32 s0, 0x11122322
	s_mov_b32 s1, 0x3f811111
	v_add_f64 v[37:38], v[35:36], v[19:20]
	v_fma_f64 v[11:12], v[0:1], v[15:16], -v[11:12]
	v_add_f64 v[23:24], v[23:24], v[27:28]
	v_fma_f64 v[27:28], v[25:26], v[29:30], s[0:1]
	v_fma_f64 v[29:30], -v[45:46], v[33:34], 1.0
	s_mov_b32 s0, 0x555502a1
	s_mov_b32 s1, 0x3fa55555
	v_add_f64 v[39:40], v[37:38], -v[35:36]
	v_add_f64 v[11:12], v[11:12], s[14:15]
	s_mov_b32 s14, 0x724a7ffa
	s_mov_b32 s15, 0x3fd02a63
	v_add_f64 v[23:24], v[37:38], v[23:24]
	v_fma_f64 v[27:28], v[25:26], v[27:28], s[0:1]
	v_fma_f64 v[29:30], v[33:34], v[29:30], v[33:34]
	s_mov_b32 s0, 0x55555511
	s_mov_b32 s1, 0x3fc55555
	v_add_f64 v[33:34], v[37:38], -v[39:40]
	v_add_f64 v[19:20], v[19:20], -v[39:40]
	v_div_scale_f64 v[39:40], vcc_lo, v[21:22], v[4:5], v[21:22]
	v_fma_f64 v[0:1], v[0:1], v[11:12], -v[15:16]
	v_add_f64 v[37:38], v[41:42], v[23:24]
	v_fma_f64 v[27:28], v[25:26], v[27:28], s[0:1]
	v_fma_f64 v[11:12], -v[45:46], v[29:30], 1.0
	s_mov_b32 s0, 11
	s_mov_b32 s1, 0x3fe00000
	v_add_f64 v[33:34], v[35:36], -v[33:34]
	v_add_f64 v[0:1], v[0:1], s[14:15]
	v_add_f64 v[35:36], v[37:38], -v[41:42]
	v_fma_f64 v[27:28], v[25:26], v[27:28], s[0:1]
	v_fma_f64 v[11:12], v[29:30], v[11:12], v[29:30]
	v_cmp_neq_f64_e64 s0, 0, v[17:18]
	v_add_f64 v[19:20], v[19:20], v[33:34]
	v_add_f64 v[0:1], v[0:1], -v[15:16]
	v_add_f64 v[23:24], v[23:24], -v[35:36]
	v_fma_f64 v[27:28], v[25:26], v[27:28], 1.0
	v_mul_f64 v[15:16], v[39:40], v[11:12]
	v_mul_f64 v[0:1], v[0:1], 0.5
	v_add_f64 v[19:20], v[19:20], v[23:24]
	v_fma_f64 v[23:24], v[25:26], v[27:28], 1.0
	v_fma_f64 v[25:26], -v[45:46], v[15:16], v[39:40]
	v_mul_f64 v[0:1], v[4:5], v[0:1]
	v_add_f64 v[19:20], v[37:38], v[19:20]
	v_ldexp_f64 v[23:24], v[23:24], v8
	v_div_fmas_f64 v[11:12], v[25:26], v[11:12], v[15:16]
	v_cmp_neq_f64_e32 vcc_lo, 0x7ff00000, v[17:18]
	v_mul_f64 v[0:1], v[23:24], v[0:1]
	v_div_fixup_f64 v[4:5], v[11:12], v[4:5], v[21:22]
	v_cndmask_b32_e32 v8, 0x7ff00000, v20, vcc_lo
	s_and_b32 vcc_lo, s0, vcc_lo
	v_cndmask_b32_e32 v11, 0, v19, vcc_lo
	v_cndmask_b32_e64 v12, 0xfff00000, v8, s0
	v_fma_f64 v[0:1], v[11:12], v[0:1], v[4:5]
                                        ; implicit-def: $vgpr4_vgpr5
.LBB9_1307:
	s_andn2_saveexec_b32 s1, s6
	s_cbranch_execz .LBB9_1309
; %bb.1308:
	v_div_scale_f64 v[0:1], null, v[4:5], v[4:5], 0x40200000
	v_div_scale_f64 v[17:18], vcc_lo, 0x40200000, v[4:5], 0x40200000
	s_mov_b32 s6, 0x838f5ed3
	s_mov_b32 s7, 0x3c74af1a
	;; [unrolled: 1-line block ×4, first 2 shown]
	v_cmp_nlt_f64_e64 s0, 0x4090cc00, v[4:5]
	v_rcp_f64_e32 v[11:12], v[0:1]
	v_fma_f64 v[15:16], -v[0:1], v[11:12], 1.0
	v_fma_f64 v[11:12], v[11:12], v[15:16], v[11:12]
	v_fma_f64 v[15:16], -v[0:1], v[11:12], 1.0
	v_fma_f64 v[11:12], v[11:12], v[15:16], v[11:12]
	v_mul_f64 v[15:16], v[17:18], v[11:12]
	v_fma_f64 v[0:1], -v[0:1], v[15:16], v[17:18]
	v_div_fmas_f64 v[0:1], v[0:1], v[11:12], v[15:16]
	v_cmp_gt_f64_e32 vcc_lo, 0x10000000, v[4:5]
	v_div_fixup_f64 v[0:1], v[0:1], v[4:5], 0x40200000
	v_cndmask_b32_e64 v8, 0, 0x100, vcc_lo
	v_ldexp_f64 v[23:24], v[4:5], v8
	v_add_f64 v[0:1], v[0:1], -2.0
	v_rsq_f64_e32 v[25:26], v[23:24]
	v_fma_f64 v[11:12], v[0:1], s[14:15], s[6:7]
	s_mov_b32 s15, 0x3c5a8c5d
	s_mov_b32 s6, 0x17771d52
	;; [unrolled: 1-line block ×3, first 2 shown]
	v_mul_f64 v[27:28], v[23:24], v[25:26]
	v_mul_f64 v[25:26], v[25:26], 0.5
	v_fma_f64 v[15:16], v[0:1], v[11:12], s[14:15]
	s_mov_b32 s14, 0x6a5dcb37
	s_mov_b32 s15, 0x3e5ade15
	v_fma_f64 v[29:30], -v[25:26], v[27:28], 0.5
	v_add_f64 v[15:16], v[15:16], s[6:7]
	s_mov_b32 s6, 0x44ee2c0b
	s_mov_b32 s7, 0x3caa7d5e
	v_fma_f64 v[27:28], v[27:28], v[29:30], v[27:28]
	v_fma_f64 v[25:26], v[25:26], v[29:30], v[25:26]
	v_fma_f64 v[11:12], v[0:1], v[15:16], -v[11:12]
	v_fma_f64 v[29:30], -v[27:28], v[27:28], v[23:24]
	v_add_f64 v[11:12], v[11:12], s[6:7]
	s_mov_b32 s6, 0xd8758ef2
	s_mov_b32 s7, 0xbcc5d2a3
	v_fma_f64 v[15:16], v[0:1], v[11:12], -v[15:16]
	v_add_f64 v[15:16], v[15:16], s[6:7]
	s_mov_b32 s6, 0xefee81bd
	s_mov_b32 s7, 0x3ce25ced
	v_fma_f64 v[11:12], v[0:1], v[15:16], -v[11:12]
	v_add_f64 v[11:12], v[11:12], s[6:7]
	s_mov_b32 s6, 0x364185ab
	s_mov_b32 s7, 0xbcff9d52
	v_fma_f64 v[15:16], v[0:1], v[11:12], -v[15:16]
	v_add_f64 v[15:16], v[15:16], s[6:7]
	s_mov_b32 s6, 0x59151f65
	s_mov_b32 s7, 0x3d1be3e9
	v_fma_f64 v[11:12], v[0:1], v[15:16], -v[11:12]
	v_add_f64 v[11:12], v[11:12], s[6:7]
	s_mov_b32 s6, 0xd4cbcfb3
	s_mov_b32 s7, 0xbd394465
	v_fma_f64 v[15:16], v[0:1], v[11:12], -v[15:16]
	v_add_f64 v[15:16], v[15:16], s[6:7]
	s_mov_b32 s6, 0x40ab0b1
	s_mov_b32 s7, 0x3d578ffa
	v_fma_f64 v[11:12], v[0:1], v[15:16], -v[11:12]
	v_add_f64 v[11:12], v[11:12], s[6:7]
	s_mov_b32 s6, 0x61fc88f8
	s_mov_b32 s7, 0xbd76adec
	v_fma_f64 v[15:16], v[0:1], v[11:12], -v[15:16]
	v_add_f64 v[15:16], v[15:16], s[6:7]
	s_mov_b32 s6, 0x46c04f10
	s_mov_b32 s7, 0x3d969ab8
	v_fma_f64 v[11:12], v[0:1], v[15:16], -v[11:12]
	v_add_f64 v[11:12], v[11:12], s[6:7]
	s_mov_b32 s6, 0x9401ce7b
	s_mov_b32 s7, 0xbdb76b53
	v_fma_f64 v[15:16], v[0:1], v[11:12], -v[15:16]
	v_add_f64 v[15:16], v[15:16], s[6:7]
	s_mov_b32 s6, 0x8a42f6a
	s_mov_b32 s7, 0x3dd956d0
	v_fma_f64 v[11:12], v[0:1], v[15:16], -v[11:12]
	v_add_f64 v[11:12], v[11:12], s[6:7]
	s_mov_b32 s6, 0x365cf27
	s_mov_b32 s7, 0xbdfccbc0
	v_fma_f64 v[15:16], v[0:1], v[11:12], -v[15:16]
	v_add_f64 v[15:16], v[15:16], s[6:7]
	s_mov_b32 s6, 0x2a73d24e
	s_mov_b32 s7, 0x3e214f24
	v_fma_f64 v[11:12], v[0:1], v[15:16], -v[11:12]
	v_add_f64 v[11:12], v[11:12], s[6:7]
	s_mov_b32 s6, 0x9fe1e088
	s_mov_b32 s7, 0xbe4637a4
	v_fma_f64 v[15:16], v[0:1], v[11:12], -v[15:16]
	v_add_f64 v[15:16], v[15:16], s[6:7]
	s_mov_b32 s6, 0x668fc461
	s_mov_b32 s7, 0x3e6ed27c
	v_fma_f64 v[11:12], v[0:1], v[15:16], -v[11:12]
	v_add_f64 v[11:12], v[11:12], s[6:7]
	s_mov_b32 s6, 0x652b82fe
	s_mov_b32 s7, 0xbff71547
	v_mul_f64 v[17:18], v[4:5], s[6:7]
	s_mov_b32 s6, 0x8fada5c6
	s_mov_b32 s7, 0xbe978052
	v_fma_f64 v[15:16], v[0:1], v[11:12], -v[15:16]
	v_rndne_f64_e32 v[17:18], v[17:18]
	v_add_f64 v[15:16], v[15:16], s[6:7]
	s_mov_b32 s6, 0xfefa39ef
	s_mov_b32 s7, 0xbfe62e42
	v_fma_f64 v[19:20], v[17:18], s[6:7], -v[4:5]
	s_mov_b32 s6, 0x3b39803f
	s_mov_b32 s7, 0xbc7abc9e
	v_cvt_i32_f64_e32 v8, v[17:18]
	v_cndmask_b32_e64 v4, 0, 0xffffff80, vcc_lo
	v_cmp_class_f64_e64 vcc_lo, v[23:24], 0x260
	v_fma_f64 v[11:12], v[0:1], v[15:16], -v[11:12]
	v_fma_f64 v[19:20], v[17:18], s[6:7], v[19:20]
	s_mov_b32 s6, 0x1752d1b6
	s_mov_b32 s7, 0x3ec42fe3
	v_add_f64 v[11:12], v[11:12], s[6:7]
	s_mov_b32 s6, 0xfca7ab0c
	s_mov_b32 s7, 0x3e928af3
	v_fma_f64 v[21:22], v[19:20], s[14:15], s[6:7]
	s_mov_b32 s6, 0x623fde64
	s_mov_b32 s7, 0x3ec71dee
	v_fma_f64 v[15:16], v[0:1], v[11:12], -v[15:16]
	v_fma_f64 v[21:22], v[19:20], v[21:22], s[6:7]
	s_mov_b32 s6, 0x1dcdb2e5
	s_mov_b32 s7, 0xbef44d71
	v_add_f64 v[15:16], v[15:16], s[6:7]
	s_mov_b32 s6, 0x7c89e6b0
	s_mov_b32 s7, 0x3efa0199
	v_fma_f64 v[21:22], v[19:20], v[21:22], s[6:7]
	s_mov_b32 s6, 0x14761f6e
	s_mov_b32 s7, 0x3f2a01a0
	v_fma_f64 v[11:12], v[0:1], v[15:16], -v[11:12]
	v_fma_f64 v[21:22], v[19:20], v[21:22], s[6:7]
	s_mov_b32 s6, 0x88f6908e
	s_mov_b32 s7, 0x3f299658
	v_add_f64 v[11:12], v[11:12], s[6:7]
	s_mov_b32 s6, 0x1852b7b0
	s_mov_b32 s7, 0x3f56c16c
	v_fma_f64 v[21:22], v[19:20], v[21:22], s[6:7]
	s_mov_b32 s6, 0x11122322
	s_mov_b32 s7, 0x3f811111
	v_fma_f64 v[15:16], v[0:1], v[11:12], -v[15:16]
	v_fma_f64 v[21:22], v[19:20], v[21:22], s[6:7]
	s_mov_b32 s6, 0xbe66b48a
	s_mov_b32 s7, 0xbf676946
	v_add_f64 v[15:16], v[15:16], s[6:7]
	s_mov_b32 s6, 0x555502a1
	s_mov_b32 s7, 0x3fa55555
	v_fma_f64 v[21:22], v[19:20], v[21:22], s[6:7]
	s_mov_b32 s6, 0x55555511
	s_mov_b32 s7, 0x3fc55555
	v_fma_f64 v[11:12], v[0:1], v[15:16], -v[11:12]
	v_fma_f64 v[21:22], v[19:20], v[21:22], s[6:7]
	s_mov_b32 s6, 0xf9e023fb
	s_mov_b32 s7, 0x3fba9abe
	v_add_f64 v[11:12], v[11:12], s[6:7]
	s_mov_b32 s6, 11
	s_mov_b32 s7, 0x3fe00000
	v_fma_f64 v[21:22], v[19:20], v[21:22], s[6:7]
	s_mov_b32 s6, 0xaa062c8a
	s_mov_b32 s7, 0x4005c3d7
	v_fma_f64 v[0:1], v[0:1], v[11:12], -v[15:16]
	v_fma_f64 v[11:12], v[29:30], v[25:26], v[27:28]
	v_fma_f64 v[21:22], v[19:20], v[21:22], 1.0
	v_add_f64 v[0:1], v[0:1], s[6:7]
	v_fma_f64 v[27:28], -v[11:12], v[11:12], v[23:24]
	v_fma_f64 v[17:18], v[19:20], v[21:22], 1.0
	v_add_f64 v[0:1], v[0:1], -v[15:16]
	v_fma_f64 v[11:12], v[27:28], v[25:26], v[11:12]
	v_ldexp_f64 v[15:16], v[17:18], v8
	v_mul_f64 v[0:1], v[0:1], 0.5
	v_ldexp_f64 v[4:5], v[11:12], v4
	v_cndmask_b32_e64 v12, 0, v16, s0
	v_cndmask_b32_e64 v11, 0, v15, s0
	v_mul_f64 v[0:1], v[11:12], v[0:1]
	v_cndmask_b32_e32 v5, v5, v24, vcc_lo
	v_cndmask_b32_e32 v4, v4, v23, vcc_lo
	v_div_scale_f64 v[11:12], null, v[4:5], v[4:5], v[0:1]
	v_rcp_f64_e32 v[15:16], v[11:12]
	v_fma_f64 v[17:18], -v[11:12], v[15:16], 1.0
	v_fma_f64 v[15:16], v[15:16], v[17:18], v[15:16]
	v_fma_f64 v[17:18], -v[11:12], v[15:16], 1.0
	v_fma_f64 v[15:16], v[15:16], v[17:18], v[15:16]
	v_div_scale_f64 v[17:18], vcc_lo, v[0:1], v[4:5], v[0:1]
	v_mul_f64 v[19:20], v[17:18], v[15:16]
	v_fma_f64 v[11:12], -v[11:12], v[19:20], v[17:18]
	v_div_fmas_f64 v[11:12], v[11:12], v[15:16], v[19:20]
	v_div_fixup_f64 v[0:1], v[11:12], v[4:5], v[0:1]
.LBB9_1309:
	s_or_b32 exec_lo, exec_lo, s1
.LBB9_1310:
	s_or_b32 exec_lo, exec_lo, s5
.LBB9_1311:
	s_or_b32 exec_lo, exec_lo, s4
	v_add_co_u32 v4, s1, s10, v9
	s_lshr_b32 s0, s3, 16
	v_add_co_ci_u32_e64 v5, null, s11, 0, s1
	s_and_b32 s4, s0, 0xff
	s_cmp_lt_i32 s4, 11
	s_cbranch_scc1 .LBB9_1318
; %bb.1312:
	s_and_b32 s0, 0xffff, s4
	s_mov_b32 s5, 0
	s_cmp_gt_i32 s0, 25
	s_cbranch_scc0 .LBB9_1320
; %bb.1313:
	s_cmp_gt_i32 s0, 28
	s_cbranch_scc0 .LBB9_1321
; %bb.1314:
	;; [unrolled: 3-line block ×4, first 2 shown]
	s_cmp_eq_u32 s0, 46
	s_mov_b32 s7, 0
	s_cbranch_scc0 .LBB9_1327
; %bb.1317:
	global_load_dword v8, v[4:5], off
	s_mov_b32 s1, 0
	s_mov_b32 s6, -1
	s_waitcnt vmcnt(0)
	v_lshlrev_b32_e32 v8, 16, v8
	v_cvt_f64_f32_e32 v[8:9], v8
	s_branch .LBB9_1329
.LBB9_1318:
	s_mov_b32 s6, 0
                                        ; implicit-def: $vgpr8_vgpr9
	s_cbranch_execnz .LBB9_1394
.LBB9_1319:
	s_andn2_b32 vcc_lo, exec_lo, s6
	s_cbranch_vccnz .LBB9_1804
	s_branch .LBB9_1441
.LBB9_1320:
	s_mov_b32 s6, 0
	s_mov_b32 s1, 0
                                        ; implicit-def: $vgpr8_vgpr9
	s_cbranch_execnz .LBB9_1360
	s_branch .LBB9_1390
.LBB9_1321:
	s_mov_b32 s7, -1
	s_mov_b32 s6, 0
	s_mov_b32 s1, 0
                                        ; implicit-def: $vgpr8_vgpr9
	s_branch .LBB9_1339
.LBB9_1322:
	s_mov_b32 s7, -1
	s_mov_b32 s6, 0
	s_mov_b32 s1, 0
                                        ; implicit-def: $vgpr8_vgpr9
	s_branch .LBB9_1334
.LBB9_1323:
	s_or_b32 s2, s12, exec_lo
	s_trap 2
	s_cbranch_execz .LBB9_1256
	s_branch .LBB9_1257
.LBB9_1324:
	s_mov_b32 s7, -1
	s_mov_b32 s6, 0
	s_mov_b32 s1, 0
	s_branch .LBB9_1328
.LBB9_1325:
	s_andn2_saveexec_b32 s12, s12
	s_cbranch_execz .LBB9_1046
.LBB9_1326:
	v_add_f32_e64 v3, 0x42800000, |v2|
	s_andn2_b32 s11, s11, exec_lo
	v_and_b32_e32 v3, 0xff, v3
	v_cmp_ne_u32_e32 vcc_lo, 0, v3
	s_and_b32 s13, vcc_lo, exec_lo
	s_or_b32 s11, s11, s13
	s_or_b32 exec_lo, exec_lo, s12
	v_mov_b32_e32 v4, 0
	s_and_saveexec_b32 s12, s11
	s_cbranch_execnz .LBB9_1047
	s_branch .LBB9_1048
.LBB9_1327:
	s_mov_b32 s1, -1
	s_mov_b32 s6, 0
.LBB9_1328:
                                        ; implicit-def: $vgpr8_vgpr9
.LBB9_1329:
	s_and_b32 vcc_lo, exec_lo, s7
	s_cbranch_vccz .LBB9_1333
; %bb.1330:
	s_cmp_eq_u32 s0, 44
	s_cbranch_scc0 .LBB9_1332
; %bb.1331:
	global_load_ubyte v11, v[4:5], off
	s_mov_b32 s1, 0
	s_mov_b32 s6, -1
	s_waitcnt vmcnt(0)
	v_lshlrev_b32_e32 v8, 23, v11
	v_cmp_ne_u32_e32 vcc_lo, 0xff, v11
	v_cvt_f64_f32_e32 v[8:9], v8
	v_cndmask_b32_e32 v8, 0x20000000, v8, vcc_lo
	v_cndmask_b32_e32 v9, 0x7ff80000, v9, vcc_lo
	v_cmp_ne_u32_e32 vcc_lo, 0, v11
	v_cndmask_b32_e32 v9, 0x38000000, v9, vcc_lo
	v_cndmask_b32_e32 v8, 0, v8, vcc_lo
	s_branch .LBB9_1333
.LBB9_1332:
	s_mov_b32 s1, -1
                                        ; implicit-def: $vgpr8_vgpr9
.LBB9_1333:
	s_mov_b32 s7, 0
.LBB9_1334:
	s_and_b32 vcc_lo, exec_lo, s7
	s_cbranch_vccz .LBB9_1338
; %bb.1335:
	s_cmp_eq_u32 s0, 29
	s_cbranch_scc0 .LBB9_1337
; %bb.1336:
	global_load_dwordx2 v[8:9], v[4:5], off
	s_mov_b32 s1, 0
	s_mov_b32 s6, -1
	s_mov_b32 s7, 0
	s_waitcnt vmcnt(0)
	v_cvt_f64_u32_e32 v[11:12], v9
	v_cvt_f64_u32_e32 v[8:9], v8
	v_ldexp_f64 v[11:12], v[11:12], 32
	v_add_f64 v[8:9], v[11:12], v[8:9]
	s_branch .LBB9_1339
.LBB9_1337:
	s_mov_b32 s1, -1
                                        ; implicit-def: $vgpr8_vgpr9
.LBB9_1338:
	s_mov_b32 s7, 0
.LBB9_1339:
	s_and_b32 vcc_lo, exec_lo, s7
	s_cbranch_vccz .LBB9_1359
; %bb.1340:
	s_cmp_lt_i32 s0, 27
	s_cbranch_scc1 .LBB9_1343
; %bb.1341:
	s_cmp_gt_i32 s0, 27
	s_cbranch_scc0 .LBB9_1344
; %bb.1342:
	global_load_dword v8, v[4:5], off
	s_mov_b32 s6, 0
	s_waitcnt vmcnt(0)
	v_cvt_f64_u32_e32 v[8:9], v8
	s_branch .LBB9_1345
.LBB9_1343:
	s_mov_b32 s6, -1
                                        ; implicit-def: $vgpr8_vgpr9
	s_branch .LBB9_1348
.LBB9_1344:
	s_mov_b32 s6, -1
                                        ; implicit-def: $vgpr8_vgpr9
.LBB9_1345:
	s_andn2_b32 vcc_lo, exec_lo, s6
	s_cbranch_vccnz .LBB9_1347
; %bb.1346:
	global_load_ushort v8, v[4:5], off
	s_waitcnt vmcnt(0)
	v_cvt_f64_u32_e32 v[8:9], v8
.LBB9_1347:
	s_mov_b32 s6, 0
.LBB9_1348:
	s_andn2_b32 vcc_lo, exec_lo, s6
	s_cbranch_vccnz .LBB9_1358
; %bb.1349:
	global_load_ubyte v11, v[4:5], off
	s_mov_b32 s6, 0
	s_mov_b32 s7, exec_lo
	s_waitcnt vmcnt(0)
	v_cmpx_lt_i16_e32 0x7f, v11
	s_xor_b32 s7, exec_lo, s7
	s_cbranch_execz .LBB9_1353
; %bb.1350:
	s_mov_b32 s6, -1
	s_mov_b32 s14, exec_lo
	v_cmpx_eq_u16_e32 0x80, v11
; %bb.1351:
	s_xor_b32 s6, exec_lo, -1
; %bb.1352:
	s_or_b32 exec_lo, exec_lo, s14
	s_and_b32 s6, s6, exec_lo
.LBB9_1353:
	s_or_saveexec_b32 s7, s7
	v_bfrev_b32_e32 v8, 4
	v_mov_b32_e32 v9, 0x7ff80000
	s_xor_b32 exec_lo, exec_lo, s7
; %bb.1354:
	v_cmp_ne_u16_e32 vcc_lo, 0, v11
	v_mov_b32_e32 v8, 0
	v_mov_b32_e32 v9, 0
	s_andn2_b32 s6, s6, exec_lo
	s_and_b32 s14, vcc_lo, exec_lo
	s_or_b32 s6, s6, s14
; %bb.1355:
	s_or_b32 exec_lo, exec_lo, s7
	s_and_saveexec_b32 s7, s6
	s_cbranch_execz .LBB9_1357
; %bb.1356:
	v_and_b32_e32 v8, 0xffff, v11
	v_lshlrev_b32_e32 v11, 24, v11
	v_and_b32_e32 v9, 7, v8
	v_bfe_u32 v15, v8, 3, 4
	v_ffbh_u32_e32 v12, v9
	v_cmp_eq_u32_e32 vcc_lo, 0, v15
	v_min_u32_e32 v12, 32, v12
	v_subrev_nc_u32_e32 v13, 28, v12
	v_sub_nc_u32_e32 v12, 29, v12
	v_lshlrev_b32_e32 v8, v13, v8
	v_cndmask_b32_e32 v12, v15, v12, vcc_lo
	v_and_b32_e32 v8, 7, v8
	v_cndmask_b32_e32 v8, v9, v8, vcc_lo
	v_and_b32_e32 v9, 0x80000000, v11
	v_lshl_add_u32 v11, v12, 23, 0x3b800000
	v_lshlrev_b32_e32 v8, 20, v8
	v_or3_b32 v8, v9, v11, v8
	v_cvt_f64_f32_e32 v[8:9], v8
.LBB9_1357:
	s_or_b32 exec_lo, exec_lo, s7
.LBB9_1358:
	s_mov_b32 s6, -1
.LBB9_1359:
	s_branch .LBB9_1390
.LBB9_1360:
	s_cmp_gt_i32 s0, 22
	s_cbranch_scc0 .LBB9_1372
; %bb.1361:
	s_cmp_lt_i32 s0, 24
	s_cbranch_scc1 .LBB9_1373
; %bb.1362:
	s_cmp_gt_i32 s0, 24
	s_cbranch_scc0 .LBB9_1374
; %bb.1363:
	global_load_ubyte v11, v[4:5], off
	s_mov_b32 s6, exec_lo
	s_waitcnt vmcnt(0)
	v_cmpx_lt_i16_e32 0x7f, v11
	s_xor_b32 s6, exec_lo, s6
	s_cbranch_execz .LBB9_1367
; %bb.1364:
	s_mov_b32 s5, -1
	s_mov_b32 s7, exec_lo
	v_cmpx_eq_u16_e32 0x80, v11
; %bb.1365:
	s_xor_b32 s5, exec_lo, -1
; %bb.1366:
	s_or_b32 exec_lo, exec_lo, s7
	s_and_b32 s5, s5, exec_lo
.LBB9_1367:
	s_or_saveexec_b32 s6, s6
	v_bfrev_b32_e32 v8, 4
	v_mov_b32_e32 v9, 0x7ff80000
	s_xor_b32 exec_lo, exec_lo, s6
; %bb.1368:
	v_cmp_ne_u16_e32 vcc_lo, 0, v11
	v_mov_b32_e32 v8, 0
	v_mov_b32_e32 v9, 0
	s_andn2_b32 s5, s5, exec_lo
	s_and_b32 s7, vcc_lo, exec_lo
	s_or_b32 s5, s5, s7
; %bb.1369:
	s_or_b32 exec_lo, exec_lo, s6
	s_and_saveexec_b32 s6, s5
	s_cbranch_execz .LBB9_1371
; %bb.1370:
	v_and_b32_e32 v8, 0xffff, v11
	v_lshlrev_b32_e32 v11, 24, v11
	v_and_b32_e32 v9, 3, v8
	v_bfe_u32 v15, v8, 2, 5
	v_ffbh_u32_e32 v12, v9
	v_cmp_eq_u32_e32 vcc_lo, 0, v15
	v_min_u32_e32 v12, 32, v12
	v_subrev_nc_u32_e32 v13, 29, v12
	v_sub_nc_u32_e32 v12, 30, v12
	v_lshlrev_b32_e32 v8, v13, v8
	v_cndmask_b32_e32 v12, v15, v12, vcc_lo
	v_and_b32_e32 v8, 3, v8
	v_cndmask_b32_e32 v8, v9, v8, vcc_lo
	v_and_b32_e32 v9, 0x80000000, v11
	v_lshl_add_u32 v11, v12, 23, 0x37800000
	v_lshlrev_b32_e32 v8, 21, v8
	v_or3_b32 v8, v9, v11, v8
	v_cvt_f64_f32_e32 v[8:9], v8
.LBB9_1371:
	s_or_b32 exec_lo, exec_lo, s6
	s_mov_b32 s5, 0
	s_branch .LBB9_1375
.LBB9_1372:
	s_mov_b32 s5, -1
                                        ; implicit-def: $vgpr8_vgpr9
	s_branch .LBB9_1381
.LBB9_1373:
	s_mov_b32 s5, -1
                                        ; implicit-def: $vgpr8_vgpr9
	s_branch .LBB9_1378
.LBB9_1374:
	s_mov_b32 s5, -1
                                        ; implicit-def: $vgpr8_vgpr9
.LBB9_1375:
	s_and_b32 vcc_lo, exec_lo, s5
	s_cbranch_vccz .LBB9_1377
; %bb.1376:
	global_load_ubyte v8, v[4:5], off
	s_waitcnt vmcnt(0)
	v_lshlrev_b32_e32 v8, 24, v8
	v_and_b32_e32 v9, 0x7f000000, v8
	v_ffbh_u32_e32 v11, v9
	v_add_nc_u32_e32 v13, 0x1000000, v9
	v_cmp_ne_u32_e32 vcc_lo, 0, v9
	v_min_u32_e32 v11, 32, v11
	v_sub_nc_u32_e64 v11, v11, 4 clamp
	v_lshlrev_b32_e32 v12, v11, v9
	v_lshlrev_b32_e32 v11, 23, v11
	v_lshrrev_b32_e32 v12, 4, v12
	v_sub_nc_u32_e32 v11, v12, v11
	v_ashrrev_i32_e32 v12, 8, v13
	v_add_nc_u32_e32 v11, 0x3c000000, v11
	v_and_or_b32 v11, 0x7f800000, v12, v11
	v_cndmask_b32_e32 v9, 0, v11, vcc_lo
	v_and_or_b32 v8, 0x80000000, v8, v9
	v_cvt_f64_f32_e32 v[8:9], v8
.LBB9_1377:
	s_mov_b32 s5, 0
.LBB9_1378:
	s_andn2_b32 vcc_lo, exec_lo, s5
	s_cbranch_vccnz .LBB9_1380
; %bb.1379:
	global_load_ubyte v8, v[4:5], off
	s_waitcnt vmcnt(0)
	v_lshlrev_b32_e32 v9, 25, v8
	v_lshlrev_b16 v8, 8, v8
	v_lshrrev_b32_e32 v11, 4, v9
	v_and_or_b32 v12, 0x7f00, v8, 0.5
	v_cmp_gt_u32_e32 vcc_lo, 0x8000000, v9
	v_bfe_i32 v8, v8, 0, 16
	v_or_b32_e32 v11, 0x70000000, v11
	v_add_f32_e32 v12, -0.5, v12
	v_mul_f32_e32 v11, 0x7800000, v11
	v_cndmask_b32_e32 v9, v11, v12, vcc_lo
	v_and_or_b32 v8, 0x80000000, v8, v9
	v_cvt_f64_f32_e32 v[8:9], v8
.LBB9_1380:
	s_mov_b32 s5, 0
	s_mov_b32 s6, -1
.LBB9_1381:
	s_andn2_b32 vcc_lo, exec_lo, s5
	s_mov_b32 s5, 0
	s_cbranch_vccnz .LBB9_1390
; %bb.1382:
	s_cmp_gt_i32 s0, 14
	s_cbranch_scc0 .LBB9_1385
; %bb.1383:
	s_cmp_eq_u32 s0, 15
	s_cbranch_scc0 .LBB9_1386
; %bb.1384:
	global_load_ushort v8, v[4:5], off
	s_mov_b32 s1, 0
	s_mov_b32 s6, -1
	s_waitcnt vmcnt(0)
	v_lshlrev_b32_e32 v8, 16, v8
	v_cvt_f64_f32_e32 v[8:9], v8
	s_branch .LBB9_1388
.LBB9_1385:
	s_mov_b32 s5, -1
	s_branch .LBB9_1387
.LBB9_1386:
	s_mov_b32 s1, -1
.LBB9_1387:
                                        ; implicit-def: $vgpr8_vgpr9
.LBB9_1388:
	s_and_b32 vcc_lo, exec_lo, s5
	s_mov_b32 s5, 0
	s_cbranch_vccz .LBB9_1390
; %bb.1389:
	s_cmp_lg_u32 s0, 11
	s_mov_b32 s5, -1
	s_cselect_b32 s1, -1, 0
.LBB9_1390:
	s_and_b32 vcc_lo, exec_lo, s1
	s_cbranch_vccnz .LBB9_1461
; %bb.1391:
	s_andn2_b32 vcc_lo, exec_lo, s5
	s_cbranch_vccnz .LBB9_1393
.LBB9_1392:
	global_load_ubyte v8, v[4:5], off
	s_mov_b32 s6, -1
	s_waitcnt vmcnt(0)
	v_cmp_ne_u16_e32 vcc_lo, 0, v8
	v_mov_b32_e32 v8, 0
	v_cndmask_b32_e64 v9, 0, 0x3ff00000, vcc_lo
.LBB9_1393:
	s_branch .LBB9_1319
.LBB9_1394:
	s_and_b32 s0, 0xffff, s4
	s_cmp_lt_i32 s0, 5
	s_cbranch_scc1 .LBB9_1399
; %bb.1395:
	s_cmp_lt_i32 s0, 8
	s_cbranch_scc1 .LBB9_1400
; %bb.1396:
	;; [unrolled: 3-line block ×3, first 2 shown]
	s_cmp_gt_i32 s0, 9
	s_cbranch_scc0 .LBB9_1402
; %bb.1398:
	global_load_dwordx2 v[8:9], v[4:5], off
	s_mov_b32 s1, 0
	s_branch .LBB9_1403
.LBB9_1399:
                                        ; implicit-def: $vgpr8_vgpr9
	s_branch .LBB9_1421
.LBB9_1400:
	s_mov_b32 s1, -1
                                        ; implicit-def: $vgpr8_vgpr9
	s_branch .LBB9_1409
.LBB9_1401:
	s_mov_b32 s1, -1
                                        ; implicit-def: $vgpr8_vgpr9
	s_branch .LBB9_1406
.LBB9_1402:
	s_mov_b32 s1, -1
                                        ; implicit-def: $vgpr8_vgpr9
.LBB9_1403:
	s_andn2_b32 vcc_lo, exec_lo, s1
	s_cbranch_vccnz .LBB9_1405
; %bb.1404:
	global_load_dword v8, v[4:5], off
	s_waitcnt vmcnt(0)
	v_cvt_f64_f32_e32 v[8:9], v8
.LBB9_1405:
	s_mov_b32 s1, 0
.LBB9_1406:
	s_andn2_b32 vcc_lo, exec_lo, s1
	s_cbranch_vccnz .LBB9_1408
; %bb.1407:
	global_load_dword v8, v[4:5], off
	s_waitcnt vmcnt(0)
	v_cvt_f32_f16_e32 v8, v8
	v_cvt_f64_f32_e32 v[8:9], v8
.LBB9_1408:
	s_mov_b32 s1, 0
.LBB9_1409:
	s_andn2_b32 vcc_lo, exec_lo, s1
	s_cbranch_vccnz .LBB9_1420
; %bb.1410:
	s_cmp_lt_i32 s0, 6
	s_cbranch_scc1 .LBB9_1413
; %bb.1411:
	s_cmp_gt_i32 s0, 6
	s_cbranch_scc0 .LBB9_1414
; %bb.1412:
	global_load_dwordx2 v[8:9], v[4:5], off
	s_mov_b32 s1, 0
	s_branch .LBB9_1415
.LBB9_1413:
	s_mov_b32 s1, -1
                                        ; implicit-def: $vgpr8_vgpr9
	s_branch .LBB9_1418
.LBB9_1414:
	s_mov_b32 s1, -1
                                        ; implicit-def: $vgpr8_vgpr9
.LBB9_1415:
	s_andn2_b32 vcc_lo, exec_lo, s1
	s_cbranch_vccnz .LBB9_1417
; %bb.1416:
	global_load_dword v8, v[4:5], off
	s_waitcnt vmcnt(0)
	v_cvt_f64_f32_e32 v[8:9], v8
.LBB9_1417:
	s_mov_b32 s1, 0
.LBB9_1418:
	s_andn2_b32 vcc_lo, exec_lo, s1
	s_cbranch_vccnz .LBB9_1420
; %bb.1419:
	global_load_ushort v8, v[4:5], off
	s_waitcnt vmcnt(0)
	v_cvt_f32_f16_e32 v8, v8
	v_cvt_f64_f32_e32 v[8:9], v8
.LBB9_1420:
	s_cbranch_execnz .LBB9_1440
.LBB9_1421:
	s_cmp_lt_i32 s0, 2
	s_cbranch_scc1 .LBB9_1425
; %bb.1422:
	s_cmp_lt_i32 s0, 3
	s_cbranch_scc1 .LBB9_1426
; %bb.1423:
	s_cmp_gt_i32 s0, 3
	s_cbranch_scc0 .LBB9_1427
; %bb.1424:
	global_load_dwordx2 v[8:9], v[4:5], off
	s_mov_b32 s1, 0
	s_waitcnt vmcnt(0)
	v_cvt_f64_i32_e32 v[11:12], v9
	v_cvt_f64_u32_e32 v[8:9], v8
	v_ldexp_f64 v[11:12], v[11:12], 32
	v_add_f64 v[8:9], v[11:12], v[8:9]
	s_branch .LBB9_1428
.LBB9_1425:
	s_mov_b32 s1, -1
                                        ; implicit-def: $vgpr8_vgpr9
	s_branch .LBB9_1434
.LBB9_1426:
	s_mov_b32 s1, -1
                                        ; implicit-def: $vgpr8_vgpr9
	s_branch .LBB9_1431
.LBB9_1427:
	s_mov_b32 s1, -1
                                        ; implicit-def: $vgpr8_vgpr9
.LBB9_1428:
	s_andn2_b32 vcc_lo, exec_lo, s1
	s_cbranch_vccnz .LBB9_1430
; %bb.1429:
	global_load_dword v8, v[4:5], off
	s_waitcnt vmcnt(0)
	v_cvt_f64_i32_e32 v[8:9], v8
.LBB9_1430:
	s_mov_b32 s1, 0
.LBB9_1431:
	s_andn2_b32 vcc_lo, exec_lo, s1
	s_cbranch_vccnz .LBB9_1433
; %bb.1432:
	global_load_sshort v8, v[4:5], off
	s_waitcnt vmcnt(0)
	v_cvt_f64_i32_e32 v[8:9], v8
.LBB9_1433:
	s_mov_b32 s1, 0
.LBB9_1434:
	s_andn2_b32 vcc_lo, exec_lo, s1
	s_cbranch_vccnz .LBB9_1440
; %bb.1435:
	s_cmp_gt_i32 s0, 0
	s_mov_b32 s0, 0
	s_cbranch_scc0 .LBB9_1437
; %bb.1436:
	global_load_sbyte v8, v[4:5], off
	s_waitcnt vmcnt(0)
	v_cvt_f64_i32_e32 v[8:9], v8
	s_branch .LBB9_1438
.LBB9_1437:
	s_mov_b32 s0, -1
                                        ; implicit-def: $vgpr8_vgpr9
.LBB9_1438:
	s_andn2_b32 vcc_lo, exec_lo, s0
	s_cbranch_vccnz .LBB9_1440
; %bb.1439:
	global_load_ubyte v4, v[4:5], off
	s_waitcnt vmcnt(0)
	v_cvt_f64_u32_e32 v[8:9], v4
.LBB9_1440:
.LBB9_1441:
	v_mov_b32_e32 v4, 0
	v_mov_b32_e32 v5, 0x7ff00000
	s_mov_b32 s5, exec_lo
	s_waitcnt vmcnt(0)
	v_cmpx_neq_f64_e32 0, v[8:9]
	s_cbranch_execz .LBB9_1449
; %bb.1442:
	v_mov_b32_e32 v4, 0
	v_mov_b32_e32 v5, 0x7ff80000
	s_mov_b32 s6, exec_lo
	v_cmpx_ngt_f64_e32 0, v[8:9]
	s_cbranch_execz .LBB9_1448
; %bb.1443:
                                        ; implicit-def: $vgpr4_vgpr5
	s_mov_b32 s0, exec_lo
	v_cmpx_ge_f64_e32 2.0, v[8:9]
	s_xor_b32 s7, exec_lo, s0
	s_cbranch_execz .LBB9_1445
; %bb.1444:
	v_fma_f64 v[4:5], v[8:9], 0.5, -2.0
	s_mov_b32 s0, 0xc38a0576
	s_mov_b32 s1, 0xbc7857d0
	;; [unrolled: 1-line block ×4, first 2 shown]
	v_mul_f64 v[17:18], v[8:9], 0.5
	v_fma_f64 v[33:34], v[8:9], v[8:9], -2.0
	s_mov_b32 s17, 0xbc603228
	s_mov_b32 s16, 0x3d3cda56
	;; [unrolled: 1-line block ×4, first 2 shown]
	v_fma_f64 v[11:12], v[4:5], s[14:15], s[0:1]
	s_mov_b32 s15, 0xbc499f2a
	s_mov_b32 s0, 0xe593bfac
	;; [unrolled: 1-line block ×3, first 2 shown]
	v_frexp_mant_f64_e32 v[19:20], v[17:18]
	v_fma_f64 v[15:16], v[4:5], v[11:12], s[14:15]
	s_mov_b32 s14, 0x97eb07de
	s_mov_b32 s15, 0xbdd25103
	v_add_f64 v[15:16], v[15:16], s[0:1]
	s_mov_b32 s0, 0x7e0d1573
	s_mov_b32 s1, 0xbcd3eaaa
	v_fma_f64 v[11:12], v[4:5], v[15:16], -v[11:12]
	v_add_f64 v[11:12], v[11:12], s[0:1]
	s_mov_b32 s0, 0x615290c
	s_mov_b32 s1, 0x3d011d7f
	v_fma_f64 v[15:16], v[4:5], v[11:12], -v[15:16]
	;; [unrolled: 4-line block ×6, first 2 shown]
	v_add_f64 v[15:16], v[15:16], s[0:1]
	s_mov_b32 s1, 0x3fe55555
	s_mov_b32 s0, 0x55555555
	v_cmp_gt_f64_e32 vcc_lo, s[0:1], v[19:20]
	s_mov_b32 s0, 0x55555780
	v_fma_f64 v[11:12], v[4:5], v[15:16], -v[11:12]
	v_cndmask_b32_e64 v13, 0, 1, vcc_lo
	v_ldexp_f64 v[19:20], v[19:20], v13
	v_frexp_exp_i32_f64_e32 v13, v[17:18]
	v_add_f64 v[11:12], v[11:12], s[14:15]
	s_mov_b32 s14, 0xb43fdf6c
	s_mov_b32 s15, 0x3df8ea34
	v_add_f64 v[21:22], v[19:20], 1.0
	v_add_f64 v[27:28], v[19:20], -1.0
	v_subrev_co_ci_u32_e64 v13, null, 0, v13, vcc_lo
	v_fma_f64 v[15:16], v[4:5], v[11:12], -v[15:16]
	v_rcp_f64_e32 v[23:24], v[21:22]
	v_add_f64 v[29:30], v[21:22], -1.0
	v_add_f64 v[15:16], v[15:16], s[14:15]
	s_mov_b32 s14, 0x28ea67e6
	s_mov_b32 s15, 0xbe20361b
	v_add_f64 v[19:20], v[19:20], -v[29:30]
	v_fma_f64 v[25:26], -v[21:22], v[23:24], 1.0
	v_fma_f64 v[11:12], v[4:5], v[15:16], -v[11:12]
	v_fma_f64 v[23:24], v[25:26], v[23:24], v[23:24]
	v_add_f64 v[11:12], v[11:12], s[14:15]
	s_mov_b32 s14, 0x2395010
	s_mov_b32 s15, 0x3e44258e
	v_fma_f64 v[25:26], -v[21:22], v[23:24], 1.0
	v_fma_f64 v[15:16], v[4:5], v[11:12], -v[15:16]
	v_fma_f64 v[23:24], v[25:26], v[23:24], v[23:24]
	v_add_f64 v[15:16], v[15:16], s[14:15]
	s_mov_b32 s14, 0x24b8c3e8
	s_mov_b32 s15, 0xbe67dd3e
	v_mul_f64 v[25:26], v[27:28], v[23:24]
	v_fma_f64 v[11:12], v[4:5], v[15:16], -v[11:12]
	v_mul_f64 v[31:32], v[21:22], v[25:26]
	v_add_f64 v[11:12], v[11:12], s[14:15]
	s_mov_b32 s14, 0xb347d108
	s_mov_b32 s15, 0x3e8ae344
	v_fma_f64 v[21:22], v[25:26], v[21:22], -v[31:32]
	v_fma_f64 v[15:16], v[4:5], v[11:12], -v[15:16]
	v_fma_f64 v[19:20], v[25:26], v[19:20], v[21:22]
	v_add_f64 v[15:16], v[15:16], s[14:15]
	s_mov_b32 s14, 0x7a0399e0
	s_mov_b32 s15, 0xbce5dd51
	v_fma_f64 v[35:36], v[33:34], s[16:17], s[14:15]
	s_mov_b32 s17, 0x3c603228
	s_mov_b32 s14, 0xddd0e045
	;; [unrolled: 1-line block ×3, first 2 shown]
	v_add_f64 v[21:22], v[31:32], v[19:20]
	v_fma_f64 v[11:12], v[4:5], v[15:16], -v[11:12]
	v_add_f64 v[29:30], v[27:28], -v[21:22]
	v_add_f64 v[31:32], v[21:22], -v[31:32]
	v_add_f64 v[11:12], v[11:12], s[18:19]
	s_mov_b32 s18, 0xd3d694fe
	s_mov_b32 s19, 0xbf2533ca
	v_add_f64 v[27:28], v[27:28], -v[29:30]
	v_add_f64 v[19:20], v[31:32], -v[19:20]
	v_fma_f64 v[15:16], v[4:5], v[11:12], -v[15:16]
	v_add_f64 v[21:22], v[27:28], -v[21:22]
	v_fma_f64 v[27:28], v[33:34], v[35:36], s[16:17]
	s_mov_b32 s16, 0xd511afc5
	s_mov_b32 s17, 0x3ecd1c4e
	v_add_f64 v[15:16], v[15:16], s[16:17]
	s_mov_b32 s16, 0xb8debbcf
	s_mov_b32 s17, 0xbeebd5f9
	v_add_f64 v[19:20], v[19:20], v[21:22]
	v_add_f64 v[21:22], v[27:28], s[14:15]
	s_mov_b32 s14, 0xb84626ca
	s_mov_b32 s15, 0xbde3663b
	v_fma_f64 v[11:12], v[4:5], v[15:16], -v[11:12]
	v_add_f64 v[19:20], v[29:30], v[19:20]
	v_fma_f64 v[27:28], v[33:34], v[21:22], -v[35:36]
	v_add_f64 v[11:12], v[11:12], s[16:17]
	s_mov_b32 s16, 0x42c70d0b
	s_mov_b32 s17, 0x3f0911b5
	v_mul_f64 v[19:20], v[23:24], v[19:20]
	v_add_f64 v[23:24], v[27:28], s[14:15]
	s_mov_b32 s14, 0x145c31d0
	s_mov_b32 s15, 0xbe57c41d
	v_fma_f64 v[15:16], v[4:5], v[11:12], -v[15:16]
	v_add_f64 v[27:28], v[25:26], v[19:20]
	v_fma_f64 v[21:22], v[33:34], v[23:24], -v[21:22]
	v_add_f64 v[15:16], v[15:16], s[16:17]
	s_mov_b32 s16, 0xbf559e2b
	s_mov_b32 s17, 0x3fc3ab76
	v_mul_f64 v[29:30], v[27:28], v[27:28]
	v_add_f64 v[21:22], v[21:22], s[14:15]
	s_mov_b32 s14, 0x6b47b09a
	s_mov_b32 s15, 0x3fc38538
	v_add_f64 v[25:26], v[27:28], -v[25:26]
	v_fma_f64 v[11:12], v[4:5], v[15:16], -v[11:12]
	v_fma_f64 v[31:32], v[29:30], s[16:17], s[14:15]
	v_fma_f64 v[23:24], v[33:34], v[21:22], -v[23:24]
	s_mov_b32 s14, 0x2c832e3a
	s_mov_b32 s15, 0xbec469b3
	;; [unrolled: 1-line block ×4, first 2 shown]
	v_mul_f64 v[35:36], v[27:28], v[29:30]
	v_add_f64 v[19:20], v[19:20], -v[25:26]
	v_add_f64 v[11:12], v[11:12], s[18:19]
	s_mov_b32 s18, 0xb6c6df7d
	s_mov_b32 s19, 0x3f40c95d
	v_fma_f64 v[31:32], v[29:30], v[31:32], s[16:17]
	v_add_f64 v[23:24], v[23:24], s[14:15]
	s_mov_b32 s14, 0x16291751
	s_mov_b32 s15, 0x3fcc71c0
	;; [unrolled: 1-line block ×4, first 2 shown]
	v_ldexp_f64 v[19:20], v[19:20], 1
	v_fma_f64 v[15:16], v[4:5], v[11:12], -v[15:16]
	v_fma_f64 v[31:32], v[29:30], v[31:32], s[14:15]
	v_fma_f64 v[21:22], v[33:34], v[23:24], -v[21:22]
	s_mov_b32 s14, 0xe5a3bd02
	s_mov_b32 s15, 0xbf26ade2
	v_add_f64 v[15:16], v[15:16], s[18:19]
	s_mov_b32 s18, 0xe7bb2349
	s_mov_b32 s19, 0x3f9951e3
	v_fma_f64 v[31:32], v[29:30], v[31:32], s[16:17]
	v_add_f64 v[21:22], v[21:22], s[14:15]
	s_mov_b32 s14, 0x998ef7b6
	s_mov_b32 s15, 0x3fd99999
	;; [unrolled: 1-line block ×4, first 2 shown]
	v_fma_f64 v[11:12], v[4:5], v[15:16], -v[11:12]
	v_fma_f64 v[31:32], v[29:30], v[31:32], s[14:15]
	v_fma_f64 v[23:24], v[33:34], v[21:22], -v[23:24]
	s_mov_b32 s14, 0x9d7d4192
	s_mov_b32 s15, 0xbf7c9293
	v_add_f64 v[11:12], v[11:12], s[16:17]
	s_mov_b32 s16, 0x49d3a1b4
	s_mov_b32 s17, 0x3f710653
	v_fma_f64 v[29:30], v[29:30], v[31:32], s[0:1]
	v_add_f64 v[23:24], v[23:24], s[14:15]
	v_ldexp_f64 v[31:32], v[27:28], 1
	s_mov_b32 s0, 0x43c1db74
	s_mov_b32 s1, 0xbfbf6372
	;; [unrolled: 1-line block ×4, first 2 shown]
	v_mul_f64 v[37:38], v[8:9], s[14:15]
	s_mov_b32 s14, 0x757b0dd4
	s_mov_b32 s15, 0xbfd69a1b
	v_fma_f64 v[15:16], v[4:5], v[11:12], -v[15:16]
	v_mul_f64 v[29:30], v[35:36], v[29:30]
	v_fma_f64 v[21:22], v[33:34], v[23:24], -v[21:22]
	v_cvt_f64_i32_e32 v[35:36], v13
	v_add_f64 v[15:16], v[15:16], s[16:17]
	s_mov_b32 s16, 0x7913a26a
	s_mov_b32 s17, 0xbf85a29f
	v_add_f64 v[27:28], v[31:32], v[29:30]
	v_add_f64 v[21:22], v[21:22], s[0:1]
	s_mov_b32 s1, 0x3fe62e42
	s_mov_b32 s0, 0xfefa39ef
	v_mul_f64 v[39:40], v[35:36], s[0:1]
	v_fma_f64 v[11:12], v[4:5], v[15:16], -v[11:12]
	v_add_f64 v[25:26], v[27:28], -v[31:32]
	v_fma_f64 v[23:24], v[33:34], v[21:22], -v[23:24]
	v_rndne_f64_e32 v[31:32], v[37:38]
	v_fma_f64 v[37:38], v[35:36], s[0:1], -v[39:40]
	s_mov_b32 s1, 0xbfe62e42
	v_add_f64 v[11:12], v[11:12], s[16:17]
	s_mov_b32 s16, 0x6a5dcb37
	s_mov_b32 s17, 0x3e5ade15
	v_add_f64 v[25:26], v[29:30], -v[25:26]
	v_add_f64 v[23:24], v[23:24], s[14:15]
	v_fma_f64 v[29:30], v[31:32], s[0:1], v[8:9]
	s_mov_b32 s1, 0x3c7abc9e
	s_mov_b32 s0, 0x3b39803f
	;; [unrolled: 1-line block ×3, first 2 shown]
	v_fma_f64 v[35:36], v[35:36], s[0:1], v[37:38]
	s_mov_b32 s1, 0xbc7abc9e
	s_mov_b32 s15, 0x3e928af3
	v_cvt_i32_f64_e32 v13, v[31:32]
	v_fma_f64 v[15:16], v[4:5], v[11:12], -v[15:16]
	v_add_f64 v[19:20], v[19:20], v[25:26]
	v_fma_f64 v[23:24], v[33:34], v[23:24], -v[21:22]
	v_fma_f64 v[25:26], v[31:32], s[0:1], v[29:30]
	s_mov_b32 s0, 0x361008ca
	s_mov_b32 s1, 0x3ff867a1
	v_add_f64 v[29:30], v[39:40], v[35:36]
	v_add_f64 v[15:16], v[15:16], s[18:19]
	;; [unrolled: 1-line block ×4, first 2 shown]
	v_fma_f64 v[37:38], v[25:26], s[16:17], s[14:15]
	s_mov_b32 s0, 0x623fde64
	s_mov_b32 s1, 0x3ec71dee
	s_mov_b32 s14, 0x537c9ebc
	s_mov_b32 s15, 0xbfab1bbc
	v_add_f64 v[39:40], v[29:30], -v[39:40]
	v_fma_f64 v[11:12], v[4:5], v[15:16], -v[11:12]
	v_add_f64 v[41:42], v[29:30], v[33:34]
	v_add_f64 v[21:22], v[23:24], -v[21:22]
	v_fma_f64 v[37:38], v[25:26], v[37:38], s[0:1]
	s_mov_b32 s0, 0x7c89e6b0
	s_mov_b32 s1, 0x3efa0199
	v_add_f64 v[27:28], v[33:34], -v[27:28]
	v_add_f64 v[35:36], v[35:36], -v[39:40]
	v_add_f64 v[11:12], v[11:12], s[14:15]
	s_mov_b32 s14, 0xd536f53c
	s_mov_b32 s15, 0x3fba46da
	v_add_f64 v[23:24], v[41:42], -v[29:30]
	v_mul_f64 v[21:22], v[21:22], 0.5
	v_fma_f64 v[37:38], v[25:26], v[37:38], s[0:1]
	s_mov_b32 s0, 0x14761f6e
	s_mov_b32 s1, 0x3f2a01a0
	v_add_f64 v[19:20], v[19:20], -v[27:28]
	v_fma_f64 v[15:16], v[4:5], v[11:12], -v[15:16]
	v_add_f64 v[43:44], v[41:42], -v[23:24]
	v_div_scale_f64 v[45:46], null, v[8:9], v[8:9], v[21:22]
	v_fma_f64 v[37:38], v[25:26], v[37:38], s[0:1]
	s_mov_b32 s0, 0x1852b7b0
	s_mov_b32 s1, 0x3f56c16c
	v_add_f64 v[23:24], v[33:34], -v[23:24]
	v_add_f64 v[15:16], v[15:16], s[14:15]
	s_mov_b32 s14, 0x469192e
	s_mov_b32 s15, 0xbfc694d1
	v_add_f64 v[27:28], v[29:30], -v[43:44]
	v_rcp_f64_e32 v[33:34], v[45:46]
	v_fma_f64 v[29:30], v[25:26], v[37:38], s[0:1]
	s_mov_b32 s0, 0x11122322
	s_mov_b32 s1, 0x3f811111
	v_add_f64 v[37:38], v[35:36], v[19:20]
	v_fma_f64 v[11:12], v[4:5], v[15:16], -v[11:12]
	v_add_f64 v[23:24], v[23:24], v[27:28]
	v_fma_f64 v[27:28], v[25:26], v[29:30], s[0:1]
	v_fma_f64 v[29:30], -v[45:46], v[33:34], 1.0
	s_mov_b32 s0, 0x555502a1
	s_mov_b32 s1, 0x3fa55555
	v_add_f64 v[39:40], v[37:38], -v[35:36]
	v_add_f64 v[11:12], v[11:12], s[14:15]
	s_mov_b32 s14, 0x724a7ffa
	s_mov_b32 s15, 0x3fd02a63
	v_add_f64 v[23:24], v[37:38], v[23:24]
	v_fma_f64 v[27:28], v[25:26], v[27:28], s[0:1]
	v_fma_f64 v[29:30], v[33:34], v[29:30], v[33:34]
	s_mov_b32 s0, 0x55555511
	s_mov_b32 s1, 0x3fc55555
	v_add_f64 v[33:34], v[37:38], -v[39:40]
	v_add_f64 v[19:20], v[19:20], -v[39:40]
	v_div_scale_f64 v[39:40], vcc_lo, v[21:22], v[8:9], v[21:22]
	v_fma_f64 v[4:5], v[4:5], v[11:12], -v[15:16]
	v_add_f64 v[37:38], v[41:42], v[23:24]
	v_fma_f64 v[27:28], v[25:26], v[27:28], s[0:1]
	v_fma_f64 v[11:12], -v[45:46], v[29:30], 1.0
	s_mov_b32 s0, 11
	s_mov_b32 s1, 0x3fe00000
	v_add_f64 v[33:34], v[35:36], -v[33:34]
	v_add_f64 v[4:5], v[4:5], s[14:15]
	v_add_f64 v[35:36], v[37:38], -v[41:42]
	v_fma_f64 v[27:28], v[25:26], v[27:28], s[0:1]
	v_fma_f64 v[11:12], v[29:30], v[11:12], v[29:30]
	v_cmp_neq_f64_e64 s0, 0, v[17:18]
	v_add_f64 v[19:20], v[19:20], v[33:34]
	v_add_f64 v[4:5], v[4:5], -v[15:16]
	v_add_f64 v[23:24], v[23:24], -v[35:36]
	v_fma_f64 v[27:28], v[25:26], v[27:28], 1.0
	v_mul_f64 v[15:16], v[39:40], v[11:12]
	v_mul_f64 v[4:5], v[4:5], 0.5
	v_add_f64 v[19:20], v[19:20], v[23:24]
	v_fma_f64 v[23:24], v[25:26], v[27:28], 1.0
	v_fma_f64 v[25:26], -v[45:46], v[15:16], v[39:40]
	v_mul_f64 v[4:5], v[8:9], v[4:5]
	v_add_f64 v[19:20], v[37:38], v[19:20]
	v_ldexp_f64 v[23:24], v[23:24], v13
	v_div_fmas_f64 v[11:12], v[25:26], v[11:12], v[15:16]
	v_cmp_neq_f64_e32 vcc_lo, 0x7ff00000, v[17:18]
	v_mul_f64 v[4:5], v[23:24], v[4:5]
	v_div_fixup_f64 v[8:9], v[11:12], v[8:9], v[21:22]
	v_cndmask_b32_e32 v13, 0x7ff00000, v20, vcc_lo
	s_and_b32 vcc_lo, s0, vcc_lo
	v_cndmask_b32_e32 v11, 0, v19, vcc_lo
	v_cndmask_b32_e64 v12, 0xfff00000, v13, s0
	v_fma_f64 v[4:5], v[11:12], v[4:5], v[8:9]
                                        ; implicit-def: $vgpr8_vgpr9
.LBB9_1445:
	s_andn2_saveexec_b32 s1, s7
	s_cbranch_execz .LBB9_1447
; %bb.1446:
	v_div_scale_f64 v[4:5], null, v[8:9], v[8:9], 0x40200000
	v_div_scale_f64 v[17:18], vcc_lo, 0x40200000, v[8:9], 0x40200000
	s_mov_b32 s14, 0x838f5ed3
	s_mov_b32 s15, 0x3c74af1a
	s_mov_b32 s17, 0xbc5a8c5d
	s_mov_b32 s16, 0x42c43a08
	v_cmp_nlt_f64_e64 s0, 0x4090cc00, v[8:9]
	v_rcp_f64_e32 v[11:12], v[4:5]
	v_fma_f64 v[15:16], -v[4:5], v[11:12], 1.0
	v_fma_f64 v[11:12], v[11:12], v[15:16], v[11:12]
	v_fma_f64 v[15:16], -v[4:5], v[11:12], 1.0
	v_fma_f64 v[11:12], v[11:12], v[15:16], v[11:12]
	v_mul_f64 v[15:16], v[17:18], v[11:12]
	v_fma_f64 v[4:5], -v[4:5], v[15:16], v[17:18]
	v_div_fmas_f64 v[4:5], v[4:5], v[11:12], v[15:16]
	v_cmp_gt_f64_e32 vcc_lo, 0x10000000, v[8:9]
	v_div_fixup_f64 v[4:5], v[4:5], v[8:9], 0x40200000
	v_cndmask_b32_e64 v13, 0, 0x100, vcc_lo
	v_ldexp_f64 v[23:24], v[8:9], v13
	v_add_f64 v[4:5], v[4:5], -2.0
	v_rsq_f64_e32 v[25:26], v[23:24]
	v_fma_f64 v[11:12], v[4:5], s[16:17], s[14:15]
	s_mov_b32 s17, 0x3c5a8c5d
	s_mov_b32 s14, 0x17771d52
	;; [unrolled: 1-line block ×3, first 2 shown]
	v_mul_f64 v[27:28], v[23:24], v[25:26]
	v_mul_f64 v[25:26], v[25:26], 0.5
	v_fma_f64 v[15:16], v[4:5], v[11:12], s[16:17]
	s_mov_b32 s16, 0x6a5dcb37
	s_mov_b32 s17, 0x3e5ade15
	v_fma_f64 v[29:30], -v[25:26], v[27:28], 0.5
	v_add_f64 v[15:16], v[15:16], s[14:15]
	s_mov_b32 s14, 0x44ee2c0b
	s_mov_b32 s15, 0x3caa7d5e
	v_fma_f64 v[27:28], v[27:28], v[29:30], v[27:28]
	v_fma_f64 v[25:26], v[25:26], v[29:30], v[25:26]
	v_fma_f64 v[11:12], v[4:5], v[15:16], -v[11:12]
	v_fma_f64 v[29:30], -v[27:28], v[27:28], v[23:24]
	v_add_f64 v[11:12], v[11:12], s[14:15]
	s_mov_b32 s14, 0xd8758ef2
	s_mov_b32 s15, 0xbcc5d2a3
	v_fma_f64 v[15:16], v[4:5], v[11:12], -v[15:16]
	v_add_f64 v[15:16], v[15:16], s[14:15]
	s_mov_b32 s14, 0xefee81bd
	s_mov_b32 s15, 0x3ce25ced
	v_fma_f64 v[11:12], v[4:5], v[15:16], -v[11:12]
	v_add_f64 v[11:12], v[11:12], s[14:15]
	s_mov_b32 s14, 0x364185ab
	s_mov_b32 s15, 0xbcff9d52
	v_fma_f64 v[15:16], v[4:5], v[11:12], -v[15:16]
	v_add_f64 v[15:16], v[15:16], s[14:15]
	s_mov_b32 s14, 0x59151f65
	s_mov_b32 s15, 0x3d1be3e9
	v_fma_f64 v[11:12], v[4:5], v[15:16], -v[11:12]
	v_add_f64 v[11:12], v[11:12], s[14:15]
	s_mov_b32 s14, 0xd4cbcfb3
	s_mov_b32 s15, 0xbd394465
	v_fma_f64 v[15:16], v[4:5], v[11:12], -v[15:16]
	v_add_f64 v[15:16], v[15:16], s[14:15]
	s_mov_b32 s14, 0x40ab0b1
	s_mov_b32 s15, 0x3d578ffa
	v_fma_f64 v[11:12], v[4:5], v[15:16], -v[11:12]
	v_add_f64 v[11:12], v[11:12], s[14:15]
	s_mov_b32 s14, 0x61fc88f8
	s_mov_b32 s15, 0xbd76adec
	v_fma_f64 v[15:16], v[4:5], v[11:12], -v[15:16]
	v_add_f64 v[15:16], v[15:16], s[14:15]
	s_mov_b32 s14, 0x46c04f10
	s_mov_b32 s15, 0x3d969ab8
	v_fma_f64 v[11:12], v[4:5], v[15:16], -v[11:12]
	v_add_f64 v[11:12], v[11:12], s[14:15]
	s_mov_b32 s14, 0x9401ce7b
	s_mov_b32 s15, 0xbdb76b53
	v_fma_f64 v[15:16], v[4:5], v[11:12], -v[15:16]
	v_add_f64 v[15:16], v[15:16], s[14:15]
	s_mov_b32 s14, 0x8a42f6a
	s_mov_b32 s15, 0x3dd956d0
	v_fma_f64 v[11:12], v[4:5], v[15:16], -v[11:12]
	v_add_f64 v[11:12], v[11:12], s[14:15]
	s_mov_b32 s14, 0x365cf27
	s_mov_b32 s15, 0xbdfccbc0
	v_fma_f64 v[15:16], v[4:5], v[11:12], -v[15:16]
	v_add_f64 v[15:16], v[15:16], s[14:15]
	s_mov_b32 s14, 0x2a73d24e
	s_mov_b32 s15, 0x3e214f24
	v_fma_f64 v[11:12], v[4:5], v[15:16], -v[11:12]
	v_add_f64 v[11:12], v[11:12], s[14:15]
	s_mov_b32 s14, 0x9fe1e088
	s_mov_b32 s15, 0xbe4637a4
	v_fma_f64 v[15:16], v[4:5], v[11:12], -v[15:16]
	v_add_f64 v[15:16], v[15:16], s[14:15]
	s_mov_b32 s14, 0x668fc461
	s_mov_b32 s15, 0x3e6ed27c
	v_fma_f64 v[11:12], v[4:5], v[15:16], -v[11:12]
	v_add_f64 v[11:12], v[11:12], s[14:15]
	s_mov_b32 s14, 0x652b82fe
	s_mov_b32 s15, 0xbff71547
	v_mul_f64 v[17:18], v[8:9], s[14:15]
	s_mov_b32 s14, 0x8fada5c6
	s_mov_b32 s15, 0xbe978052
	v_fma_f64 v[15:16], v[4:5], v[11:12], -v[15:16]
	v_rndne_f64_e32 v[17:18], v[17:18]
	v_add_f64 v[15:16], v[15:16], s[14:15]
	s_mov_b32 s14, 0xfefa39ef
	s_mov_b32 s15, 0xbfe62e42
	v_fma_f64 v[19:20], v[17:18], s[14:15], -v[8:9]
	s_mov_b32 s14, 0x3b39803f
	s_mov_b32 s15, 0xbc7abc9e
	v_cvt_i32_f64_e32 v13, v[17:18]
	v_cndmask_b32_e64 v8, 0, 0xffffff80, vcc_lo
	v_cmp_class_f64_e64 vcc_lo, v[23:24], 0x260
	v_fma_f64 v[11:12], v[4:5], v[15:16], -v[11:12]
	v_fma_f64 v[19:20], v[17:18], s[14:15], v[19:20]
	s_mov_b32 s14, 0x1752d1b6
	s_mov_b32 s15, 0x3ec42fe3
	v_add_f64 v[11:12], v[11:12], s[14:15]
	s_mov_b32 s14, 0xfca7ab0c
	s_mov_b32 s15, 0x3e928af3
	v_fma_f64 v[21:22], v[19:20], s[16:17], s[14:15]
	s_mov_b32 s14, 0x623fde64
	s_mov_b32 s15, 0x3ec71dee
	v_fma_f64 v[15:16], v[4:5], v[11:12], -v[15:16]
	v_fma_f64 v[21:22], v[19:20], v[21:22], s[14:15]
	s_mov_b32 s14, 0x1dcdb2e5
	s_mov_b32 s15, 0xbef44d71
	v_add_f64 v[15:16], v[15:16], s[14:15]
	s_mov_b32 s14, 0x7c89e6b0
	s_mov_b32 s15, 0x3efa0199
	v_fma_f64 v[21:22], v[19:20], v[21:22], s[14:15]
	s_mov_b32 s14, 0x14761f6e
	s_mov_b32 s15, 0x3f2a01a0
	v_fma_f64 v[11:12], v[4:5], v[15:16], -v[11:12]
	v_fma_f64 v[21:22], v[19:20], v[21:22], s[14:15]
	s_mov_b32 s14, 0x88f6908e
	s_mov_b32 s15, 0x3f299658
	v_add_f64 v[11:12], v[11:12], s[14:15]
	s_mov_b32 s14, 0x1852b7b0
	s_mov_b32 s15, 0x3f56c16c
	v_fma_f64 v[21:22], v[19:20], v[21:22], s[14:15]
	s_mov_b32 s14, 0x11122322
	s_mov_b32 s15, 0x3f811111
	v_fma_f64 v[15:16], v[4:5], v[11:12], -v[15:16]
	v_fma_f64 v[21:22], v[19:20], v[21:22], s[14:15]
	s_mov_b32 s14, 0xbe66b48a
	s_mov_b32 s15, 0xbf676946
	v_add_f64 v[15:16], v[15:16], s[14:15]
	s_mov_b32 s14, 0x555502a1
	s_mov_b32 s15, 0x3fa55555
	v_fma_f64 v[21:22], v[19:20], v[21:22], s[14:15]
	s_mov_b32 s14, 0x55555511
	s_mov_b32 s15, 0x3fc55555
	v_fma_f64 v[11:12], v[4:5], v[15:16], -v[11:12]
	v_fma_f64 v[21:22], v[19:20], v[21:22], s[14:15]
	s_mov_b32 s14, 0xf9e023fb
	s_mov_b32 s15, 0x3fba9abe
	v_add_f64 v[11:12], v[11:12], s[14:15]
	s_mov_b32 s14, 11
	s_mov_b32 s15, 0x3fe00000
	v_fma_f64 v[21:22], v[19:20], v[21:22], s[14:15]
	s_mov_b32 s14, 0xaa062c8a
	s_mov_b32 s15, 0x4005c3d7
	v_fma_f64 v[4:5], v[4:5], v[11:12], -v[15:16]
	v_fma_f64 v[11:12], v[29:30], v[25:26], v[27:28]
	v_fma_f64 v[21:22], v[19:20], v[21:22], 1.0
	v_add_f64 v[4:5], v[4:5], s[14:15]
	v_fma_f64 v[27:28], -v[11:12], v[11:12], v[23:24]
	v_fma_f64 v[17:18], v[19:20], v[21:22], 1.0
	v_add_f64 v[4:5], v[4:5], -v[15:16]
	v_fma_f64 v[11:12], v[27:28], v[25:26], v[11:12]
	v_ldexp_f64 v[15:16], v[17:18], v13
	v_mul_f64 v[4:5], v[4:5], 0.5
	v_ldexp_f64 v[8:9], v[11:12], v8
	v_cndmask_b32_e64 v12, 0, v16, s0
	v_cndmask_b32_e64 v11, 0, v15, s0
	v_mul_f64 v[4:5], v[11:12], v[4:5]
	v_cndmask_b32_e32 v9, v9, v24, vcc_lo
	v_cndmask_b32_e32 v8, v8, v23, vcc_lo
	v_div_scale_f64 v[11:12], null, v[8:9], v[8:9], v[4:5]
	v_rcp_f64_e32 v[15:16], v[11:12]
	v_fma_f64 v[17:18], -v[11:12], v[15:16], 1.0
	v_fma_f64 v[15:16], v[15:16], v[17:18], v[15:16]
	v_fma_f64 v[17:18], -v[11:12], v[15:16], 1.0
	v_fma_f64 v[15:16], v[15:16], v[17:18], v[15:16]
	v_div_scale_f64 v[17:18], vcc_lo, v[4:5], v[8:9], v[4:5]
	v_mul_f64 v[19:20], v[17:18], v[15:16]
	v_fma_f64 v[11:12], -v[11:12], v[19:20], v[17:18]
	v_div_fmas_f64 v[11:12], v[11:12], v[15:16], v[19:20]
	v_div_fixup_f64 v[4:5], v[11:12], v[8:9], v[4:5]
.LBB9_1447:
	s_or_b32 exec_lo, exec_lo, s1
.LBB9_1448:
	s_or_b32 exec_lo, exec_lo, s6
.LBB9_1449:
	s_or_b32 exec_lo, exec_lo, s5
	v_add_co_u32 v7, s0, s10, v7
	v_add_co_ci_u32_e64 v8, null, s11, 0, s0
	s_cmp_lt_i32 s4, 11
	s_cbranch_scc1 .LBB9_1456
; %bb.1450:
	s_and_b32 s0, 0xffff, s4
	s_mov_b32 s5, 0
	s_cmp_gt_i32 s0, 25
	s_cbranch_scc0 .LBB9_1458
; %bb.1451:
	s_cmp_gt_i32 s0, 28
	s_cbranch_scc0 .LBB9_1459
; %bb.1452:
	;; [unrolled: 3-line block ×4, first 2 shown]
	s_cmp_eq_u32 s0, 46
	s_mov_b32 s7, 0
	s_cbranch_scc0 .LBB9_1463
; %bb.1455:
	global_load_dword v9, v[7:8], off
	s_mov_b32 s1, 0
	s_mov_b32 s6, -1
	s_waitcnt vmcnt(0)
	v_lshlrev_b32_e32 v9, 16, v9
	v_cvt_f64_f32_e32 v[11:12], v9
	s_branch .LBB9_1465
.LBB9_1456:
	s_mov_b32 s6, 0
                                        ; implicit-def: $vgpr11_vgpr12
	s_cbranch_execnz .LBB9_1531
.LBB9_1457:
	s_andn2_b32 vcc_lo, exec_lo, s6
	s_cbranch_vccnz .LBB9_1804
	s_branch .LBB9_1579
.LBB9_1458:
	s_mov_b32 s7, -1
	s_mov_b32 s6, 0
	s_mov_b32 s1, 0
                                        ; implicit-def: $vgpr11_vgpr12
	s_branch .LBB9_1496
.LBB9_1459:
	s_mov_b32 s7, -1
	s_mov_b32 s6, 0
	s_mov_b32 s1, 0
                                        ; implicit-def: $vgpr11_vgpr12
	s_branch .LBB9_1475
.LBB9_1460:
	s_mov_b32 s7, -1
	s_mov_b32 s6, 0
	s_mov_b32 s1, 0
                                        ; implicit-def: $vgpr11_vgpr12
	s_branch .LBB9_1470
.LBB9_1461:
	s_or_b32 s2, s2, exec_lo
	s_trap 2
	s_cbranch_execz .LBB9_1392
	s_branch .LBB9_1393
.LBB9_1462:
	s_mov_b32 s7, -1
	s_mov_b32 s6, 0
	s_mov_b32 s1, 0
	s_branch .LBB9_1464
.LBB9_1463:
	s_mov_b32 s1, -1
	s_mov_b32 s6, 0
.LBB9_1464:
                                        ; implicit-def: $vgpr11_vgpr12
.LBB9_1465:
	s_and_b32 vcc_lo, exec_lo, s7
	s_cbranch_vccz .LBB9_1469
; %bb.1466:
	s_cmp_eq_u32 s0, 44
	s_cbranch_scc0 .LBB9_1468
; %bb.1467:
	global_load_ubyte v9, v[7:8], off
	s_mov_b32 s1, 0
	s_mov_b32 s6, -1
	s_waitcnt vmcnt(0)
	v_lshlrev_b32_e32 v11, 23, v9
	v_cmp_ne_u32_e32 vcc_lo, 0xff, v9
	v_cvt_f64_f32_e32 v[11:12], v11
	v_cndmask_b32_e32 v11, 0x20000000, v11, vcc_lo
	v_cndmask_b32_e32 v12, 0x7ff80000, v12, vcc_lo
	v_cmp_ne_u32_e32 vcc_lo, 0, v9
	v_cndmask_b32_e32 v12, 0x38000000, v12, vcc_lo
	v_cndmask_b32_e32 v11, 0, v11, vcc_lo
	s_branch .LBB9_1469
.LBB9_1468:
	s_mov_b32 s1, -1
                                        ; implicit-def: $vgpr11_vgpr12
.LBB9_1469:
	s_mov_b32 s7, 0
.LBB9_1470:
	s_and_b32 vcc_lo, exec_lo, s7
	s_cbranch_vccz .LBB9_1474
; %bb.1471:
	s_cmp_eq_u32 s0, 29
	s_cbranch_scc0 .LBB9_1473
; %bb.1472:
	global_load_dwordx2 v[11:12], v[7:8], off
	s_mov_b32 s1, 0
	s_mov_b32 s6, -1
	s_mov_b32 s7, 0
	s_waitcnt vmcnt(0)
	v_cvt_f64_u32_e32 v[12:13], v12
	v_cvt_f64_u32_e32 v[15:16], v11
	v_ldexp_f64 v[12:13], v[12:13], 32
	v_add_f64 v[11:12], v[12:13], v[15:16]
	s_branch .LBB9_1475
.LBB9_1473:
	s_mov_b32 s1, -1
                                        ; implicit-def: $vgpr11_vgpr12
.LBB9_1474:
	s_mov_b32 s7, 0
.LBB9_1475:
	s_and_b32 vcc_lo, exec_lo, s7
	s_cbranch_vccz .LBB9_1495
; %bb.1476:
	s_cmp_lt_i32 s0, 27
	s_cbranch_scc1 .LBB9_1479
; %bb.1477:
	s_cmp_gt_i32 s0, 27
	s_cbranch_scc0 .LBB9_1480
; %bb.1478:
	global_load_dword v9, v[7:8], off
	s_mov_b32 s6, 0
	s_waitcnt vmcnt(0)
	v_cvt_f64_u32_e32 v[11:12], v9
	s_branch .LBB9_1481
.LBB9_1479:
	s_mov_b32 s6, -1
                                        ; implicit-def: $vgpr11_vgpr12
	s_branch .LBB9_1484
.LBB9_1480:
	s_mov_b32 s6, -1
                                        ; implicit-def: $vgpr11_vgpr12
.LBB9_1481:
	s_andn2_b32 vcc_lo, exec_lo, s6
	s_cbranch_vccnz .LBB9_1483
; %bb.1482:
	global_load_ushort v9, v[7:8], off
	s_waitcnt vmcnt(0)
	v_cvt_f64_u32_e32 v[11:12], v9
.LBB9_1483:
	s_mov_b32 s6, 0
.LBB9_1484:
	s_andn2_b32 vcc_lo, exec_lo, s6
	s_cbranch_vccnz .LBB9_1494
; %bb.1485:
	global_load_ubyte v9, v[7:8], off
	s_mov_b32 s6, 0
	s_mov_b32 s7, exec_lo
	s_waitcnt vmcnt(0)
	v_cmpx_lt_i16_e32 0x7f, v9
	s_xor_b32 s7, exec_lo, s7
	s_cbranch_execz .LBB9_1489
; %bb.1486:
	s_mov_b32 s6, -1
	s_mov_b32 s14, exec_lo
	v_cmpx_eq_u16_e32 0x80, v9
; %bb.1487:
	s_xor_b32 s6, exec_lo, -1
; %bb.1488:
	s_or_b32 exec_lo, exec_lo, s14
	s_and_b32 s6, s6, exec_lo
.LBB9_1489:
	s_or_saveexec_b32 s7, s7
	v_bfrev_b32_e32 v11, 4
	v_mov_b32_e32 v12, 0x7ff80000
	s_xor_b32 exec_lo, exec_lo, s7
; %bb.1490:
	v_cmp_ne_u16_e32 vcc_lo, 0, v9
	v_mov_b32_e32 v11, 0
	v_mov_b32_e32 v12, 0
	s_andn2_b32 s6, s6, exec_lo
	s_and_b32 s14, vcc_lo, exec_lo
	s_or_b32 s6, s6, s14
; %bb.1491:
	s_or_b32 exec_lo, exec_lo, s7
	s_and_saveexec_b32 s7, s6
	s_cbranch_execz .LBB9_1493
; %bb.1492:
	v_and_b32_e32 v11, 0xffff, v9
	v_lshlrev_b32_e32 v9, 24, v9
	v_and_b32_e32 v12, 7, v11
	v_bfe_u32 v16, v11, 3, 4
	v_and_b32_e32 v9, 0x80000000, v9
	v_ffbh_u32_e32 v13, v12
	v_cmp_eq_u32_e32 vcc_lo, 0, v16
	v_min_u32_e32 v13, 32, v13
	v_subrev_nc_u32_e32 v15, 28, v13
	v_sub_nc_u32_e32 v13, 29, v13
	v_lshlrev_b32_e32 v11, v15, v11
	v_cndmask_b32_e32 v13, v16, v13, vcc_lo
	v_and_b32_e32 v11, 7, v11
	v_cndmask_b32_e32 v11, v12, v11, vcc_lo
	v_lshl_add_u32 v12, v13, 23, 0x3b800000
	v_lshlrev_b32_e32 v11, 20, v11
	v_or3_b32 v9, v9, v12, v11
	v_cvt_f64_f32_e32 v[11:12], v9
.LBB9_1493:
	s_or_b32 exec_lo, exec_lo, s7
.LBB9_1494:
	s_mov_b32 s6, -1
.LBB9_1495:
	s_mov_b32 s7, 0
.LBB9_1496:
	s_and_b32 vcc_lo, exec_lo, s7
	s_cbranch_vccz .LBB9_1527
; %bb.1497:
	s_cmp_gt_i32 s0, 22
	s_cbranch_scc0 .LBB9_1509
; %bb.1498:
	s_cmp_lt_i32 s0, 24
	s_cbranch_scc1 .LBB9_1510
; %bb.1499:
	s_cmp_gt_i32 s0, 24
	s_cbranch_scc0 .LBB9_1511
; %bb.1500:
	global_load_ubyte v9, v[7:8], off
	s_mov_b32 s6, exec_lo
	s_waitcnt vmcnt(0)
	v_cmpx_lt_i16_e32 0x7f, v9
	s_xor_b32 s6, exec_lo, s6
	s_cbranch_execz .LBB9_1504
; %bb.1501:
	s_mov_b32 s5, -1
	s_mov_b32 s7, exec_lo
	v_cmpx_eq_u16_e32 0x80, v9
; %bb.1502:
	s_xor_b32 s5, exec_lo, -1
; %bb.1503:
	s_or_b32 exec_lo, exec_lo, s7
	s_and_b32 s5, s5, exec_lo
.LBB9_1504:
	s_or_saveexec_b32 s6, s6
	v_bfrev_b32_e32 v11, 4
	v_mov_b32_e32 v12, 0x7ff80000
	s_xor_b32 exec_lo, exec_lo, s6
; %bb.1505:
	v_cmp_ne_u16_e32 vcc_lo, 0, v9
	v_mov_b32_e32 v11, 0
	v_mov_b32_e32 v12, 0
	s_andn2_b32 s5, s5, exec_lo
	s_and_b32 s7, vcc_lo, exec_lo
	s_or_b32 s5, s5, s7
; %bb.1506:
	s_or_b32 exec_lo, exec_lo, s6
	s_and_saveexec_b32 s6, s5
	s_cbranch_execz .LBB9_1508
; %bb.1507:
	v_and_b32_e32 v11, 0xffff, v9
	v_lshlrev_b32_e32 v9, 24, v9
	v_and_b32_e32 v12, 3, v11
	v_bfe_u32 v16, v11, 2, 5
	v_and_b32_e32 v9, 0x80000000, v9
	v_ffbh_u32_e32 v13, v12
	v_cmp_eq_u32_e32 vcc_lo, 0, v16
	v_min_u32_e32 v13, 32, v13
	v_subrev_nc_u32_e32 v15, 29, v13
	v_sub_nc_u32_e32 v13, 30, v13
	v_lshlrev_b32_e32 v11, v15, v11
	v_cndmask_b32_e32 v13, v16, v13, vcc_lo
	v_and_b32_e32 v11, 3, v11
	v_cndmask_b32_e32 v11, v12, v11, vcc_lo
	v_lshl_add_u32 v12, v13, 23, 0x37800000
	v_lshlrev_b32_e32 v11, 21, v11
	v_or3_b32 v9, v9, v12, v11
	v_cvt_f64_f32_e32 v[11:12], v9
.LBB9_1508:
	s_or_b32 exec_lo, exec_lo, s6
	s_mov_b32 s5, 0
	s_branch .LBB9_1512
.LBB9_1509:
	s_mov_b32 s5, -1
                                        ; implicit-def: $vgpr11_vgpr12
	s_branch .LBB9_1518
.LBB9_1510:
	s_mov_b32 s5, -1
                                        ; implicit-def: $vgpr11_vgpr12
	s_branch .LBB9_1515
.LBB9_1511:
	s_mov_b32 s5, -1
                                        ; implicit-def: $vgpr11_vgpr12
.LBB9_1512:
	s_and_b32 vcc_lo, exec_lo, s5
	s_cbranch_vccz .LBB9_1514
; %bb.1513:
	global_load_ubyte v9, v[7:8], off
	s_waitcnt vmcnt(0)
	v_lshlrev_b32_e32 v9, 24, v9
	v_and_b32_e32 v11, 0x7f000000, v9
	v_ffbh_u32_e32 v12, v11
	v_add_nc_u32_e32 v15, 0x1000000, v11
	v_cmp_ne_u32_e32 vcc_lo, 0, v11
	v_min_u32_e32 v12, 32, v12
	v_sub_nc_u32_e64 v12, v12, 4 clamp
	v_lshlrev_b32_e32 v13, v12, v11
	v_lshlrev_b32_e32 v12, 23, v12
	v_lshrrev_b32_e32 v13, 4, v13
	v_sub_nc_u32_e32 v12, v13, v12
	v_ashrrev_i32_e32 v13, 8, v15
	v_add_nc_u32_e32 v12, 0x3c000000, v12
	v_and_or_b32 v12, 0x7f800000, v13, v12
	v_cndmask_b32_e32 v11, 0, v12, vcc_lo
	v_and_or_b32 v9, 0x80000000, v9, v11
	v_cvt_f64_f32_e32 v[11:12], v9
.LBB9_1514:
	s_mov_b32 s5, 0
.LBB9_1515:
	s_andn2_b32 vcc_lo, exec_lo, s5
	s_cbranch_vccnz .LBB9_1517
; %bb.1516:
	global_load_ubyte v9, v[7:8], off
	s_waitcnt vmcnt(0)
	v_lshlrev_b32_e32 v11, 25, v9
	v_lshlrev_b16 v9, 8, v9
	v_lshrrev_b32_e32 v12, 4, v11
	v_and_or_b32 v13, 0x7f00, v9, 0.5
	v_cmp_gt_u32_e32 vcc_lo, 0x8000000, v11
	v_bfe_i32 v9, v9, 0, 16
	v_or_b32_e32 v12, 0x70000000, v12
	v_add_f32_e32 v13, -0.5, v13
	v_mul_f32_e32 v12, 0x7800000, v12
	v_cndmask_b32_e32 v11, v12, v13, vcc_lo
	v_and_or_b32 v9, 0x80000000, v9, v11
	v_cvt_f64_f32_e32 v[11:12], v9
.LBB9_1517:
	s_mov_b32 s5, 0
	s_mov_b32 s6, -1
.LBB9_1518:
	s_andn2_b32 vcc_lo, exec_lo, s5
	s_mov_b32 s5, 0
	s_cbranch_vccnz .LBB9_1527
; %bb.1519:
	s_cmp_gt_i32 s0, 14
	s_cbranch_scc0 .LBB9_1522
; %bb.1520:
	s_cmp_eq_u32 s0, 15
	s_cbranch_scc0 .LBB9_1523
; %bb.1521:
	global_load_ushort v9, v[7:8], off
	s_mov_b32 s1, 0
	s_mov_b32 s6, -1
	s_waitcnt vmcnt(0)
	v_lshlrev_b32_e32 v9, 16, v9
	v_cvt_f64_f32_e32 v[11:12], v9
	s_branch .LBB9_1525
.LBB9_1522:
	s_mov_b32 s5, -1
	s_branch .LBB9_1524
.LBB9_1523:
	s_mov_b32 s1, -1
.LBB9_1524:
                                        ; implicit-def: $vgpr11_vgpr12
.LBB9_1525:
	s_and_b32 vcc_lo, exec_lo, s5
	s_mov_b32 s5, 0
	s_cbranch_vccz .LBB9_1527
; %bb.1526:
	s_cmp_lg_u32 s0, 11
	s_mov_b32 s5, -1
	s_cselect_b32 s1, -1, 0
.LBB9_1527:
	s_and_b32 vcc_lo, exec_lo, s1
	s_cbranch_vccnz .LBB9_1598
; %bb.1528:
	s_andn2_b32 vcc_lo, exec_lo, s5
	s_cbranch_vccnz .LBB9_1530
.LBB9_1529:
	global_load_ubyte v9, v[7:8], off
	v_mov_b32_e32 v11, 0
	s_mov_b32 s6, -1
	s_waitcnt vmcnt(0)
	v_cmp_ne_u16_e32 vcc_lo, 0, v9
	v_cndmask_b32_e64 v12, 0, 0x3ff00000, vcc_lo
.LBB9_1530:
	s_branch .LBB9_1457
.LBB9_1531:
	s_and_b32 s0, 0xffff, s4
	s_cmp_lt_i32 s0, 5
	s_cbranch_scc1 .LBB9_1536
; %bb.1532:
	s_cmp_lt_i32 s0, 8
	s_cbranch_scc1 .LBB9_1537
; %bb.1533:
	;; [unrolled: 3-line block ×3, first 2 shown]
	s_cmp_gt_i32 s0, 9
	s_cbranch_scc0 .LBB9_1539
; %bb.1535:
	global_load_dwordx2 v[11:12], v[7:8], off
	s_mov_b32 s1, 0
	s_branch .LBB9_1540
.LBB9_1536:
	s_mov_b32 s1, -1
                                        ; implicit-def: $vgpr11_vgpr12
	s_branch .LBB9_1558
.LBB9_1537:
	s_mov_b32 s1, -1
                                        ; implicit-def: $vgpr11_vgpr12
	s_branch .LBB9_1546
.LBB9_1538:
	s_mov_b32 s1, -1
                                        ; implicit-def: $vgpr11_vgpr12
	s_branch .LBB9_1543
.LBB9_1539:
	s_mov_b32 s1, -1
                                        ; implicit-def: $vgpr11_vgpr12
.LBB9_1540:
	s_andn2_b32 vcc_lo, exec_lo, s1
	s_cbranch_vccnz .LBB9_1542
; %bb.1541:
	global_load_dword v9, v[7:8], off
	s_waitcnt vmcnt(0)
	v_cvt_f64_f32_e32 v[11:12], v9
.LBB9_1542:
	s_mov_b32 s1, 0
.LBB9_1543:
	s_andn2_b32 vcc_lo, exec_lo, s1
	s_cbranch_vccnz .LBB9_1545
; %bb.1544:
	global_load_dword v9, v[7:8], off
	s_waitcnt vmcnt(0)
	v_cvt_f32_f16_e32 v9, v9
	v_cvt_f64_f32_e32 v[11:12], v9
.LBB9_1545:
	s_mov_b32 s1, 0
.LBB9_1546:
	s_andn2_b32 vcc_lo, exec_lo, s1
	s_cbranch_vccnz .LBB9_1557
; %bb.1547:
	s_cmp_lt_i32 s0, 6
	s_cbranch_scc1 .LBB9_1550
; %bb.1548:
	s_cmp_gt_i32 s0, 6
	s_cbranch_scc0 .LBB9_1551
; %bb.1549:
	global_load_dwordx2 v[11:12], v[7:8], off
	s_mov_b32 s1, 0
	s_branch .LBB9_1552
.LBB9_1550:
	s_mov_b32 s1, -1
                                        ; implicit-def: $vgpr11_vgpr12
	s_branch .LBB9_1555
.LBB9_1551:
	s_mov_b32 s1, -1
                                        ; implicit-def: $vgpr11_vgpr12
.LBB9_1552:
	s_andn2_b32 vcc_lo, exec_lo, s1
	s_cbranch_vccnz .LBB9_1554
; %bb.1553:
	global_load_dword v9, v[7:8], off
	s_waitcnt vmcnt(0)
	v_cvt_f64_f32_e32 v[11:12], v9
.LBB9_1554:
	s_mov_b32 s1, 0
.LBB9_1555:
	s_andn2_b32 vcc_lo, exec_lo, s1
	s_cbranch_vccnz .LBB9_1557
; %bb.1556:
	global_load_ushort v9, v[7:8], off
	s_waitcnt vmcnt(0)
	v_cvt_f32_f16_e32 v9, v9
	v_cvt_f64_f32_e32 v[11:12], v9
.LBB9_1557:
	s_mov_b32 s1, 0
.LBB9_1558:
	s_andn2_b32 vcc_lo, exec_lo, s1
	s_cbranch_vccnz .LBB9_1578
; %bb.1559:
	s_cmp_lt_i32 s0, 2
	s_cbranch_scc1 .LBB9_1563
; %bb.1560:
	s_cmp_lt_i32 s0, 3
	s_cbranch_scc1 .LBB9_1564
; %bb.1561:
	s_cmp_gt_i32 s0, 3
	s_cbranch_scc0 .LBB9_1565
; %bb.1562:
	global_load_dwordx2 v[11:12], v[7:8], off
	s_mov_b32 s1, 0
	s_waitcnt vmcnt(0)
	v_cvt_f64_i32_e32 v[12:13], v12
	v_cvt_f64_u32_e32 v[15:16], v11
	v_ldexp_f64 v[12:13], v[12:13], 32
	v_add_f64 v[11:12], v[12:13], v[15:16]
	s_branch .LBB9_1566
.LBB9_1563:
	s_mov_b32 s1, -1
                                        ; implicit-def: $vgpr11_vgpr12
	s_branch .LBB9_1572
.LBB9_1564:
	s_mov_b32 s1, -1
                                        ; implicit-def: $vgpr11_vgpr12
	s_branch .LBB9_1569
.LBB9_1565:
	s_mov_b32 s1, -1
                                        ; implicit-def: $vgpr11_vgpr12
.LBB9_1566:
	s_andn2_b32 vcc_lo, exec_lo, s1
	s_cbranch_vccnz .LBB9_1568
; %bb.1567:
	global_load_dword v9, v[7:8], off
	s_waitcnt vmcnt(0)
	v_cvt_f64_i32_e32 v[11:12], v9
.LBB9_1568:
	s_mov_b32 s1, 0
.LBB9_1569:
	s_andn2_b32 vcc_lo, exec_lo, s1
	s_cbranch_vccnz .LBB9_1571
; %bb.1570:
	global_load_sshort v9, v[7:8], off
	s_waitcnt vmcnt(0)
	v_cvt_f64_i32_e32 v[11:12], v9
.LBB9_1571:
	s_mov_b32 s1, 0
.LBB9_1572:
	s_andn2_b32 vcc_lo, exec_lo, s1
	s_cbranch_vccnz .LBB9_1578
; %bb.1573:
	s_cmp_gt_i32 s0, 0
	s_mov_b32 s0, 0
	s_cbranch_scc0 .LBB9_1575
; %bb.1574:
	global_load_sbyte v9, v[7:8], off
	s_waitcnt vmcnt(0)
	v_cvt_f64_i32_e32 v[11:12], v9
	s_branch .LBB9_1576
.LBB9_1575:
	s_mov_b32 s0, -1
                                        ; implicit-def: $vgpr11_vgpr12
.LBB9_1576:
	s_andn2_b32 vcc_lo, exec_lo, s0
	s_cbranch_vccnz .LBB9_1578
; %bb.1577:
	global_load_ubyte v7, v[7:8], off
	s_waitcnt vmcnt(0)
	v_cvt_f64_u32_e32 v[11:12], v7
.LBB9_1578:
.LBB9_1579:
	v_mov_b32_e32 v8, 0
	v_mov_b32_e32 v9, 0x7ff00000
	s_mov_b32 s5, exec_lo
	s_waitcnt vmcnt(0)
	v_cmpx_neq_f64_e32 0, v[11:12]
	s_cbranch_execz .LBB9_1587
; %bb.1580:
	v_mov_b32_e32 v8, 0
	v_mov_b32_e32 v9, 0x7ff80000
	s_mov_b32 s6, exec_lo
	v_cmpx_ngt_f64_e32 0, v[11:12]
	s_cbranch_execz .LBB9_1586
; %bb.1581:
                                        ; implicit-def: $vgpr8_vgpr9
	s_mov_b32 s0, exec_lo
	v_cmpx_ge_f64_e32 2.0, v[11:12]
	s_xor_b32 s7, exec_lo, s0
	s_cbranch_execz .LBB9_1583
; %bb.1582:
	v_fma_f64 v[7:8], v[11:12], 0.5, -2.0
	s_mov_b32 s0, 0xc38a0576
	s_mov_b32 s1, 0xbc7857d0
	s_mov_b32 s15, 0x3c499f2a
	s_mov_b32 s14, 0xc3c4014
	v_mul_f64 v[19:20], v[11:12], 0.5
	v_fma_f64 v[35:36], v[11:12], v[11:12], -2.0
	s_mov_b32 s17, 0xbc603228
	s_mov_b32 s16, 0x3d3cda56
	;; [unrolled: 1-line block ×4, first 2 shown]
	v_fma_f64 v[15:16], v[7:8], s[14:15], s[0:1]
	s_mov_b32 s15, 0xbc499f2a
	s_mov_b32 s0, 0xe593bfac
	;; [unrolled: 1-line block ×3, first 2 shown]
	v_frexp_mant_f64_e32 v[21:22], v[19:20]
	v_fma_f64 v[17:18], v[7:8], v[15:16], s[14:15]
	s_mov_b32 s14, 0x97eb07de
	s_mov_b32 s15, 0xbdd25103
	v_add_f64 v[17:18], v[17:18], s[0:1]
	s_mov_b32 s0, 0x7e0d1573
	s_mov_b32 s1, 0xbcd3eaaa
	v_fma_f64 v[15:16], v[7:8], v[17:18], -v[15:16]
	v_add_f64 v[15:16], v[15:16], s[0:1]
	s_mov_b32 s0, 0x615290c
	s_mov_b32 s1, 0x3d011d7f
	v_fma_f64 v[17:18], v[7:8], v[15:16], -v[17:18]
	;; [unrolled: 4-line block ×6, first 2 shown]
	v_add_f64 v[17:18], v[17:18], s[0:1]
	s_mov_b32 s1, 0x3fe55555
	s_mov_b32 s0, 0x55555555
	v_cmp_gt_f64_e32 vcc_lo, s[0:1], v[21:22]
	s_mov_b32 s0, 0x55555780
	v_fma_f64 v[15:16], v[7:8], v[17:18], -v[15:16]
	v_cndmask_b32_e64 v9, 0, 1, vcc_lo
	v_ldexp_f64 v[21:22], v[21:22], v9
	v_frexp_exp_i32_f64_e32 v9, v[19:20]
	v_add_f64 v[15:16], v[15:16], s[14:15]
	s_mov_b32 s14, 0xb43fdf6c
	s_mov_b32 s15, 0x3df8ea34
	v_add_f64 v[23:24], v[21:22], 1.0
	v_add_f64 v[29:30], v[21:22], -1.0
	v_subrev_co_ci_u32_e64 v9, null, 0, v9, vcc_lo
	v_fma_f64 v[17:18], v[7:8], v[15:16], -v[17:18]
	v_rcp_f64_e32 v[25:26], v[23:24]
	v_add_f64 v[31:32], v[23:24], -1.0
	v_add_f64 v[17:18], v[17:18], s[14:15]
	s_mov_b32 s14, 0x28ea67e6
	s_mov_b32 s15, 0xbe20361b
	v_add_f64 v[21:22], v[21:22], -v[31:32]
	v_fma_f64 v[27:28], -v[23:24], v[25:26], 1.0
	v_fma_f64 v[15:16], v[7:8], v[17:18], -v[15:16]
	v_fma_f64 v[25:26], v[27:28], v[25:26], v[25:26]
	v_add_f64 v[15:16], v[15:16], s[14:15]
	s_mov_b32 s14, 0x2395010
	s_mov_b32 s15, 0x3e44258e
	v_fma_f64 v[27:28], -v[23:24], v[25:26], 1.0
	v_fma_f64 v[17:18], v[7:8], v[15:16], -v[17:18]
	v_fma_f64 v[25:26], v[27:28], v[25:26], v[25:26]
	v_add_f64 v[17:18], v[17:18], s[14:15]
	s_mov_b32 s14, 0x24b8c3e8
	s_mov_b32 s15, 0xbe67dd3e
	v_mul_f64 v[27:28], v[29:30], v[25:26]
	v_fma_f64 v[15:16], v[7:8], v[17:18], -v[15:16]
	v_mul_f64 v[33:34], v[23:24], v[27:28]
	v_add_f64 v[15:16], v[15:16], s[14:15]
	s_mov_b32 s14, 0xb347d108
	s_mov_b32 s15, 0x3e8ae344
	v_fma_f64 v[23:24], v[27:28], v[23:24], -v[33:34]
	v_fma_f64 v[17:18], v[7:8], v[15:16], -v[17:18]
	v_fma_f64 v[21:22], v[27:28], v[21:22], v[23:24]
	v_add_f64 v[17:18], v[17:18], s[14:15]
	s_mov_b32 s14, 0x7a0399e0
	s_mov_b32 s15, 0xbce5dd51
	v_fma_f64 v[37:38], v[35:36], s[16:17], s[14:15]
	s_mov_b32 s17, 0x3c603228
	s_mov_b32 s14, 0xddd0e045
	;; [unrolled: 1-line block ×3, first 2 shown]
	v_add_f64 v[23:24], v[33:34], v[21:22]
	v_fma_f64 v[15:16], v[7:8], v[17:18], -v[15:16]
	v_add_f64 v[31:32], v[29:30], -v[23:24]
	v_add_f64 v[33:34], v[23:24], -v[33:34]
	v_add_f64 v[15:16], v[15:16], s[18:19]
	s_mov_b32 s18, 0xd3d694fe
	s_mov_b32 s19, 0xbf2533ca
	v_add_f64 v[29:30], v[29:30], -v[31:32]
	v_add_f64 v[21:22], v[33:34], -v[21:22]
	v_fma_f64 v[17:18], v[7:8], v[15:16], -v[17:18]
	v_add_f64 v[23:24], v[29:30], -v[23:24]
	v_fma_f64 v[29:30], v[35:36], v[37:38], s[16:17]
	s_mov_b32 s16, 0xd511afc5
	s_mov_b32 s17, 0x3ecd1c4e
	v_add_f64 v[17:18], v[17:18], s[16:17]
	s_mov_b32 s16, 0xb8debbcf
	s_mov_b32 s17, 0xbeebd5f9
	v_add_f64 v[21:22], v[21:22], v[23:24]
	v_add_f64 v[23:24], v[29:30], s[14:15]
	s_mov_b32 s14, 0xb84626ca
	s_mov_b32 s15, 0xbde3663b
	v_fma_f64 v[15:16], v[7:8], v[17:18], -v[15:16]
	v_add_f64 v[21:22], v[31:32], v[21:22]
	v_fma_f64 v[29:30], v[35:36], v[23:24], -v[37:38]
	v_add_f64 v[15:16], v[15:16], s[16:17]
	s_mov_b32 s16, 0x42c70d0b
	s_mov_b32 s17, 0x3f0911b5
	v_mul_f64 v[21:22], v[25:26], v[21:22]
	v_add_f64 v[25:26], v[29:30], s[14:15]
	s_mov_b32 s14, 0x145c31d0
	s_mov_b32 s15, 0xbe57c41d
	v_fma_f64 v[17:18], v[7:8], v[15:16], -v[17:18]
	v_add_f64 v[29:30], v[27:28], v[21:22]
	v_fma_f64 v[23:24], v[35:36], v[25:26], -v[23:24]
	v_add_f64 v[17:18], v[17:18], s[16:17]
	s_mov_b32 s16, 0xbf559e2b
	s_mov_b32 s17, 0x3fc3ab76
	v_mul_f64 v[31:32], v[29:30], v[29:30]
	v_add_f64 v[23:24], v[23:24], s[14:15]
	s_mov_b32 s14, 0x6b47b09a
	s_mov_b32 s15, 0x3fc38538
	v_add_f64 v[27:28], v[29:30], -v[27:28]
	v_fma_f64 v[15:16], v[7:8], v[17:18], -v[15:16]
	v_fma_f64 v[33:34], v[31:32], s[16:17], s[14:15]
	v_fma_f64 v[25:26], v[35:36], v[23:24], -v[25:26]
	s_mov_b32 s14, 0x2c832e3a
	s_mov_b32 s15, 0xbec469b3
	;; [unrolled: 1-line block ×4, first 2 shown]
	v_mul_f64 v[37:38], v[29:30], v[31:32]
	v_add_f64 v[21:22], v[21:22], -v[27:28]
	v_add_f64 v[15:16], v[15:16], s[18:19]
	s_mov_b32 s18, 0xb6c6df7d
	s_mov_b32 s19, 0x3f40c95d
	v_fma_f64 v[33:34], v[31:32], v[33:34], s[16:17]
	v_add_f64 v[25:26], v[25:26], s[14:15]
	s_mov_b32 s14, 0x16291751
	s_mov_b32 s15, 0x3fcc71c0
	;; [unrolled: 1-line block ×4, first 2 shown]
	v_ldexp_f64 v[21:22], v[21:22], 1
	v_fma_f64 v[17:18], v[7:8], v[15:16], -v[17:18]
	v_fma_f64 v[33:34], v[31:32], v[33:34], s[14:15]
	v_fma_f64 v[23:24], v[35:36], v[25:26], -v[23:24]
	s_mov_b32 s14, 0xe5a3bd02
	s_mov_b32 s15, 0xbf26ade2
	v_add_f64 v[17:18], v[17:18], s[18:19]
	s_mov_b32 s18, 0xe7bb2349
	s_mov_b32 s19, 0x3f9951e3
	v_fma_f64 v[33:34], v[31:32], v[33:34], s[16:17]
	v_add_f64 v[23:24], v[23:24], s[14:15]
	s_mov_b32 s14, 0x998ef7b6
	s_mov_b32 s15, 0x3fd99999
	;; [unrolled: 1-line block ×4, first 2 shown]
	v_fma_f64 v[15:16], v[7:8], v[17:18], -v[15:16]
	v_fma_f64 v[33:34], v[31:32], v[33:34], s[14:15]
	v_fma_f64 v[25:26], v[35:36], v[23:24], -v[25:26]
	s_mov_b32 s14, 0x9d7d4192
	s_mov_b32 s15, 0xbf7c9293
	v_add_f64 v[15:16], v[15:16], s[16:17]
	s_mov_b32 s16, 0x49d3a1b4
	s_mov_b32 s17, 0x3f710653
	v_fma_f64 v[31:32], v[31:32], v[33:34], s[0:1]
	v_add_f64 v[25:26], v[25:26], s[14:15]
	v_ldexp_f64 v[33:34], v[29:30], 1
	s_mov_b32 s0, 0x43c1db74
	s_mov_b32 s1, 0xbfbf6372
	;; [unrolled: 1-line block ×4, first 2 shown]
	v_mul_f64 v[39:40], v[11:12], s[14:15]
	s_mov_b32 s14, 0x757b0dd4
	s_mov_b32 s15, 0xbfd69a1b
	v_fma_f64 v[17:18], v[7:8], v[15:16], -v[17:18]
	v_mul_f64 v[31:32], v[37:38], v[31:32]
	v_fma_f64 v[23:24], v[35:36], v[25:26], -v[23:24]
	v_cvt_f64_i32_e32 v[37:38], v9
	v_add_f64 v[17:18], v[17:18], s[16:17]
	s_mov_b32 s16, 0x7913a26a
	s_mov_b32 s17, 0xbf85a29f
	v_add_f64 v[29:30], v[33:34], v[31:32]
	v_add_f64 v[23:24], v[23:24], s[0:1]
	s_mov_b32 s1, 0x3fe62e42
	s_mov_b32 s0, 0xfefa39ef
	v_mul_f64 v[41:42], v[37:38], s[0:1]
	v_fma_f64 v[15:16], v[7:8], v[17:18], -v[15:16]
	v_add_f64 v[27:28], v[29:30], -v[33:34]
	v_fma_f64 v[25:26], v[35:36], v[23:24], -v[25:26]
	v_rndne_f64_e32 v[33:34], v[39:40]
	v_fma_f64 v[39:40], v[37:38], s[0:1], -v[41:42]
	s_mov_b32 s1, 0xbfe62e42
	v_add_f64 v[15:16], v[15:16], s[16:17]
	s_mov_b32 s16, 0x6a5dcb37
	s_mov_b32 s17, 0x3e5ade15
	v_add_f64 v[27:28], v[31:32], -v[27:28]
	v_add_f64 v[25:26], v[25:26], s[14:15]
	v_fma_f64 v[31:32], v[33:34], s[0:1], v[11:12]
	s_mov_b32 s1, 0x3c7abc9e
	s_mov_b32 s0, 0x3b39803f
	;; [unrolled: 1-line block ×3, first 2 shown]
	v_fma_f64 v[37:38], v[37:38], s[0:1], v[39:40]
	s_mov_b32 s1, 0xbc7abc9e
	s_mov_b32 s15, 0x3e928af3
	v_cvt_i32_f64_e32 v9, v[33:34]
	v_fma_f64 v[17:18], v[7:8], v[15:16], -v[17:18]
	v_add_f64 v[21:22], v[21:22], v[27:28]
	v_fma_f64 v[25:26], v[35:36], v[25:26], -v[23:24]
	v_fma_f64 v[27:28], v[33:34], s[0:1], v[31:32]
	s_mov_b32 s0, 0x361008ca
	s_mov_b32 s1, 0x3ff867a1
	v_add_f64 v[31:32], v[41:42], v[37:38]
	v_add_f64 v[17:18], v[17:18], s[18:19]
	;; [unrolled: 1-line block ×4, first 2 shown]
	v_fma_f64 v[39:40], v[27:28], s[16:17], s[14:15]
	s_mov_b32 s0, 0x623fde64
	s_mov_b32 s1, 0x3ec71dee
	;; [unrolled: 1-line block ×4, first 2 shown]
	v_add_f64 v[41:42], v[31:32], -v[41:42]
	v_fma_f64 v[15:16], v[7:8], v[17:18], -v[15:16]
	v_add_f64 v[43:44], v[31:32], v[35:36]
	v_add_f64 v[23:24], v[25:26], -v[23:24]
	v_fma_f64 v[39:40], v[27:28], v[39:40], s[0:1]
	s_mov_b32 s0, 0x7c89e6b0
	s_mov_b32 s1, 0x3efa0199
	v_add_f64 v[29:30], v[35:36], -v[29:30]
	v_add_f64 v[37:38], v[37:38], -v[41:42]
	v_add_f64 v[15:16], v[15:16], s[14:15]
	s_mov_b32 s14, 0xd536f53c
	s_mov_b32 s15, 0x3fba46da
	v_add_f64 v[25:26], v[43:44], -v[31:32]
	v_mul_f64 v[23:24], v[23:24], 0.5
	v_fma_f64 v[39:40], v[27:28], v[39:40], s[0:1]
	s_mov_b32 s0, 0x14761f6e
	s_mov_b32 s1, 0x3f2a01a0
	v_add_f64 v[21:22], v[21:22], -v[29:30]
	v_fma_f64 v[17:18], v[7:8], v[15:16], -v[17:18]
	v_add_f64 v[45:46], v[43:44], -v[25:26]
	v_div_scale_f64 v[47:48], null, v[11:12], v[11:12], v[23:24]
	v_fma_f64 v[39:40], v[27:28], v[39:40], s[0:1]
	s_mov_b32 s0, 0x1852b7b0
	s_mov_b32 s1, 0x3f56c16c
	v_add_f64 v[25:26], v[35:36], -v[25:26]
	v_add_f64 v[17:18], v[17:18], s[14:15]
	s_mov_b32 s14, 0x469192e
	s_mov_b32 s15, 0xbfc694d1
	v_add_f64 v[29:30], v[31:32], -v[45:46]
	v_rcp_f64_e32 v[35:36], v[47:48]
	v_fma_f64 v[31:32], v[27:28], v[39:40], s[0:1]
	s_mov_b32 s0, 0x11122322
	s_mov_b32 s1, 0x3f811111
	v_add_f64 v[39:40], v[37:38], v[21:22]
	v_fma_f64 v[15:16], v[7:8], v[17:18], -v[15:16]
	v_add_f64 v[25:26], v[25:26], v[29:30]
	v_fma_f64 v[29:30], v[27:28], v[31:32], s[0:1]
	v_fma_f64 v[31:32], -v[47:48], v[35:36], 1.0
	s_mov_b32 s0, 0x555502a1
	s_mov_b32 s1, 0x3fa55555
	v_add_f64 v[41:42], v[39:40], -v[37:38]
	v_add_f64 v[15:16], v[15:16], s[14:15]
	s_mov_b32 s14, 0x724a7ffa
	s_mov_b32 s15, 0x3fd02a63
	v_add_f64 v[25:26], v[39:40], v[25:26]
	v_fma_f64 v[29:30], v[27:28], v[29:30], s[0:1]
	v_fma_f64 v[31:32], v[35:36], v[31:32], v[35:36]
	s_mov_b32 s0, 0x55555511
	s_mov_b32 s1, 0x3fc55555
	v_add_f64 v[35:36], v[39:40], -v[41:42]
	v_add_f64 v[21:22], v[21:22], -v[41:42]
	v_div_scale_f64 v[41:42], vcc_lo, v[23:24], v[11:12], v[23:24]
	v_fma_f64 v[7:8], v[7:8], v[15:16], -v[17:18]
	v_add_f64 v[39:40], v[43:44], v[25:26]
	v_fma_f64 v[29:30], v[27:28], v[29:30], s[0:1]
	v_fma_f64 v[15:16], -v[47:48], v[31:32], 1.0
	s_mov_b32 s0, 11
	s_mov_b32 s1, 0x3fe00000
	v_add_f64 v[35:36], v[37:38], -v[35:36]
	v_add_f64 v[7:8], v[7:8], s[14:15]
	v_add_f64 v[37:38], v[39:40], -v[43:44]
	v_fma_f64 v[29:30], v[27:28], v[29:30], s[0:1]
	v_fma_f64 v[15:16], v[31:32], v[15:16], v[31:32]
	v_cmp_neq_f64_e64 s0, 0, v[19:20]
	v_add_f64 v[21:22], v[21:22], v[35:36]
	v_add_f64 v[7:8], v[7:8], -v[17:18]
	v_add_f64 v[25:26], v[25:26], -v[37:38]
	v_fma_f64 v[29:30], v[27:28], v[29:30], 1.0
	v_mul_f64 v[17:18], v[41:42], v[15:16]
	v_mul_f64 v[7:8], v[7:8], 0.5
	v_add_f64 v[21:22], v[21:22], v[25:26]
	v_fma_f64 v[25:26], v[27:28], v[29:30], 1.0
	v_fma_f64 v[27:28], -v[47:48], v[17:18], v[41:42]
	v_mul_f64 v[7:8], v[11:12], v[7:8]
	v_add_f64 v[21:22], v[39:40], v[21:22]
	v_ldexp_f64 v[25:26], v[25:26], v9
	v_div_fmas_f64 v[15:16], v[27:28], v[15:16], v[17:18]
	v_cmp_neq_f64_e32 vcc_lo, 0x7ff00000, v[19:20]
	v_mul_f64 v[7:8], v[25:26], v[7:8]
	v_div_fixup_f64 v[11:12], v[15:16], v[11:12], v[23:24]
	v_cndmask_b32_e32 v9, 0x7ff00000, v22, vcc_lo
	s_and_b32 vcc_lo, s0, vcc_lo
	v_cndmask_b32_e32 v15, 0, v21, vcc_lo
	v_cndmask_b32_e64 v16, 0xfff00000, v9, s0
	v_fma_f64 v[8:9], v[15:16], v[7:8], v[11:12]
                                        ; implicit-def: $vgpr11_vgpr12
.LBB9_1583:
	s_andn2_saveexec_b32 s1, s7
	s_cbranch_execz .LBB9_1585
; %bb.1584:
	v_div_scale_f64 v[7:8], null, v[11:12], v[11:12], 0x40200000
	v_div_scale_f64 v[19:20], vcc_lo, 0x40200000, v[11:12], 0x40200000
	s_mov_b32 s14, 0x838f5ed3
	s_mov_b32 s15, 0x3c74af1a
	;; [unrolled: 1-line block ×4, first 2 shown]
	v_cmp_nlt_f64_e64 s0, 0x4090cc00, v[11:12]
	v_rcp_f64_e32 v[15:16], v[7:8]
	v_fma_f64 v[17:18], -v[7:8], v[15:16], 1.0
	v_fma_f64 v[15:16], v[15:16], v[17:18], v[15:16]
	v_fma_f64 v[17:18], -v[7:8], v[15:16], 1.0
	v_fma_f64 v[15:16], v[15:16], v[17:18], v[15:16]
	v_mul_f64 v[17:18], v[19:20], v[15:16]
	v_fma_f64 v[7:8], -v[7:8], v[17:18], v[19:20]
	v_div_fmas_f64 v[7:8], v[7:8], v[15:16], v[17:18]
	v_cmp_gt_f64_e32 vcc_lo, 0x10000000, v[11:12]
	v_div_fixup_f64 v[7:8], v[7:8], v[11:12], 0x40200000
	v_cndmask_b32_e64 v9, 0, 0x100, vcc_lo
	v_ldexp_f64 v[25:26], v[11:12], v9
	v_add_f64 v[7:8], v[7:8], -2.0
	v_rsq_f64_e32 v[27:28], v[25:26]
	v_fma_f64 v[15:16], v[7:8], s[16:17], s[14:15]
	s_mov_b32 s17, 0x3c5a8c5d
	s_mov_b32 s14, 0x17771d52
	;; [unrolled: 1-line block ×3, first 2 shown]
	v_mul_f64 v[29:30], v[25:26], v[27:28]
	v_mul_f64 v[27:28], v[27:28], 0.5
	v_fma_f64 v[17:18], v[7:8], v[15:16], s[16:17]
	s_mov_b32 s16, 0x6a5dcb37
	s_mov_b32 s17, 0x3e5ade15
	v_fma_f64 v[31:32], -v[27:28], v[29:30], 0.5
	v_add_f64 v[17:18], v[17:18], s[14:15]
	s_mov_b32 s14, 0x44ee2c0b
	s_mov_b32 s15, 0x3caa7d5e
	v_fma_f64 v[29:30], v[29:30], v[31:32], v[29:30]
	v_fma_f64 v[27:28], v[27:28], v[31:32], v[27:28]
	v_fma_f64 v[15:16], v[7:8], v[17:18], -v[15:16]
	v_fma_f64 v[31:32], -v[29:30], v[29:30], v[25:26]
	v_add_f64 v[15:16], v[15:16], s[14:15]
	s_mov_b32 s14, 0xd8758ef2
	s_mov_b32 s15, 0xbcc5d2a3
	v_fma_f64 v[17:18], v[7:8], v[15:16], -v[17:18]
	v_add_f64 v[17:18], v[17:18], s[14:15]
	s_mov_b32 s14, 0xefee81bd
	s_mov_b32 s15, 0x3ce25ced
	v_fma_f64 v[15:16], v[7:8], v[17:18], -v[15:16]
	;; [unrolled: 4-line block ×14, first 2 shown]
	v_add_f64 v[15:16], v[15:16], s[14:15]
	s_mov_b32 s14, 0x652b82fe
	s_mov_b32 s15, 0xbff71547
	v_mul_f64 v[19:20], v[11:12], s[14:15]
	s_mov_b32 s14, 0x8fada5c6
	s_mov_b32 s15, 0xbe978052
	v_fma_f64 v[17:18], v[7:8], v[15:16], -v[17:18]
	v_rndne_f64_e32 v[19:20], v[19:20]
	v_add_f64 v[17:18], v[17:18], s[14:15]
	s_mov_b32 s14, 0xfefa39ef
	s_mov_b32 s15, 0xbfe62e42
	v_fma_f64 v[21:22], v[19:20], s[14:15], -v[11:12]
	s_mov_b32 s14, 0x3b39803f
	s_mov_b32 s15, 0xbc7abc9e
	v_cvt_i32_f64_e32 v9, v[19:20]
	v_fma_f64 v[15:16], v[7:8], v[17:18], -v[15:16]
	v_fma_f64 v[21:22], v[19:20], s[14:15], v[21:22]
	s_mov_b32 s14, 0x1752d1b6
	s_mov_b32 s15, 0x3ec42fe3
	v_add_f64 v[15:16], v[15:16], s[14:15]
	s_mov_b32 s14, 0xfca7ab0c
	s_mov_b32 s15, 0x3e928af3
	v_fma_f64 v[23:24], v[21:22], s[16:17], s[14:15]
	s_mov_b32 s14, 0x623fde64
	s_mov_b32 s15, 0x3ec71dee
	v_fma_f64 v[17:18], v[7:8], v[15:16], -v[17:18]
	v_fma_f64 v[23:24], v[21:22], v[23:24], s[14:15]
	s_mov_b32 s14, 0x1dcdb2e5
	s_mov_b32 s15, 0xbef44d71
	v_add_f64 v[17:18], v[17:18], s[14:15]
	s_mov_b32 s14, 0x7c89e6b0
	s_mov_b32 s15, 0x3efa0199
	v_fma_f64 v[23:24], v[21:22], v[23:24], s[14:15]
	s_mov_b32 s14, 0x14761f6e
	s_mov_b32 s15, 0x3f2a01a0
	v_fma_f64 v[15:16], v[7:8], v[17:18], -v[15:16]
	v_fma_f64 v[23:24], v[21:22], v[23:24], s[14:15]
	s_mov_b32 s14, 0x88f6908e
	s_mov_b32 s15, 0x3f299658
	v_add_f64 v[15:16], v[15:16], s[14:15]
	s_mov_b32 s14, 0x1852b7b0
	s_mov_b32 s15, 0x3f56c16c
	v_fma_f64 v[23:24], v[21:22], v[23:24], s[14:15]
	s_mov_b32 s14, 0x11122322
	s_mov_b32 s15, 0x3f811111
	v_fma_f64 v[17:18], v[7:8], v[15:16], -v[17:18]
	v_fma_f64 v[23:24], v[21:22], v[23:24], s[14:15]
	s_mov_b32 s14, 0xbe66b48a
	s_mov_b32 s15, 0xbf676946
	v_add_f64 v[17:18], v[17:18], s[14:15]
	s_mov_b32 s14, 0x555502a1
	s_mov_b32 s15, 0x3fa55555
	v_fma_f64 v[23:24], v[21:22], v[23:24], s[14:15]
	s_mov_b32 s14, 0x55555511
	s_mov_b32 s15, 0x3fc55555
	v_fma_f64 v[15:16], v[7:8], v[17:18], -v[15:16]
	v_fma_f64 v[23:24], v[21:22], v[23:24], s[14:15]
	s_mov_b32 s14, 0xf9e023fb
	s_mov_b32 s15, 0x3fba9abe
	v_add_f64 v[15:16], v[15:16], s[14:15]
	s_mov_b32 s14, 11
	s_mov_b32 s15, 0x3fe00000
	v_fma_f64 v[23:24], v[21:22], v[23:24], s[14:15]
	s_mov_b32 s14, 0xaa062c8a
	s_mov_b32 s15, 0x4005c3d7
	v_fma_f64 v[7:8], v[7:8], v[15:16], -v[17:18]
	v_fma_f64 v[15:16], v[31:32], v[27:28], v[29:30]
	v_fma_f64 v[23:24], v[21:22], v[23:24], 1.0
	v_add_f64 v[7:8], v[7:8], s[14:15]
	v_fma_f64 v[29:30], -v[15:16], v[15:16], v[25:26]
	v_fma_f64 v[19:20], v[21:22], v[23:24], 1.0
	v_add_f64 v[7:8], v[7:8], -v[17:18]
	v_fma_f64 v[15:16], v[29:30], v[27:28], v[15:16]
	v_ldexp_f64 v[17:18], v[19:20], v9
	v_cndmask_b32_e64 v9, 0, 0xffffff80, vcc_lo
	v_cmp_class_f64_e64 vcc_lo, v[25:26], 0x260
	v_mul_f64 v[7:8], v[7:8], 0.5
	v_ldexp_f64 v[11:12], v[15:16], v9
	v_cndmask_b32_e64 v16, 0, v18, s0
	v_cndmask_b32_e64 v15, 0, v17, s0
	v_mul_f64 v[7:8], v[15:16], v[7:8]
	v_cndmask_b32_e32 v12, v12, v26, vcc_lo
	v_cndmask_b32_e32 v11, v11, v25, vcc_lo
	v_div_scale_f64 v[15:16], null, v[11:12], v[11:12], v[7:8]
	v_rcp_f64_e32 v[17:18], v[15:16]
	v_fma_f64 v[19:20], -v[15:16], v[17:18], 1.0
	v_fma_f64 v[17:18], v[17:18], v[19:20], v[17:18]
	v_fma_f64 v[19:20], -v[15:16], v[17:18], 1.0
	v_fma_f64 v[17:18], v[17:18], v[19:20], v[17:18]
	v_div_scale_f64 v[19:20], vcc_lo, v[7:8], v[11:12], v[7:8]
	v_mul_f64 v[21:22], v[19:20], v[17:18]
	v_fma_f64 v[15:16], -v[15:16], v[21:22], v[19:20]
	v_div_fmas_f64 v[15:16], v[15:16], v[17:18], v[21:22]
	v_div_fixup_f64 v[8:9], v[15:16], v[11:12], v[7:8]
.LBB9_1585:
	s_or_b32 exec_lo, exec_lo, s1
.LBB9_1586:
	s_or_b32 exec_lo, exec_lo, s6
.LBB9_1587:
	s_or_b32 exec_lo, exec_lo, s5
	v_add_co_u32 v11, s0, s10, v3
	v_add_co_ci_u32_e64 v12, null, s11, 0, s0
	s_cmp_lt_i32 s4, 11
	s_cbranch_scc1 .LBB9_1594
; %bb.1588:
	s_and_b32 s0, 0xffff, s4
	s_mov_b32 s5, 0
	s_cmp_gt_i32 s0, 25
	s_cbranch_scc0 .LBB9_1595
; %bb.1589:
	s_cmp_gt_i32 s0, 28
	s_cbranch_scc0 .LBB9_1596
; %bb.1590:
	;; [unrolled: 3-line block ×4, first 2 shown]
	s_cmp_eq_u32 s0, 46
	s_mov_b32 s7, 0
	s_cbranch_scc0 .LBB9_1600
; %bb.1593:
	global_load_dword v3, v[11:12], off
	s_mov_b32 s1, 0
	s_mov_b32 s6, -1
	s_waitcnt vmcnt(0)
	v_lshlrev_b32_e32 v3, 16, v3
	v_cvt_f64_f32_e32 v[15:16], v3
	s_branch .LBB9_1602
.LBB9_1594:
	s_mov_b32 s0, -1
	s_mov_b32 s6, 0
                                        ; implicit-def: $vgpr15_vgpr16
	s_branch .LBB9_1668
.LBB9_1595:
	s_mov_b32 s7, -1
	s_mov_b32 s6, 0
	s_mov_b32 s1, 0
                                        ; implicit-def: $vgpr15_vgpr16
	s_branch .LBB9_1633
.LBB9_1596:
	s_mov_b32 s7, -1
	s_mov_b32 s6, 0
	s_mov_b32 s1, 0
                                        ; implicit-def: $vgpr15_vgpr16
	s_branch .LBB9_1612
.LBB9_1597:
	s_mov_b32 s7, -1
	s_mov_b32 s6, 0
	s_mov_b32 s1, 0
                                        ; implicit-def: $vgpr15_vgpr16
	s_branch .LBB9_1607
.LBB9_1598:
	s_or_b32 s2, s2, exec_lo
	s_trap 2
	s_cbranch_execz .LBB9_1529
	s_branch .LBB9_1530
.LBB9_1599:
	s_mov_b32 s7, -1
	s_mov_b32 s6, 0
	s_mov_b32 s1, 0
	s_branch .LBB9_1601
.LBB9_1600:
	s_mov_b32 s1, -1
	s_mov_b32 s6, 0
.LBB9_1601:
                                        ; implicit-def: $vgpr15_vgpr16
.LBB9_1602:
	s_and_b32 vcc_lo, exec_lo, s7
	s_cbranch_vccz .LBB9_1606
; %bb.1603:
	s_cmp_eq_u32 s0, 44
	s_cbranch_scc0 .LBB9_1605
; %bb.1604:
	global_load_ubyte v3, v[11:12], off
	s_mov_b32 s1, 0
	s_mov_b32 s6, -1
	s_waitcnt vmcnt(0)
	v_lshlrev_b32_e32 v7, 23, v3
	v_cmp_ne_u32_e32 vcc_lo, 0xff, v3
	v_cvt_f64_f32_e32 v[15:16], v7
	v_cndmask_b32_e32 v7, 0x20000000, v15, vcc_lo
	v_cndmask_b32_e32 v13, 0x7ff80000, v16, vcc_lo
	v_cmp_ne_u32_e32 vcc_lo, 0, v3
	v_cndmask_b32_e32 v16, 0x38000000, v13, vcc_lo
	v_cndmask_b32_e32 v15, 0, v7, vcc_lo
	s_branch .LBB9_1606
.LBB9_1605:
	s_mov_b32 s1, -1
                                        ; implicit-def: $vgpr15_vgpr16
.LBB9_1606:
	s_mov_b32 s7, 0
.LBB9_1607:
	s_and_b32 vcc_lo, exec_lo, s7
	s_cbranch_vccz .LBB9_1611
; %bb.1608:
	s_cmp_eq_u32 s0, 29
	s_cbranch_scc0 .LBB9_1610
; %bb.1609:
	global_load_dwordx2 v[15:16], v[11:12], off
	s_mov_b32 s1, 0
	s_mov_b32 s6, -1
	s_mov_b32 s7, 0
	s_waitcnt vmcnt(0)
	v_cvt_f64_u32_e32 v[16:17], v16
	v_cvt_f64_u32_e32 v[18:19], v15
	v_ldexp_f64 v[16:17], v[16:17], 32
	v_add_f64 v[15:16], v[16:17], v[18:19]
	s_branch .LBB9_1612
.LBB9_1610:
	s_mov_b32 s1, -1
                                        ; implicit-def: $vgpr15_vgpr16
.LBB9_1611:
	s_mov_b32 s7, 0
.LBB9_1612:
	s_and_b32 vcc_lo, exec_lo, s7
	s_cbranch_vccz .LBB9_1632
; %bb.1613:
	s_cmp_lt_i32 s0, 27
	s_cbranch_scc1 .LBB9_1616
; %bb.1614:
	s_cmp_gt_i32 s0, 27
	s_cbranch_scc0 .LBB9_1617
; %bb.1615:
	global_load_dword v3, v[11:12], off
	s_mov_b32 s6, 0
	s_waitcnt vmcnt(0)
	v_cvt_f64_u32_e32 v[15:16], v3
	s_branch .LBB9_1618
.LBB9_1616:
	s_mov_b32 s6, -1
                                        ; implicit-def: $vgpr15_vgpr16
	s_branch .LBB9_1621
.LBB9_1617:
	s_mov_b32 s6, -1
                                        ; implicit-def: $vgpr15_vgpr16
.LBB9_1618:
	s_andn2_b32 vcc_lo, exec_lo, s6
	s_cbranch_vccnz .LBB9_1620
; %bb.1619:
	global_load_ushort v3, v[11:12], off
	s_waitcnt vmcnt(0)
	v_cvt_f64_u32_e32 v[15:16], v3
.LBB9_1620:
	s_mov_b32 s6, 0
.LBB9_1621:
	s_andn2_b32 vcc_lo, exec_lo, s6
	s_cbranch_vccnz .LBB9_1631
; %bb.1622:
	global_load_ubyte v3, v[11:12], off
	s_mov_b32 s6, 0
	s_mov_b32 s7, exec_lo
	s_waitcnt vmcnt(0)
	v_cmpx_lt_i16_e32 0x7f, v3
	s_xor_b32 s7, exec_lo, s7
	s_cbranch_execz .LBB9_1626
; %bb.1623:
	s_mov_b32 s6, -1
	s_mov_b32 s10, exec_lo
	v_cmpx_eq_u16_e32 0x80, v3
; %bb.1624:
	s_xor_b32 s6, exec_lo, -1
; %bb.1625:
	s_or_b32 exec_lo, exec_lo, s10
	s_and_b32 s6, s6, exec_lo
.LBB9_1626:
	s_or_saveexec_b32 s7, s7
	v_bfrev_b32_e32 v15, 4
	v_mov_b32_e32 v16, 0x7ff80000
	s_xor_b32 exec_lo, exec_lo, s7
; %bb.1627:
	v_cmp_ne_u16_e32 vcc_lo, 0, v3
	v_mov_b32_e32 v15, 0
	v_mov_b32_e32 v16, 0
	s_andn2_b32 s6, s6, exec_lo
	s_and_b32 s10, vcc_lo, exec_lo
	s_or_b32 s6, s6, s10
; %bb.1628:
	s_or_b32 exec_lo, exec_lo, s7
	s_and_saveexec_b32 s7, s6
	s_cbranch_execz .LBB9_1630
; %bb.1629:
	v_and_b32_e32 v7, 0xffff, v3
	v_lshlrev_b32_e32 v3, 24, v3
	v_and_b32_e32 v13, 7, v7
	v_bfe_u32 v17, v7, 3, 4
	v_and_b32_e32 v3, 0x80000000, v3
	v_ffbh_u32_e32 v15, v13
	v_cmp_eq_u32_e32 vcc_lo, 0, v17
	v_min_u32_e32 v15, 32, v15
	v_subrev_nc_u32_e32 v16, 28, v15
	v_sub_nc_u32_e32 v15, 29, v15
	v_lshlrev_b32_e32 v7, v16, v7
	v_cndmask_b32_e32 v15, v17, v15, vcc_lo
	v_and_b32_e32 v7, 7, v7
	v_cndmask_b32_e32 v7, v13, v7, vcc_lo
	v_lshl_add_u32 v13, v15, 23, 0x3b800000
	v_lshlrev_b32_e32 v7, 20, v7
	v_or3_b32 v3, v3, v13, v7
	v_cvt_f64_f32_e32 v[15:16], v3
.LBB9_1630:
	s_or_b32 exec_lo, exec_lo, s7
.LBB9_1631:
	s_mov_b32 s6, -1
.LBB9_1632:
	s_mov_b32 s7, 0
.LBB9_1633:
	s_and_b32 vcc_lo, exec_lo, s7
	s_cbranch_vccz .LBB9_1664
; %bb.1634:
	s_cmp_gt_i32 s0, 22
	s_cbranch_scc0 .LBB9_1646
; %bb.1635:
	s_cmp_lt_i32 s0, 24
	s_cbranch_scc1 .LBB9_1647
; %bb.1636:
	s_cmp_gt_i32 s0, 24
	s_cbranch_scc0 .LBB9_1648
; %bb.1637:
	global_load_ubyte v3, v[11:12], off
	s_mov_b32 s6, exec_lo
	s_waitcnt vmcnt(0)
	v_cmpx_lt_i16_e32 0x7f, v3
	s_xor_b32 s6, exec_lo, s6
	s_cbranch_execz .LBB9_1641
; %bb.1638:
	s_mov_b32 s5, -1
	s_mov_b32 s7, exec_lo
	v_cmpx_eq_u16_e32 0x80, v3
; %bb.1639:
	s_xor_b32 s5, exec_lo, -1
; %bb.1640:
	s_or_b32 exec_lo, exec_lo, s7
	s_and_b32 s5, s5, exec_lo
.LBB9_1641:
	s_or_saveexec_b32 s6, s6
	v_bfrev_b32_e32 v15, 4
	v_mov_b32_e32 v16, 0x7ff80000
	s_xor_b32 exec_lo, exec_lo, s6
; %bb.1642:
	v_cmp_ne_u16_e32 vcc_lo, 0, v3
	v_mov_b32_e32 v15, 0
	v_mov_b32_e32 v16, 0
	s_andn2_b32 s5, s5, exec_lo
	s_and_b32 s7, vcc_lo, exec_lo
	s_or_b32 s5, s5, s7
; %bb.1643:
	s_or_b32 exec_lo, exec_lo, s6
	s_and_saveexec_b32 s6, s5
	s_cbranch_execz .LBB9_1645
; %bb.1644:
	v_and_b32_e32 v7, 0xffff, v3
	v_lshlrev_b32_e32 v3, 24, v3
	v_and_b32_e32 v13, 3, v7
	v_bfe_u32 v17, v7, 2, 5
	v_and_b32_e32 v3, 0x80000000, v3
	v_ffbh_u32_e32 v15, v13
	v_cmp_eq_u32_e32 vcc_lo, 0, v17
	v_min_u32_e32 v15, 32, v15
	v_subrev_nc_u32_e32 v16, 29, v15
	v_sub_nc_u32_e32 v15, 30, v15
	v_lshlrev_b32_e32 v7, v16, v7
	v_cndmask_b32_e32 v15, v17, v15, vcc_lo
	v_and_b32_e32 v7, 3, v7
	v_cndmask_b32_e32 v7, v13, v7, vcc_lo
	v_lshl_add_u32 v13, v15, 23, 0x37800000
	v_lshlrev_b32_e32 v7, 21, v7
	v_or3_b32 v3, v3, v13, v7
	v_cvt_f64_f32_e32 v[15:16], v3
.LBB9_1645:
	s_or_b32 exec_lo, exec_lo, s6
	s_mov_b32 s5, 0
	s_branch .LBB9_1649
.LBB9_1646:
	s_mov_b32 s5, -1
                                        ; implicit-def: $vgpr15_vgpr16
	s_branch .LBB9_1655
.LBB9_1647:
	s_mov_b32 s5, -1
                                        ; implicit-def: $vgpr15_vgpr16
	s_branch .LBB9_1652
.LBB9_1648:
	s_mov_b32 s5, -1
                                        ; implicit-def: $vgpr15_vgpr16
.LBB9_1649:
	s_and_b32 vcc_lo, exec_lo, s5
	s_cbranch_vccz .LBB9_1651
; %bb.1650:
	global_load_ubyte v3, v[11:12], off
	s_waitcnt vmcnt(0)
	v_lshlrev_b32_e32 v3, 24, v3
	v_and_b32_e32 v7, 0x7f000000, v3
	v_ffbh_u32_e32 v13, v7
	v_add_nc_u32_e32 v16, 0x1000000, v7
	v_cmp_ne_u32_e32 vcc_lo, 0, v7
	v_min_u32_e32 v13, 32, v13
	v_sub_nc_u32_e64 v13, v13, 4 clamp
	v_lshlrev_b32_e32 v15, v13, v7
	v_lshlrev_b32_e32 v13, 23, v13
	v_lshrrev_b32_e32 v15, 4, v15
	v_sub_nc_u32_e32 v13, v15, v13
	v_ashrrev_i32_e32 v15, 8, v16
	v_add_nc_u32_e32 v13, 0x3c000000, v13
	v_and_or_b32 v13, 0x7f800000, v15, v13
	v_cndmask_b32_e32 v7, 0, v13, vcc_lo
	v_and_or_b32 v3, 0x80000000, v3, v7
	v_cvt_f64_f32_e32 v[15:16], v3
.LBB9_1651:
	s_mov_b32 s5, 0
.LBB9_1652:
	s_andn2_b32 vcc_lo, exec_lo, s5
	s_cbranch_vccnz .LBB9_1654
; %bb.1653:
	global_load_ubyte v3, v[11:12], off
	s_waitcnt vmcnt(0)
	v_lshlrev_b32_e32 v7, 25, v3
	v_lshlrev_b16 v3, 8, v3
	v_lshrrev_b32_e32 v13, 4, v7
	v_and_or_b32 v15, 0x7f00, v3, 0.5
	v_cmp_gt_u32_e32 vcc_lo, 0x8000000, v7
	v_bfe_i32 v3, v3, 0, 16
	v_or_b32_e32 v13, 0x70000000, v13
	v_add_f32_e32 v15, -0.5, v15
	v_mul_f32_e32 v13, 0x7800000, v13
	v_cndmask_b32_e32 v7, v13, v15, vcc_lo
	v_and_or_b32 v3, 0x80000000, v3, v7
	v_cvt_f64_f32_e32 v[15:16], v3
.LBB9_1654:
	s_mov_b32 s5, 0
	s_mov_b32 s6, -1
.LBB9_1655:
	s_andn2_b32 vcc_lo, exec_lo, s5
	s_mov_b32 s5, 0
	s_cbranch_vccnz .LBB9_1664
; %bb.1656:
	s_cmp_gt_i32 s0, 14
	s_cbranch_scc0 .LBB9_1659
; %bb.1657:
	s_cmp_eq_u32 s0, 15
	s_cbranch_scc0 .LBB9_1660
; %bb.1658:
	global_load_ushort v3, v[11:12], off
	s_mov_b32 s1, 0
	s_mov_b32 s6, -1
	s_waitcnt vmcnt(0)
	v_lshlrev_b32_e32 v3, 16, v3
	v_cvt_f64_f32_e32 v[15:16], v3
	s_branch .LBB9_1662
.LBB9_1659:
	s_mov_b32 s5, -1
	s_branch .LBB9_1661
.LBB9_1660:
	s_mov_b32 s1, -1
.LBB9_1661:
                                        ; implicit-def: $vgpr15_vgpr16
.LBB9_1662:
	s_and_b32 vcc_lo, exec_lo, s5
	s_mov_b32 s5, 0
	s_cbranch_vccz .LBB9_1664
; %bb.1663:
	s_cmp_lg_u32 s0, 11
	s_mov_b32 s5, -1
	s_cselect_b32 s1, -1, 0
.LBB9_1664:
	s_and_b32 vcc_lo, exec_lo, s1
	s_cbranch_vccnz .LBB9_2206
; %bb.1665:
	s_andn2_b32 vcc_lo, exec_lo, s5
	s_cbranch_vccnz .LBB9_1667
.LBB9_1666:
	global_load_ubyte v3, v[11:12], off
	v_mov_b32_e32 v15, 0
	s_mov_b32 s6, -1
	s_waitcnt vmcnt(0)
	v_cmp_ne_u16_e32 vcc_lo, 0, v3
	v_cndmask_b32_e64 v16, 0, 0x3ff00000, vcc_lo
.LBB9_1667:
	s_mov_b32 s0, 0
.LBB9_1668:
	s_and_b32 vcc_lo, exec_lo, s0
	s_cbranch_vccz .LBB9_1717
; %bb.1669:
	s_and_b32 s0, 0xffff, s4
	s_cmp_lt_i32 s0, 5
	s_cbranch_scc1 .LBB9_1674
; %bb.1670:
	s_cmp_lt_i32 s0, 8
	s_cbranch_scc1 .LBB9_1675
; %bb.1671:
	;; [unrolled: 3-line block ×3, first 2 shown]
	s_cmp_gt_i32 s0, 9
	s_cbranch_scc0 .LBB9_1677
; %bb.1673:
	global_load_dwordx2 v[15:16], v[11:12], off
	s_mov_b32 s1, 0
	s_branch .LBB9_1678
.LBB9_1674:
	s_mov_b32 s1, -1
                                        ; implicit-def: $vgpr15_vgpr16
	s_branch .LBB9_1696
.LBB9_1675:
	s_mov_b32 s1, -1
                                        ; implicit-def: $vgpr15_vgpr16
	s_branch .LBB9_1684
.LBB9_1676:
	s_mov_b32 s1, -1
                                        ; implicit-def: $vgpr15_vgpr16
	s_branch .LBB9_1681
.LBB9_1677:
	s_mov_b32 s1, -1
                                        ; implicit-def: $vgpr15_vgpr16
.LBB9_1678:
	s_andn2_b32 vcc_lo, exec_lo, s1
	s_cbranch_vccnz .LBB9_1680
; %bb.1679:
	global_load_dword v3, v[11:12], off
	s_waitcnt vmcnt(0)
	v_cvt_f64_f32_e32 v[15:16], v3
.LBB9_1680:
	s_mov_b32 s1, 0
.LBB9_1681:
	s_andn2_b32 vcc_lo, exec_lo, s1
	s_cbranch_vccnz .LBB9_1683
; %bb.1682:
	global_load_dword v3, v[11:12], off
	s_waitcnt vmcnt(0)
	v_cvt_f32_f16_e32 v3, v3
	v_cvt_f64_f32_e32 v[15:16], v3
.LBB9_1683:
	s_mov_b32 s1, 0
.LBB9_1684:
	s_andn2_b32 vcc_lo, exec_lo, s1
	s_cbranch_vccnz .LBB9_1695
; %bb.1685:
	s_cmp_lt_i32 s0, 6
	s_cbranch_scc1 .LBB9_1688
; %bb.1686:
	s_cmp_gt_i32 s0, 6
	s_cbranch_scc0 .LBB9_1689
; %bb.1687:
	global_load_dwordx2 v[15:16], v[11:12], off
	s_mov_b32 s1, 0
	s_branch .LBB9_1690
.LBB9_1688:
	s_mov_b32 s1, -1
                                        ; implicit-def: $vgpr15_vgpr16
	s_branch .LBB9_1693
.LBB9_1689:
	s_mov_b32 s1, -1
                                        ; implicit-def: $vgpr15_vgpr16
.LBB9_1690:
	s_andn2_b32 vcc_lo, exec_lo, s1
	s_cbranch_vccnz .LBB9_1692
; %bb.1691:
	global_load_dword v3, v[11:12], off
	s_waitcnt vmcnt(0)
	v_cvt_f64_f32_e32 v[15:16], v3
.LBB9_1692:
	s_mov_b32 s1, 0
.LBB9_1693:
	s_andn2_b32 vcc_lo, exec_lo, s1
	s_cbranch_vccnz .LBB9_1695
; %bb.1694:
	global_load_ushort v3, v[11:12], off
	s_waitcnt vmcnt(0)
	v_cvt_f32_f16_e32 v3, v3
	v_cvt_f64_f32_e32 v[15:16], v3
.LBB9_1695:
	s_mov_b32 s1, 0
.LBB9_1696:
	s_andn2_b32 vcc_lo, exec_lo, s1
	s_cbranch_vccnz .LBB9_1716
; %bb.1697:
	s_cmp_lt_i32 s0, 2
	s_cbranch_scc1 .LBB9_1701
; %bb.1698:
	s_cmp_lt_i32 s0, 3
	s_cbranch_scc1 .LBB9_1702
; %bb.1699:
	s_cmp_gt_i32 s0, 3
	s_cbranch_scc0 .LBB9_1703
; %bb.1700:
	global_load_dwordx2 v[15:16], v[11:12], off
	s_mov_b32 s1, 0
	s_waitcnt vmcnt(0)
	v_cvt_f64_i32_e32 v[16:17], v16
	v_cvt_f64_u32_e32 v[18:19], v15
	v_ldexp_f64 v[16:17], v[16:17], 32
	v_add_f64 v[15:16], v[16:17], v[18:19]
	s_branch .LBB9_1704
.LBB9_1701:
	s_mov_b32 s1, -1
                                        ; implicit-def: $vgpr15_vgpr16
	s_branch .LBB9_1710
.LBB9_1702:
	s_mov_b32 s1, -1
                                        ; implicit-def: $vgpr15_vgpr16
	s_branch .LBB9_1707
.LBB9_1703:
	s_mov_b32 s1, -1
                                        ; implicit-def: $vgpr15_vgpr16
.LBB9_1704:
	s_andn2_b32 vcc_lo, exec_lo, s1
	s_cbranch_vccnz .LBB9_1706
; %bb.1705:
	global_load_dword v3, v[11:12], off
	s_waitcnt vmcnt(0)
	v_cvt_f64_i32_e32 v[15:16], v3
.LBB9_1706:
	s_mov_b32 s1, 0
.LBB9_1707:
	s_andn2_b32 vcc_lo, exec_lo, s1
	s_cbranch_vccnz .LBB9_1709
; %bb.1708:
	global_load_sshort v3, v[11:12], off
	s_waitcnt vmcnt(0)
	v_cvt_f64_i32_e32 v[15:16], v3
.LBB9_1709:
	s_mov_b32 s1, 0
.LBB9_1710:
	s_andn2_b32 vcc_lo, exec_lo, s1
	s_cbranch_vccnz .LBB9_1716
; %bb.1711:
	s_cmp_gt_i32 s0, 0
	s_mov_b32 s0, 0
	s_cbranch_scc0 .LBB9_1713
; %bb.1712:
	global_load_sbyte v3, v[11:12], off
	s_waitcnt vmcnt(0)
	v_cvt_f64_i32_e32 v[15:16], v3
	s_branch .LBB9_1714
.LBB9_1713:
	s_mov_b32 s0, -1
                                        ; implicit-def: $vgpr15_vgpr16
.LBB9_1714:
	s_andn2_b32 vcc_lo, exec_lo, s0
	s_cbranch_vccnz .LBB9_1716
; %bb.1715:
	global_load_ubyte v3, v[11:12], off
	s_waitcnt vmcnt(0)
	v_cvt_f64_u32_e32 v[15:16], v3
.LBB9_1716:
	s_mov_b32 s6, -1
.LBB9_1717:
	s_andn2_b32 vcc_lo, exec_lo, s6
	s_cbranch_vccnz .LBB9_1804
; %bb.1718:
	v_mov_b32_e32 v12, 0
	v_mov_b32_e32 v13, 0x7ff00000
	s_mov_b32 s4, exec_lo
	s_waitcnt vmcnt(0)
	v_cmpx_neq_f64_e32 0, v[15:16]
	s_cbranch_execz .LBB9_1726
; %bb.1719:
	v_mov_b32_e32 v12, 0
	v_mov_b32_e32 v13, 0x7ff80000
	s_mov_b32 s5, exec_lo
	v_cmpx_ngt_f64_e32 0, v[15:16]
	s_cbranch_execz .LBB9_1725
; %bb.1720:
                                        ; implicit-def: $vgpr12_vgpr13
	s_mov_b32 s0, exec_lo
	v_cmpx_ge_f64_e32 2.0, v[15:16]
	s_xor_b32 s6, exec_lo, s0
	s_cbranch_execz .LBB9_1722
; %bb.1721:
	v_fma_f64 v[11:12], v[15:16], 0.5, -2.0
	s_mov_b32 s0, 0xc38a0576
	s_mov_b32 s1, 0xbc7857d0
	;; [unrolled: 1-line block ×4, first 2 shown]
	v_mul_f64 v[21:22], v[15:16], 0.5
	v_fma_f64 v[37:38], v[15:16], v[15:16], -2.0
	s_mov_b32 s15, 0xbc603228
	s_mov_b32 s14, 0x3d3cda56
	s_mov_b32 s16, 0x8363992a
	s_mov_b32 s17, 0xbeacc079
	v_fma_f64 v[17:18], v[11:12], s[10:11], s[0:1]
	s_mov_b32 s11, 0xbc499f2a
	s_mov_b32 s0, 0xe593bfac
	;; [unrolled: 1-line block ×3, first 2 shown]
	v_frexp_mant_f64_e32 v[23:24], v[21:22]
	v_fma_f64 v[19:20], v[11:12], v[17:18], s[10:11]
	s_mov_b32 s10, 0x97eb07de
	s_mov_b32 s11, 0xbdd25103
	v_add_f64 v[19:20], v[19:20], s[0:1]
	s_mov_b32 s0, 0x7e0d1573
	s_mov_b32 s1, 0xbcd3eaaa
	v_fma_f64 v[17:18], v[11:12], v[19:20], -v[17:18]
	v_add_f64 v[17:18], v[17:18], s[0:1]
	s_mov_b32 s0, 0x615290c
	s_mov_b32 s1, 0x3d011d7f
	v_fma_f64 v[19:20], v[11:12], v[17:18], -v[19:20]
	;; [unrolled: 4-line block ×6, first 2 shown]
	v_add_f64 v[19:20], v[19:20], s[0:1]
	s_mov_b32 s1, 0x3fe55555
	s_mov_b32 s0, 0x55555555
	v_cmp_gt_f64_e32 vcc_lo, s[0:1], v[23:24]
	s_mov_b32 s0, 0x55555780
	v_fma_f64 v[17:18], v[11:12], v[19:20], -v[17:18]
	v_cndmask_b32_e64 v3, 0, 1, vcc_lo
	v_ldexp_f64 v[23:24], v[23:24], v3
	v_frexp_exp_i32_f64_e32 v3, v[21:22]
	v_add_f64 v[17:18], v[17:18], s[10:11]
	s_mov_b32 s10, 0xb43fdf6c
	s_mov_b32 s11, 0x3df8ea34
	v_add_f64 v[25:26], v[23:24], 1.0
	v_add_f64 v[31:32], v[23:24], -1.0
	v_subrev_co_ci_u32_e64 v3, null, 0, v3, vcc_lo
	v_fma_f64 v[19:20], v[11:12], v[17:18], -v[19:20]
	v_rcp_f64_e32 v[27:28], v[25:26]
	v_add_f64 v[33:34], v[25:26], -1.0
	v_add_f64 v[19:20], v[19:20], s[10:11]
	s_mov_b32 s10, 0x28ea67e6
	s_mov_b32 s11, 0xbe20361b
	v_add_f64 v[23:24], v[23:24], -v[33:34]
	v_fma_f64 v[29:30], -v[25:26], v[27:28], 1.0
	v_fma_f64 v[17:18], v[11:12], v[19:20], -v[17:18]
	v_fma_f64 v[27:28], v[29:30], v[27:28], v[27:28]
	v_add_f64 v[17:18], v[17:18], s[10:11]
	s_mov_b32 s10, 0x2395010
	s_mov_b32 s11, 0x3e44258e
	v_fma_f64 v[29:30], -v[25:26], v[27:28], 1.0
	v_fma_f64 v[19:20], v[11:12], v[17:18], -v[19:20]
	v_fma_f64 v[27:28], v[29:30], v[27:28], v[27:28]
	v_add_f64 v[19:20], v[19:20], s[10:11]
	s_mov_b32 s10, 0x24b8c3e8
	s_mov_b32 s11, 0xbe67dd3e
	v_mul_f64 v[29:30], v[31:32], v[27:28]
	v_fma_f64 v[17:18], v[11:12], v[19:20], -v[17:18]
	v_mul_f64 v[35:36], v[25:26], v[29:30]
	v_add_f64 v[17:18], v[17:18], s[10:11]
	s_mov_b32 s10, 0xb347d108
	s_mov_b32 s11, 0x3e8ae344
	v_fma_f64 v[25:26], v[29:30], v[25:26], -v[35:36]
	v_fma_f64 v[19:20], v[11:12], v[17:18], -v[19:20]
	v_fma_f64 v[23:24], v[29:30], v[23:24], v[25:26]
	v_add_f64 v[19:20], v[19:20], s[10:11]
	s_mov_b32 s10, 0x7a0399e0
	s_mov_b32 s11, 0xbce5dd51
	v_fma_f64 v[39:40], v[37:38], s[14:15], s[10:11]
	s_mov_b32 s15, 0x3c603228
	s_mov_b32 s10, 0xddd0e045
	;; [unrolled: 1-line block ×3, first 2 shown]
	v_add_f64 v[25:26], v[35:36], v[23:24]
	v_fma_f64 v[17:18], v[11:12], v[19:20], -v[17:18]
	v_add_f64 v[33:34], v[31:32], -v[25:26]
	v_add_f64 v[35:36], v[25:26], -v[35:36]
	v_add_f64 v[17:18], v[17:18], s[16:17]
	s_mov_b32 s16, 0xd3d694fe
	s_mov_b32 s17, 0xbf2533ca
	v_add_f64 v[31:32], v[31:32], -v[33:34]
	v_add_f64 v[23:24], v[35:36], -v[23:24]
	v_fma_f64 v[19:20], v[11:12], v[17:18], -v[19:20]
	v_add_f64 v[25:26], v[31:32], -v[25:26]
	v_fma_f64 v[31:32], v[37:38], v[39:40], s[14:15]
	s_mov_b32 s14, 0xd511afc5
	s_mov_b32 s15, 0x3ecd1c4e
	v_add_f64 v[19:20], v[19:20], s[14:15]
	s_mov_b32 s14, 0xb8debbcf
	s_mov_b32 s15, 0xbeebd5f9
	v_add_f64 v[23:24], v[23:24], v[25:26]
	v_add_f64 v[25:26], v[31:32], s[10:11]
	s_mov_b32 s10, 0xb84626ca
	s_mov_b32 s11, 0xbde3663b
	v_fma_f64 v[17:18], v[11:12], v[19:20], -v[17:18]
	v_add_f64 v[23:24], v[33:34], v[23:24]
	v_fma_f64 v[31:32], v[37:38], v[25:26], -v[39:40]
	v_add_f64 v[17:18], v[17:18], s[14:15]
	s_mov_b32 s14, 0x42c70d0b
	s_mov_b32 s15, 0x3f0911b5
	v_mul_f64 v[23:24], v[27:28], v[23:24]
	v_add_f64 v[27:28], v[31:32], s[10:11]
	s_mov_b32 s10, 0x145c31d0
	s_mov_b32 s11, 0xbe57c41d
	v_fma_f64 v[19:20], v[11:12], v[17:18], -v[19:20]
	v_add_f64 v[31:32], v[29:30], v[23:24]
	v_fma_f64 v[25:26], v[37:38], v[27:28], -v[25:26]
	v_add_f64 v[19:20], v[19:20], s[14:15]
	s_mov_b32 s14, 0xbf559e2b
	s_mov_b32 s15, 0x3fc3ab76
	v_mul_f64 v[33:34], v[31:32], v[31:32]
	v_add_f64 v[25:26], v[25:26], s[10:11]
	s_mov_b32 s10, 0x6b47b09a
	s_mov_b32 s11, 0x3fc38538
	v_add_f64 v[29:30], v[31:32], -v[29:30]
	v_fma_f64 v[17:18], v[11:12], v[19:20], -v[17:18]
	v_fma_f64 v[35:36], v[33:34], s[14:15], s[10:11]
	v_fma_f64 v[27:28], v[37:38], v[25:26], -v[27:28]
	s_mov_b32 s10, 0x2c832e3a
	s_mov_b32 s11, 0xbec469b3
	s_mov_b32 s14, 0xd7f4df2e
	s_mov_b32 s15, 0x3fc7474d
	v_mul_f64 v[39:40], v[31:32], v[33:34]
	v_add_f64 v[23:24], v[23:24], -v[29:30]
	v_add_f64 v[17:18], v[17:18], s[16:17]
	s_mov_b32 s16, 0xb6c6df7d
	s_mov_b32 s17, 0x3f40c95d
	v_fma_f64 v[35:36], v[33:34], v[35:36], s[14:15]
	v_add_f64 v[27:28], v[27:28], s[10:11]
	s_mov_b32 s10, 0x16291751
	s_mov_b32 s11, 0x3fcc71c0
	;; [unrolled: 1-line block ×4, first 2 shown]
	v_ldexp_f64 v[23:24], v[23:24], 1
	v_fma_f64 v[19:20], v[11:12], v[17:18], -v[19:20]
	v_fma_f64 v[35:36], v[33:34], v[35:36], s[10:11]
	v_fma_f64 v[25:26], v[37:38], v[27:28], -v[25:26]
	s_mov_b32 s10, 0xe5a3bd02
	s_mov_b32 s11, 0xbf26ade2
	v_add_f64 v[19:20], v[19:20], s[16:17]
	s_mov_b32 s16, 0xe7bb2349
	s_mov_b32 s17, 0x3f9951e3
	v_fma_f64 v[35:36], v[33:34], v[35:36], s[14:15]
	v_add_f64 v[25:26], v[25:26], s[10:11]
	s_mov_b32 s10, 0x998ef7b6
	s_mov_b32 s11, 0x3fd99999
	;; [unrolled: 1-line block ×4, first 2 shown]
	v_fma_f64 v[17:18], v[11:12], v[19:20], -v[17:18]
	v_fma_f64 v[35:36], v[33:34], v[35:36], s[10:11]
	v_fma_f64 v[27:28], v[37:38], v[25:26], -v[27:28]
	s_mov_b32 s10, 0x9d7d4192
	s_mov_b32 s11, 0xbf7c9293
	v_add_f64 v[17:18], v[17:18], s[14:15]
	s_mov_b32 s14, 0x49d3a1b4
	s_mov_b32 s15, 0x3f710653
	v_fma_f64 v[33:34], v[33:34], v[35:36], s[0:1]
	v_add_f64 v[27:28], v[27:28], s[10:11]
	v_ldexp_f64 v[35:36], v[31:32], 1
	s_mov_b32 s0, 0x43c1db74
	s_mov_b32 s1, 0xbfbf6372
	;; [unrolled: 1-line block ×4, first 2 shown]
	v_mul_f64 v[41:42], v[15:16], s[10:11]
	s_mov_b32 s10, 0x757b0dd4
	s_mov_b32 s11, 0xbfd69a1b
	v_fma_f64 v[19:20], v[11:12], v[17:18], -v[19:20]
	v_mul_f64 v[33:34], v[39:40], v[33:34]
	v_fma_f64 v[25:26], v[37:38], v[27:28], -v[25:26]
	v_cvt_f64_i32_e32 v[39:40], v3
	v_add_f64 v[19:20], v[19:20], s[14:15]
	s_mov_b32 s14, 0x7913a26a
	s_mov_b32 s15, 0xbf85a29f
	v_add_f64 v[31:32], v[35:36], v[33:34]
	v_add_f64 v[25:26], v[25:26], s[0:1]
	s_mov_b32 s1, 0x3fe62e42
	s_mov_b32 s0, 0xfefa39ef
	v_mul_f64 v[43:44], v[39:40], s[0:1]
	v_fma_f64 v[17:18], v[11:12], v[19:20], -v[17:18]
	v_add_f64 v[29:30], v[31:32], -v[35:36]
	v_fma_f64 v[27:28], v[37:38], v[25:26], -v[27:28]
	v_rndne_f64_e32 v[35:36], v[41:42]
	v_fma_f64 v[41:42], v[39:40], s[0:1], -v[43:44]
	s_mov_b32 s1, 0xbfe62e42
	v_add_f64 v[17:18], v[17:18], s[14:15]
	s_mov_b32 s14, 0x6a5dcb37
	s_mov_b32 s15, 0x3e5ade15
	v_add_f64 v[29:30], v[33:34], -v[29:30]
	v_add_f64 v[27:28], v[27:28], s[10:11]
	v_fma_f64 v[33:34], v[35:36], s[0:1], v[15:16]
	s_mov_b32 s1, 0x3c7abc9e
	s_mov_b32 s0, 0x3b39803f
	;; [unrolled: 1-line block ×3, first 2 shown]
	v_fma_f64 v[39:40], v[39:40], s[0:1], v[41:42]
	s_mov_b32 s1, 0xbc7abc9e
	s_mov_b32 s11, 0x3e928af3
	v_cvt_i32_f64_e32 v3, v[35:36]
	v_fma_f64 v[19:20], v[11:12], v[17:18], -v[19:20]
	v_add_f64 v[23:24], v[23:24], v[29:30]
	v_fma_f64 v[27:28], v[37:38], v[27:28], -v[25:26]
	v_fma_f64 v[29:30], v[35:36], s[0:1], v[33:34]
	s_mov_b32 s0, 0x361008ca
	s_mov_b32 s1, 0x3ff867a1
	v_add_f64 v[33:34], v[43:44], v[39:40]
	v_add_f64 v[19:20], v[19:20], s[16:17]
	;; [unrolled: 1-line block ×4, first 2 shown]
	v_fma_f64 v[41:42], v[29:30], s[14:15], s[10:11]
	s_mov_b32 s0, 0x623fde64
	s_mov_b32 s1, 0x3ec71dee
	;; [unrolled: 1-line block ×4, first 2 shown]
	v_add_f64 v[43:44], v[33:34], -v[43:44]
	v_fma_f64 v[17:18], v[11:12], v[19:20], -v[17:18]
	v_add_f64 v[45:46], v[33:34], v[37:38]
	v_add_f64 v[25:26], v[27:28], -v[25:26]
	v_fma_f64 v[41:42], v[29:30], v[41:42], s[0:1]
	s_mov_b32 s0, 0x7c89e6b0
	s_mov_b32 s1, 0x3efa0199
	v_add_f64 v[31:32], v[37:38], -v[31:32]
	v_add_f64 v[39:40], v[39:40], -v[43:44]
	v_add_f64 v[17:18], v[17:18], s[10:11]
	s_mov_b32 s10, 0xd536f53c
	s_mov_b32 s11, 0x3fba46da
	v_add_f64 v[27:28], v[45:46], -v[33:34]
	v_mul_f64 v[25:26], v[25:26], 0.5
	v_fma_f64 v[41:42], v[29:30], v[41:42], s[0:1]
	s_mov_b32 s0, 0x14761f6e
	s_mov_b32 s1, 0x3f2a01a0
	v_add_f64 v[23:24], v[23:24], -v[31:32]
	v_fma_f64 v[19:20], v[11:12], v[17:18], -v[19:20]
	v_add_f64 v[47:48], v[45:46], -v[27:28]
	v_div_scale_f64 v[49:50], null, v[15:16], v[15:16], v[25:26]
	v_fma_f64 v[41:42], v[29:30], v[41:42], s[0:1]
	s_mov_b32 s0, 0x1852b7b0
	s_mov_b32 s1, 0x3f56c16c
	v_add_f64 v[27:28], v[37:38], -v[27:28]
	v_add_f64 v[19:20], v[19:20], s[10:11]
	s_mov_b32 s10, 0x469192e
	s_mov_b32 s11, 0xbfc694d1
	v_add_f64 v[31:32], v[33:34], -v[47:48]
	v_rcp_f64_e32 v[37:38], v[49:50]
	v_fma_f64 v[33:34], v[29:30], v[41:42], s[0:1]
	s_mov_b32 s0, 0x11122322
	s_mov_b32 s1, 0x3f811111
	v_add_f64 v[41:42], v[39:40], v[23:24]
	v_fma_f64 v[17:18], v[11:12], v[19:20], -v[17:18]
	v_add_f64 v[27:28], v[27:28], v[31:32]
	v_fma_f64 v[31:32], v[29:30], v[33:34], s[0:1]
	v_fma_f64 v[33:34], -v[49:50], v[37:38], 1.0
	s_mov_b32 s0, 0x555502a1
	s_mov_b32 s1, 0x3fa55555
	v_add_f64 v[43:44], v[41:42], -v[39:40]
	v_add_f64 v[17:18], v[17:18], s[10:11]
	s_mov_b32 s10, 0x724a7ffa
	s_mov_b32 s11, 0x3fd02a63
	v_add_f64 v[27:28], v[41:42], v[27:28]
	v_fma_f64 v[31:32], v[29:30], v[31:32], s[0:1]
	v_fma_f64 v[33:34], v[37:38], v[33:34], v[37:38]
	s_mov_b32 s0, 0x55555511
	s_mov_b32 s1, 0x3fc55555
	v_add_f64 v[37:38], v[41:42], -v[43:44]
	v_add_f64 v[23:24], v[23:24], -v[43:44]
	v_div_scale_f64 v[43:44], vcc_lo, v[25:26], v[15:16], v[25:26]
	v_fma_f64 v[11:12], v[11:12], v[17:18], -v[19:20]
	v_add_f64 v[41:42], v[45:46], v[27:28]
	v_fma_f64 v[31:32], v[29:30], v[31:32], s[0:1]
	v_fma_f64 v[17:18], -v[49:50], v[33:34], 1.0
	s_mov_b32 s0, 11
	s_mov_b32 s1, 0x3fe00000
	v_add_f64 v[37:38], v[39:40], -v[37:38]
	v_add_f64 v[11:12], v[11:12], s[10:11]
	v_add_f64 v[39:40], v[41:42], -v[45:46]
	v_fma_f64 v[31:32], v[29:30], v[31:32], s[0:1]
	v_fma_f64 v[17:18], v[33:34], v[17:18], v[33:34]
	v_cmp_neq_f64_e64 s0, 0, v[21:22]
	v_add_f64 v[23:24], v[23:24], v[37:38]
	v_add_f64 v[11:12], v[11:12], -v[19:20]
	v_add_f64 v[27:28], v[27:28], -v[39:40]
	v_fma_f64 v[31:32], v[29:30], v[31:32], 1.0
	v_mul_f64 v[19:20], v[43:44], v[17:18]
	v_mul_f64 v[11:12], v[11:12], 0.5
	v_add_f64 v[23:24], v[23:24], v[27:28]
	v_fma_f64 v[27:28], v[29:30], v[31:32], 1.0
	v_fma_f64 v[29:30], -v[49:50], v[19:20], v[43:44]
	v_mul_f64 v[11:12], v[15:16], v[11:12]
	v_add_f64 v[23:24], v[41:42], v[23:24]
	v_ldexp_f64 v[27:28], v[27:28], v3
	v_div_fmas_f64 v[17:18], v[29:30], v[17:18], v[19:20]
	v_cmp_neq_f64_e32 vcc_lo, 0x7ff00000, v[21:22]
	v_mul_f64 v[11:12], v[27:28], v[11:12]
	v_div_fixup_f64 v[15:16], v[17:18], v[15:16], v[25:26]
	v_cndmask_b32_e32 v3, 0x7ff00000, v24, vcc_lo
	s_and_b32 vcc_lo, s0, vcc_lo
	v_cndmask_b32_e32 v17, 0, v23, vcc_lo
	v_cndmask_b32_e64 v18, 0xfff00000, v3, s0
	v_fma_f64 v[12:13], v[17:18], v[11:12], v[15:16]
                                        ; implicit-def: $vgpr15_vgpr16
.LBB9_1722:
	s_andn2_saveexec_b32 s1, s6
	s_cbranch_execz .LBB9_1724
; %bb.1723:
	v_div_scale_f64 v[11:12], null, v[15:16], v[15:16], 0x40200000
	v_div_scale_f64 v[21:22], vcc_lo, 0x40200000, v[15:16], 0x40200000
	s_mov_b32 s6, 0x838f5ed3
	s_mov_b32 s7, 0x3c74af1a
	;; [unrolled: 1-line block ×4, first 2 shown]
	v_cmp_nlt_f64_e64 s0, 0x4090cc00, v[15:16]
	v_rcp_f64_e32 v[17:18], v[11:12]
	v_fma_f64 v[19:20], -v[11:12], v[17:18], 1.0
	v_fma_f64 v[17:18], v[17:18], v[19:20], v[17:18]
	v_fma_f64 v[19:20], -v[11:12], v[17:18], 1.0
	v_fma_f64 v[17:18], v[17:18], v[19:20], v[17:18]
	v_mul_f64 v[19:20], v[21:22], v[17:18]
	v_fma_f64 v[11:12], -v[11:12], v[19:20], v[21:22]
	v_div_fmas_f64 v[11:12], v[11:12], v[17:18], v[19:20]
	v_cmp_gt_f64_e32 vcc_lo, 0x10000000, v[15:16]
	v_div_fixup_f64 v[11:12], v[11:12], v[15:16], 0x40200000
	v_cndmask_b32_e64 v3, 0, 0x100, vcc_lo
	v_ldexp_f64 v[27:28], v[15:16], v3
	v_add_f64 v[11:12], v[11:12], -2.0
	v_rsq_f64_e32 v[29:30], v[27:28]
	v_fma_f64 v[17:18], v[11:12], s[10:11], s[6:7]
	s_mov_b32 s11, 0x3c5a8c5d
	s_mov_b32 s6, 0x17771d52
	;; [unrolled: 1-line block ×3, first 2 shown]
	v_mul_f64 v[31:32], v[27:28], v[29:30]
	v_mul_f64 v[29:30], v[29:30], 0.5
	v_fma_f64 v[19:20], v[11:12], v[17:18], s[10:11]
	s_mov_b32 s10, 0x6a5dcb37
	s_mov_b32 s11, 0x3e5ade15
	v_fma_f64 v[33:34], -v[29:30], v[31:32], 0.5
	v_add_f64 v[19:20], v[19:20], s[6:7]
	s_mov_b32 s6, 0x44ee2c0b
	s_mov_b32 s7, 0x3caa7d5e
	v_fma_f64 v[31:32], v[31:32], v[33:34], v[31:32]
	v_fma_f64 v[29:30], v[29:30], v[33:34], v[29:30]
	v_fma_f64 v[17:18], v[11:12], v[19:20], -v[17:18]
	v_fma_f64 v[33:34], -v[31:32], v[31:32], v[27:28]
	v_add_f64 v[17:18], v[17:18], s[6:7]
	s_mov_b32 s6, 0xd8758ef2
	s_mov_b32 s7, 0xbcc5d2a3
	v_fma_f64 v[19:20], v[11:12], v[17:18], -v[19:20]
	v_add_f64 v[19:20], v[19:20], s[6:7]
	s_mov_b32 s6, 0xefee81bd
	s_mov_b32 s7, 0x3ce25ced
	v_fma_f64 v[17:18], v[11:12], v[19:20], -v[17:18]
	v_add_f64 v[17:18], v[17:18], s[6:7]
	s_mov_b32 s6, 0x364185ab
	s_mov_b32 s7, 0xbcff9d52
	v_fma_f64 v[19:20], v[11:12], v[17:18], -v[19:20]
	v_add_f64 v[19:20], v[19:20], s[6:7]
	s_mov_b32 s6, 0x59151f65
	s_mov_b32 s7, 0x3d1be3e9
	v_fma_f64 v[17:18], v[11:12], v[19:20], -v[17:18]
	v_add_f64 v[17:18], v[17:18], s[6:7]
	s_mov_b32 s6, 0xd4cbcfb3
	s_mov_b32 s7, 0xbd394465
	v_fma_f64 v[19:20], v[11:12], v[17:18], -v[19:20]
	v_add_f64 v[19:20], v[19:20], s[6:7]
	s_mov_b32 s6, 0x40ab0b1
	s_mov_b32 s7, 0x3d578ffa
	v_fma_f64 v[17:18], v[11:12], v[19:20], -v[17:18]
	v_add_f64 v[17:18], v[17:18], s[6:7]
	s_mov_b32 s6, 0x61fc88f8
	s_mov_b32 s7, 0xbd76adec
	v_fma_f64 v[19:20], v[11:12], v[17:18], -v[19:20]
	v_add_f64 v[19:20], v[19:20], s[6:7]
	s_mov_b32 s6, 0x46c04f10
	s_mov_b32 s7, 0x3d969ab8
	v_fma_f64 v[17:18], v[11:12], v[19:20], -v[17:18]
	v_add_f64 v[17:18], v[17:18], s[6:7]
	s_mov_b32 s6, 0x9401ce7b
	s_mov_b32 s7, 0xbdb76b53
	v_fma_f64 v[19:20], v[11:12], v[17:18], -v[19:20]
	v_add_f64 v[19:20], v[19:20], s[6:7]
	s_mov_b32 s6, 0x8a42f6a
	s_mov_b32 s7, 0x3dd956d0
	v_fma_f64 v[17:18], v[11:12], v[19:20], -v[17:18]
	v_add_f64 v[17:18], v[17:18], s[6:7]
	s_mov_b32 s6, 0x365cf27
	s_mov_b32 s7, 0xbdfccbc0
	v_fma_f64 v[19:20], v[11:12], v[17:18], -v[19:20]
	v_add_f64 v[19:20], v[19:20], s[6:7]
	s_mov_b32 s6, 0x2a73d24e
	s_mov_b32 s7, 0x3e214f24
	v_fma_f64 v[17:18], v[11:12], v[19:20], -v[17:18]
	v_add_f64 v[17:18], v[17:18], s[6:7]
	s_mov_b32 s6, 0x9fe1e088
	s_mov_b32 s7, 0xbe4637a4
	v_fma_f64 v[19:20], v[11:12], v[17:18], -v[19:20]
	v_add_f64 v[19:20], v[19:20], s[6:7]
	s_mov_b32 s6, 0x668fc461
	s_mov_b32 s7, 0x3e6ed27c
	v_fma_f64 v[17:18], v[11:12], v[19:20], -v[17:18]
	v_add_f64 v[17:18], v[17:18], s[6:7]
	s_mov_b32 s6, 0x652b82fe
	s_mov_b32 s7, 0xbff71547
	v_mul_f64 v[21:22], v[15:16], s[6:7]
	s_mov_b32 s6, 0x8fada5c6
	s_mov_b32 s7, 0xbe978052
	v_fma_f64 v[19:20], v[11:12], v[17:18], -v[19:20]
	v_rndne_f64_e32 v[21:22], v[21:22]
	v_add_f64 v[19:20], v[19:20], s[6:7]
	s_mov_b32 s6, 0xfefa39ef
	s_mov_b32 s7, 0xbfe62e42
	v_fma_f64 v[23:24], v[21:22], s[6:7], -v[15:16]
	s_mov_b32 s6, 0x3b39803f
	s_mov_b32 s7, 0xbc7abc9e
	v_cvt_i32_f64_e32 v3, v[21:22]
	v_fma_f64 v[17:18], v[11:12], v[19:20], -v[17:18]
	v_fma_f64 v[23:24], v[21:22], s[6:7], v[23:24]
	s_mov_b32 s6, 0x1752d1b6
	s_mov_b32 s7, 0x3ec42fe3
	v_add_f64 v[17:18], v[17:18], s[6:7]
	s_mov_b32 s6, 0xfca7ab0c
	s_mov_b32 s7, 0x3e928af3
	v_fma_f64 v[25:26], v[23:24], s[10:11], s[6:7]
	s_mov_b32 s6, 0x623fde64
	s_mov_b32 s7, 0x3ec71dee
	v_fma_f64 v[19:20], v[11:12], v[17:18], -v[19:20]
	v_fma_f64 v[25:26], v[23:24], v[25:26], s[6:7]
	s_mov_b32 s6, 0x1dcdb2e5
	s_mov_b32 s7, 0xbef44d71
	v_add_f64 v[19:20], v[19:20], s[6:7]
	s_mov_b32 s6, 0x7c89e6b0
	s_mov_b32 s7, 0x3efa0199
	v_fma_f64 v[25:26], v[23:24], v[25:26], s[6:7]
	s_mov_b32 s6, 0x14761f6e
	s_mov_b32 s7, 0x3f2a01a0
	;; [unrolled: 10-line block ×5, first 2 shown]
	v_fma_f64 v[11:12], v[11:12], v[17:18], -v[19:20]
	v_fma_f64 v[17:18], v[33:34], v[29:30], v[31:32]
	v_fma_f64 v[25:26], v[23:24], v[25:26], 1.0
	v_add_f64 v[11:12], v[11:12], s[6:7]
	v_fma_f64 v[31:32], -v[17:18], v[17:18], v[27:28]
	v_fma_f64 v[21:22], v[23:24], v[25:26], 1.0
	v_add_f64 v[11:12], v[11:12], -v[19:20]
	v_fma_f64 v[17:18], v[31:32], v[29:30], v[17:18]
	v_ldexp_f64 v[19:20], v[21:22], v3
	v_cndmask_b32_e64 v3, 0, 0xffffff80, vcc_lo
	v_cmp_class_f64_e64 vcc_lo, v[27:28], 0x260
	v_mul_f64 v[11:12], v[11:12], 0.5
	v_ldexp_f64 v[15:16], v[17:18], v3
	v_cndmask_b32_e64 v18, 0, v20, s0
	v_cndmask_b32_e64 v17, 0, v19, s0
	v_mul_f64 v[11:12], v[17:18], v[11:12]
	v_cndmask_b32_e32 v16, v16, v28, vcc_lo
	v_cndmask_b32_e32 v15, v15, v27, vcc_lo
	v_div_scale_f64 v[17:18], null, v[15:16], v[15:16], v[11:12]
	v_rcp_f64_e32 v[19:20], v[17:18]
	v_fma_f64 v[21:22], -v[17:18], v[19:20], 1.0
	v_fma_f64 v[19:20], v[19:20], v[21:22], v[19:20]
	v_fma_f64 v[21:22], -v[17:18], v[19:20], 1.0
	v_fma_f64 v[19:20], v[19:20], v[21:22], v[19:20]
	v_div_scale_f64 v[21:22], vcc_lo, v[11:12], v[15:16], v[11:12]
	v_mul_f64 v[23:24], v[21:22], v[19:20]
	v_fma_f64 v[17:18], -v[17:18], v[23:24], v[21:22]
	v_div_fmas_f64 v[17:18], v[17:18], v[19:20], v[23:24]
	v_div_fixup_f64 v[12:13], v[17:18], v[15:16], v[11:12]
.LBB9_1724:
	s_or_b32 exec_lo, exec_lo, s1
.LBB9_1725:
	s_or_b32 exec_lo, exec_lo, s5
.LBB9_1726:
	s_or_b32 exec_lo, exec_lo, s4
	v_add_co_u32 v15, s0, s8, v2
	v_add_co_ci_u32_e64 v16, null, s9, 0, s0
	s_bfe_u32 s1, s3, 0x80008
	s_cmp_lt_i32 s1, 11
	s_cbranch_scc1 .LBB9_1849
; %bb.1727:
	s_and_b32 s4, 0xffff, s1
	s_mov_b32 s7, -1
	s_mov_b32 s5, 0
	s_cmp_gt_i32 s4, 25
	s_mov_b32 s6, 0
	s_mov_b32 s0, 0
	s_cbranch_scc0 .LBB9_1760
; %bb.1728:
	s_cmp_gt_i32 s4, 28
	s_cbranch_scc0 .LBB9_1743
; %bb.1729:
	s_cmp_gt_i32 s4, 43
	;; [unrolled: 3-line block ×3, first 2 shown]
	s_cbranch_scc0 .LBB9_1733
; %bb.1731:
	s_mov_b32 s0, -1
	s_mov_b32 s7, 0
	s_cmp_eq_u32 s4, 46
	s_cbranch_scc0 .LBB9_1733
; %bb.1732:
	v_cvt_f32_f64_e32 v2, v[0:1]
	s_mov_b32 s0, 0
	s_mov_b32 s6, -1
	v_bfe_u32 v3, v2, 16, 1
	v_cmp_o_f32_e32 vcc_lo, v2, v2
	v_add3_u32 v2, v2, v3, 0x7fff
	v_mov_b32_e32 v3, 0x7fc0
	v_cndmask_b32_sdwa v2, v3, v2, vcc_lo dst_sel:DWORD dst_unused:UNUSED_PAD src0_sel:DWORD src1_sel:WORD_1
	global_store_dword v[15:16], v2, off
.LBB9_1733:
	s_and_b32 vcc_lo, exec_lo, s7
	s_cbranch_vccz .LBB9_1738
; %bb.1734:
	s_cmp_eq_u32 s4, 44
	s_mov_b32 s0, -1
	s_cbranch_scc0 .LBB9_1738
; %bb.1735:
	v_cvt_f32_f64_e32 v2, v[0:1]
	v_mov_b32_e32 v3, 0xff
	s_mov_b32 s6, exec_lo
	v_bfe_u32 v7, v2, 23, 8
	v_cmpx_ne_u32_e32 0xff, v7
	s_cbranch_execz .LBB9_1737
; %bb.1736:
	v_and_b32_e32 v3, 0x400000, v2
	v_and_or_b32 v7, 0x3fffff, v2, v7
	v_lshrrev_b32_e32 v2, 23, v2
	v_cmp_ne_u32_e32 vcc_lo, 0, v3
	v_cmp_ne_u32_e64 s0, 0, v7
	s_and_b32 s0, vcc_lo, s0
	v_cndmask_b32_e64 v3, 0, 1, s0
	v_add_nc_u32_e32 v3, v2, v3
.LBB9_1737:
	s_or_b32 exec_lo, exec_lo, s6
	s_mov_b32 s0, 0
	s_mov_b32 s6, -1
	global_store_byte v[15:16], v3, off
.LBB9_1738:
	s_mov_b32 s7, 0
.LBB9_1739:
	s_and_b32 vcc_lo, exec_lo, s7
	s_cbranch_vccz .LBB9_1742
; %bb.1740:
	s_cmp_eq_u32 s4, 29
	s_mov_b32 s0, -1
	s_cbranch_scc0 .LBB9_1742
; %bb.1741:
	v_trunc_f64_e32 v[2:3], v[0:1]
	s_mov_b32 s0, 0
	s_mov_b32 s6, -1
	v_ldexp_f64 v[17:18], v[2:3], 0xffffffe0
	v_floor_f64_e32 v[17:18], v[17:18]
	v_fma_f64 v[2:3], 0xc1f00000, v[17:18], v[2:3]
	v_cvt_u32_f64_e32 v18, v[17:18]
	v_cvt_u32_f64_e32 v17, v[2:3]
	global_store_dwordx2 v[15:16], v[17:18], off
.LBB9_1742:
	s_mov_b32 s7, 0
.LBB9_1743:
	s_and_b32 vcc_lo, exec_lo, s7
	s_cbranch_vccz .LBB9_1759
; %bb.1744:
	s_cmp_lt_i32 s4, 27
	s_mov_b32 s6, -1
	s_cbranch_scc1 .LBB9_1750
; %bb.1745:
	v_cvt_u32_f64_e32 v2, v[0:1]
	s_cmp_gt_i32 s4, 27
	s_cbranch_scc0 .LBB9_1747
; %bb.1746:
	s_mov_b32 s6, 0
	global_store_dword v[15:16], v2, off
.LBB9_1747:
	s_andn2_b32 vcc_lo, exec_lo, s6
	s_cbranch_vccnz .LBB9_1749
; %bb.1748:
	global_store_short v[15:16], v2, off
.LBB9_1749:
	s_mov_b32 s6, 0
.LBB9_1750:
	s_andn2_b32 vcc_lo, exec_lo, s6
	s_cbranch_vccnz .LBB9_1758
; %bb.1751:
	v_cvt_f32_f64_e32 v2, v[0:1]
	v_mov_b32_e32 v7, 0x80
	s_mov_b32 s6, exec_lo
	v_and_b32_e32 v3, 0x7fffffff, v2
	v_cmpx_gt_u32_e32 0x43800000, v3
	s_cbranch_execz .LBB9_1757
; %bb.1752:
	v_cmp_lt_u32_e32 vcc_lo, 0x3bffffff, v3
	s_mov_b32 s7, 0
                                        ; implicit-def: $vgpr3
	s_and_saveexec_b32 s10, vcc_lo
	s_xor_b32 s10, exec_lo, s10
	s_cbranch_execz .LBB9_2207
; %bb.1753:
	v_bfe_u32 v3, v2, 20, 1
	s_mov_b32 s7, exec_lo
	v_add3_u32 v3, v2, v3, 0x487ffff
	v_lshrrev_b32_e32 v3, 20, v3
	s_andn2_saveexec_b32 s10, s10
	s_cbranch_execnz .LBB9_2208
.LBB9_1754:
	s_or_b32 exec_lo, exec_lo, s10
	v_mov_b32_e32 v7, 0
	s_and_saveexec_b32 s10, s7
.LBB9_1755:
	v_lshrrev_b32_e32 v2, 24, v2
	v_and_or_b32 v7, 0x80, v2, v3
.LBB9_1756:
	s_or_b32 exec_lo, exec_lo, s10
.LBB9_1757:
	s_or_b32 exec_lo, exec_lo, s6
	global_store_byte v[15:16], v7, off
.LBB9_1758:
	s_mov_b32 s6, -1
.LBB9_1759:
	s_mov_b32 s7, 0
.LBB9_1760:
	s_and_b32 vcc_lo, exec_lo, s7
	s_cbranch_vccz .LBB9_1800
; %bb.1761:
	s_cmp_gt_i32 s4, 22
	s_mov_b32 s5, -1
	s_cbranch_scc0 .LBB9_1793
; %bb.1762:
	s_cmp_lt_i32 s4, 24
	s_cbranch_scc1 .LBB9_1782
; %bb.1763:
	s_cmp_gt_i32 s4, 24
	s_cbranch_scc0 .LBB9_1771
; %bb.1764:
	v_cvt_f32_f64_e32 v2, v[0:1]
	v_mov_b32_e32 v7, 0x80
	s_mov_b32 s5, exec_lo
	v_and_b32_e32 v3, 0x7fffffff, v2
	v_cmpx_gt_u32_e32 0x47800000, v3
	s_cbranch_execz .LBB9_1770
; %bb.1765:
	v_cmp_lt_u32_e32 vcc_lo, 0x37ffffff, v3
	s_mov_b32 s6, 0
                                        ; implicit-def: $vgpr3
	s_and_saveexec_b32 s7, vcc_lo
	s_xor_b32 s7, exec_lo, s7
	s_cbranch_execz .LBB9_2210
; %bb.1766:
	v_bfe_u32 v3, v2, 21, 1
	s_mov_b32 s6, exec_lo
	v_add3_u32 v3, v2, v3, 0x88fffff
	v_lshrrev_b32_e32 v3, 21, v3
	s_andn2_saveexec_b32 s7, s7
	s_cbranch_execnz .LBB9_2211
.LBB9_1767:
	s_or_b32 exec_lo, exec_lo, s7
	v_mov_b32_e32 v7, 0
	s_and_saveexec_b32 s7, s6
.LBB9_1768:
	v_lshrrev_b32_e32 v2, 24, v2
	v_and_or_b32 v7, 0x80, v2, v3
.LBB9_1769:
	s_or_b32 exec_lo, exec_lo, s7
.LBB9_1770:
	s_or_b32 exec_lo, exec_lo, s5
	s_mov_b32 s5, 0
	global_store_byte v[15:16], v7, off
.LBB9_1771:
	s_and_b32 vcc_lo, exec_lo, s5
	s_cbranch_vccz .LBB9_1781
; %bb.1772:
	v_cvt_f32_f64_e32 v2, v[0:1]
	s_mov_b32 s5, exec_lo
                                        ; implicit-def: $vgpr3
	v_and_b32_e32 v7, 0x7fffffff, v2
	v_cmpx_gt_u32_e32 0x43f00000, v7
	s_xor_b32 s5, exec_lo, s5
	s_cbranch_execz .LBB9_1778
; %bb.1773:
	s_mov_b32 s6, exec_lo
                                        ; implicit-def: $vgpr3
	v_cmpx_lt_u32_e32 0x3c7fffff, v7
	s_xor_b32 s6, exec_lo, s6
; %bb.1774:
	v_bfe_u32 v3, v2, 20, 1
	v_add3_u32 v3, v2, v3, 0x407ffff
	v_and_b32_e32 v7, 0xff00000, v3
	v_lshrrev_b32_e32 v3, 20, v3
	v_cmp_ne_u32_e32 vcc_lo, 0x7f00000, v7
	v_cndmask_b32_e32 v3, 0x7e, v3, vcc_lo
; %bb.1775:
	s_andn2_saveexec_b32 s6, s6
; %bb.1776:
	v_add_f32_e64 v3, 0x46800000, |v2|
; %bb.1777:
	s_or_b32 exec_lo, exec_lo, s6
                                        ; implicit-def: $vgpr7
.LBB9_1778:
	s_andn2_saveexec_b32 s5, s5
; %bb.1779:
	v_mov_b32_e32 v3, 0x7f
	v_cmp_lt_u32_e32 vcc_lo, 0x7f800000, v7
	v_cndmask_b32_e32 v3, 0x7e, v3, vcc_lo
; %bb.1780:
	s_or_b32 exec_lo, exec_lo, s5
	v_lshrrev_b32_e32 v2, 24, v2
	v_and_or_b32 v2, 0x80, v2, v3
	global_store_byte v[15:16], v2, off
.LBB9_1781:
	s_mov_b32 s5, 0
.LBB9_1782:
	s_andn2_b32 vcc_lo, exec_lo, s5
	s_cbranch_vccnz .LBB9_1792
; %bb.1783:
	v_cvt_f32_f64_e32 v2, v[0:1]
	s_mov_b32 s5, exec_lo
                                        ; implicit-def: $vgpr3
	v_and_b32_e32 v7, 0x7fffffff, v2
	v_cmpx_gt_u32_e32 0x47800000, v7
	s_xor_b32 s5, exec_lo, s5
	s_cbranch_execz .LBB9_1789
; %bb.1784:
	s_mov_b32 s6, exec_lo
                                        ; implicit-def: $vgpr3
	v_cmpx_lt_u32_e32 0x387fffff, v7
	s_xor_b32 s6, exec_lo, s6
; %bb.1785:
	v_bfe_u32 v3, v2, 21, 1
	v_add3_u32 v3, v2, v3, 0x80fffff
	v_lshrrev_b32_e32 v3, 21, v3
; %bb.1786:
	s_andn2_saveexec_b32 s6, s6
; %bb.1787:
	v_add_f32_e64 v3, 0x43000000, |v2|
; %bb.1788:
	s_or_b32 exec_lo, exec_lo, s6
                                        ; implicit-def: $vgpr7
.LBB9_1789:
	s_andn2_saveexec_b32 s5, s5
; %bb.1790:
	v_mov_b32_e32 v3, 0x7f
	v_cmp_lt_u32_e32 vcc_lo, 0x7f800000, v7
	v_cndmask_b32_e32 v3, 0x7c, v3, vcc_lo
; %bb.1791:
	s_or_b32 exec_lo, exec_lo, s5
	v_lshrrev_b32_e32 v2, 24, v2
	v_and_or_b32 v2, 0x80, v2, v3
	global_store_byte v[15:16], v2, off
.LBB9_1792:
	s_mov_b32 s5, 0
	s_mov_b32 s6, -1
.LBB9_1793:
	s_andn2_b32 vcc_lo, exec_lo, s5
	s_mov_b32 s5, 0
	s_cbranch_vccnz .LBB9_1800
; %bb.1794:
	s_cmp_gt_i32 s4, 14
	s_mov_b32 s5, -1
	s_cbranch_scc0 .LBB9_1798
; %bb.1795:
	s_cmp_eq_u32 s4, 15
	s_mov_b32 s0, -1
	s_cbranch_scc0 .LBB9_1797
; %bb.1796:
	v_cvt_f32_f64_e32 v2, v[0:1]
	s_mov_b32 s0, 0
	s_mov_b32 s6, -1
	v_bfe_u32 v3, v2, 16, 1
	v_cmp_o_f32_e32 vcc_lo, v2, v2
	v_add3_u32 v2, v2, v3, 0x7fff
	v_mov_b32_e32 v3, 0x7fc0
	v_cndmask_b32_sdwa v2, v3, v2, vcc_lo dst_sel:DWORD dst_unused:UNUSED_PAD src0_sel:DWORD src1_sel:WORD_1
	global_store_short v[15:16], v2, off
.LBB9_1797:
	s_mov_b32 s5, 0
.LBB9_1798:
	s_and_b32 vcc_lo, exec_lo, s5
	s_mov_b32 s5, 0
	s_cbranch_vccz .LBB9_1800
; %bb.1799:
	s_cmp_lg_u32 s4, 11
	s_mov_b32 s5, -1
	s_cselect_b32 s0, -1, 0
.LBB9_1800:
	s_and_b32 vcc_lo, exec_lo, s0
	s_cbranch_vccnz .LBB9_2209
; %bb.1801:
	s_andn2_b32 vcc_lo, exec_lo, s5
	s_cbranch_vccnz .LBB9_1803
.LBB9_1802:
	v_cmp_neq_f64_e32 vcc_lo, 0, v[0:1]
	s_mov_b32 s6, -1
	v_cndmask_b32_e64 v2, 0, 1, vcc_lo
	global_store_byte v[15:16], v2, off
.LBB9_1803:
	s_mov_b32 s0, 0
	s_branch .LBB9_1850
.LBB9_1804:
	s_mov_b32 s0, 0
	s_mov_b32 s4, 0
                                        ; implicit-def: $vgpr0_vgpr1
                                        ; implicit-def: $sgpr1
                                        ; implicit-def: $vgpr12_vgpr13
.LBB9_1805:
	s_andn2_b32 s3, s12, exec_lo
	s_and_b32 s2, s2, exec_lo
	s_and_b32 s0, s0, exec_lo
	;; [unrolled: 1-line block ×3, first 2 shown]
	s_or_b32 s12, s3, s2
.LBB9_1806:
	s_or_b32 exec_lo, exec_lo, s13
	s_and_saveexec_b32 s2, s12
	s_cbranch_execz .LBB9_1809
; %bb.1807:
	; divergent unreachable
	s_or_b32 exec_lo, exec_lo, s2
	s_and_saveexec_b32 s2, s26
	s_xor_b32 s2, exec_lo, s2
	s_cbranch_execnz .LBB9_1810
.LBB9_1808:
	s_or_b32 exec_lo, exec_lo, s2
	s_and_saveexec_b32 s2, s0
	s_cbranch_execnz .LBB9_1811
	s_branch .LBB9_1848
.LBB9_1809:
	s_or_b32 exec_lo, exec_lo, s2
	s_and_saveexec_b32 s2, s26
	s_xor_b32 s2, exec_lo, s2
	s_cbranch_execz .LBB9_1808
.LBB9_1810:
	s_waitcnt vmcnt(0)
	v_cmp_neq_f64_e32 vcc_lo, 0, v[12:13]
	v_cndmask_b32_e64 v2, 0, 1, vcc_lo
	global_store_byte v[0:1], v2, off
	s_or_b32 exec_lo, exec_lo, s2
	s_and_saveexec_b32 s2, s0
	s_cbranch_execz .LBB9_1848
.LBB9_1811:
	s_sext_i32_i16 s2, s1
	s_mov_b32 s0, -1
	s_cmp_lt_i32 s2, 5
	s_cbranch_scc1 .LBB9_1832
; %bb.1812:
	s_cmp_lt_i32 s2, 8
	s_cbranch_scc1 .LBB9_1822
; %bb.1813:
	;; [unrolled: 3-line block ×3, first 2 shown]
	s_cmp_gt_i32 s2, 9
	s_cbranch_scc0 .LBB9_1816
; %bb.1815:
	v_mov_b32_e32 v14, 0
	s_mov_b32 s0, 0
	s_waitcnt vmcnt(0)
	v_mov_b32_e32 v15, v14
	global_store_dwordx4 v[0:1], v[12:15], off
.LBB9_1816:
	s_andn2_b32 vcc_lo, exec_lo, s0
	s_cbranch_vccnz .LBB9_1818
; %bb.1817:
	s_waitcnt vmcnt(0)
	v_cvt_f32_f64_e32 v2, v[12:13]
	v_mov_b32_e32 v3, 0
	global_store_dwordx2 v[0:1], v[2:3], off
.LBB9_1818:
	s_mov_b32 s0, 0
.LBB9_1819:
	s_andn2_b32 vcc_lo, exec_lo, s0
	s_cbranch_vccnz .LBB9_1821
; %bb.1820:
	s_waitcnt vmcnt(0)
	v_and_or_b32 v2, 0x1ff, v13, v12
	v_lshrrev_b32_e32 v3, 8, v13
	v_bfe_u32 v4, v13, 20, 11
	v_cmp_ne_u32_e32 vcc_lo, 0, v2
	v_sub_nc_u32_e32 v5, 0x3f1, v4
	v_add_nc_u32_e32 v4, 0xfffffc10, v4
	v_cndmask_b32_e64 v2, 0, 1, vcc_lo
	v_and_or_b32 v2, 0xffe, v3, v2
	v_med3_i32 v3, v5, 0, 13
	v_or_b32_e32 v5, 0x1000, v2
	v_lshrrev_b32_e32 v6, v3, v5
	v_lshlrev_b32_e32 v3, v3, v6
	v_cmp_ne_u32_e32 vcc_lo, v3, v5
	v_lshl_or_b32 v5, v4, 12, v2
	v_cndmask_b32_e64 v3, 0, 1, vcc_lo
	v_cmp_gt_i32_e32 vcc_lo, 1, v4
	v_or_b32_e32 v3, v6, v3
	v_cndmask_b32_e32 v3, v5, v3, vcc_lo
	v_and_b32_e32 v5, 7, v3
	v_lshrrev_b32_e32 v3, 2, v3
	v_cmp_lt_i32_e32 vcc_lo, 5, v5
	v_cndmask_b32_e64 v6, 0, 1, vcc_lo
	v_cmp_eq_u32_e32 vcc_lo, 3, v5
	v_cndmask_b32_e64 v5, 0, 1, vcc_lo
	v_cmp_ne_u32_e32 vcc_lo, 0, v2
	v_or_b32_e32 v5, v5, v6
	v_mov_b32_e32 v6, 0x7e00
	v_add_nc_u32_e32 v3, v3, v5
	v_cndmask_b32_e32 v2, 0x7c00, v6, vcc_lo
	v_cmp_gt_i32_e32 vcc_lo, 31, v4
	v_cndmask_b32_e32 v3, 0x7c00, v3, vcc_lo
	v_cmp_eq_u32_e32 vcc_lo, 0x40f, v4
	v_cndmask_b32_e32 v2, v3, v2, vcc_lo
	v_lshrrev_b32_e32 v3, 16, v13
	v_and_or_b32 v2, 0x8000, v3, v2
	v_and_b32_e32 v2, 0xffff, v2
	global_store_dword v[0:1], v2, off
.LBB9_1821:
	s_mov_b32 s0, 0
.LBB9_1822:
	s_andn2_b32 vcc_lo, exec_lo, s0
	s_cbranch_vccnz .LBB9_1831
; %bb.1823:
	s_sext_i32_i16 s2, s1
	s_mov_b32 s0, -1
	s_cmp_lt_i32 s2, 6
	s_cbranch_scc1 .LBB9_1829
; %bb.1824:
	s_cmp_gt_i32 s2, 6
	s_cbranch_scc0 .LBB9_1826
; %bb.1825:
	s_mov_b32 s0, 0
	s_waitcnt vmcnt(0)
	global_store_dwordx2 v[0:1], v[12:13], off
.LBB9_1826:
	s_andn2_b32 vcc_lo, exec_lo, s0
	s_cbranch_vccnz .LBB9_1828
; %bb.1827:
	s_waitcnt vmcnt(0)
	v_cvt_f32_f64_e32 v2, v[12:13]
	global_store_dword v[0:1], v2, off
.LBB9_1828:
	s_mov_b32 s0, 0
.LBB9_1829:
	s_andn2_b32 vcc_lo, exec_lo, s0
	s_cbranch_vccnz .LBB9_1831
; %bb.1830:
	s_waitcnt vmcnt(0)
	v_and_or_b32 v2, 0x1ff, v13, v12
	v_lshrrev_b32_e32 v3, 8, v13
	v_bfe_u32 v4, v13, 20, 11
	v_cmp_ne_u32_e32 vcc_lo, 0, v2
	v_sub_nc_u32_e32 v5, 0x3f1, v4
	v_add_nc_u32_e32 v4, 0xfffffc10, v4
	v_cndmask_b32_e64 v2, 0, 1, vcc_lo
	v_and_or_b32 v2, 0xffe, v3, v2
	v_med3_i32 v3, v5, 0, 13
	v_or_b32_e32 v5, 0x1000, v2
	v_lshrrev_b32_e32 v6, v3, v5
	v_lshlrev_b32_e32 v3, v3, v6
	v_cmp_ne_u32_e32 vcc_lo, v3, v5
	v_lshl_or_b32 v5, v4, 12, v2
	v_cndmask_b32_e64 v3, 0, 1, vcc_lo
	v_cmp_gt_i32_e32 vcc_lo, 1, v4
	v_or_b32_e32 v3, v6, v3
	v_cndmask_b32_e32 v3, v5, v3, vcc_lo
	v_and_b32_e32 v5, 7, v3
	v_lshrrev_b32_e32 v3, 2, v3
	v_cmp_lt_i32_e32 vcc_lo, 5, v5
	v_cndmask_b32_e64 v6, 0, 1, vcc_lo
	v_cmp_eq_u32_e32 vcc_lo, 3, v5
	v_cndmask_b32_e64 v5, 0, 1, vcc_lo
	v_cmp_ne_u32_e32 vcc_lo, 0, v2
	v_or_b32_e32 v5, v5, v6
	v_mov_b32_e32 v6, 0x7e00
	v_add_nc_u32_e32 v3, v3, v5
	v_cndmask_b32_e32 v2, 0x7c00, v6, vcc_lo
	v_cmp_gt_i32_e32 vcc_lo, 31, v4
	v_cndmask_b32_e32 v3, 0x7c00, v3, vcc_lo
	v_cmp_eq_u32_e32 vcc_lo, 0x40f, v4
	v_cndmask_b32_e32 v2, v3, v2, vcc_lo
	v_lshrrev_b32_e32 v3, 16, v13
	v_and_or_b32 v2, 0x8000, v3, v2
	global_store_short v[0:1], v2, off
.LBB9_1831:
	s_mov_b32 s0, 0
.LBB9_1832:
	s_andn2_b32 vcc_lo, exec_lo, s0
	s_cbranch_vccnz .LBB9_1848
; %bb.1833:
	s_sext_i32_i16 s2, s1
	s_mov_b32 s0, -1
	s_cmp_lt_i32 s2, 2
	s_cbranch_scc1 .LBB9_1843
; %bb.1834:
	s_cmp_lt_i32 s2, 3
	s_cbranch_scc1 .LBB9_1840
; %bb.1835:
	s_cmp_gt_i32 s2, 3
	s_cbranch_scc0 .LBB9_1837
; %bb.1836:
	s_waitcnt vmcnt(0)
	v_trunc_f64_e32 v[2:3], v[12:13]
	s_mov_b32 s0, 0
	v_ldexp_f64 v[4:5], v[2:3], 0xffffffe0
	v_floor_f64_e32 v[4:5], v[4:5]
	v_fma_f64 v[2:3], 0xc1f00000, v[4:5], v[2:3]
	v_cvt_i32_f64_e32 v4, v[4:5]
	v_cvt_u32_f64_e32 v3, v[2:3]
	global_store_dwordx2 v[0:1], v[3:4], off
.LBB9_1837:
	s_andn2_b32 vcc_lo, exec_lo, s0
	s_cbranch_vccnz .LBB9_1839
; %bb.1838:
	s_waitcnt vmcnt(0)
	v_cvt_i32_f64_e32 v2, v[12:13]
	global_store_dword v[0:1], v2, off
.LBB9_1839:
	s_mov_b32 s0, 0
.LBB9_1840:
	s_andn2_b32 vcc_lo, exec_lo, s0
	s_cbranch_vccnz .LBB9_1842
; %bb.1841:
	s_waitcnt vmcnt(0)
	v_cvt_i32_f64_e32 v2, v[12:13]
	global_store_short v[0:1], v2, off
.LBB9_1842:
	s_mov_b32 s0, 0
.LBB9_1843:
	s_andn2_b32 vcc_lo, exec_lo, s0
	s_cbranch_vccnz .LBB9_1848
; %bb.1844:
	s_sext_i32_i16 s0, s1
	s_cmp_gt_i32 s0, 0
	s_mov_b32 s0, -1
	s_cbranch_scc0 .LBB9_1846
; %bb.1845:
	s_waitcnt vmcnt(0)
	v_cvt_i32_f64_e32 v2, v[12:13]
	s_mov_b32 s0, 0
	global_store_byte v[0:1], v2, off
.LBB9_1846:
	s_andn2_b32 vcc_lo, exec_lo, s0
	s_cbranch_vccnz .LBB9_1848
; %bb.1847:
	s_waitcnt vmcnt(0)
	v_trunc_f64_e32 v[2:3], v[12:13]
	v_ldexp_f64 v[4:5], v[2:3], 0xffffffe0
	v_floor_f64_e32 v[4:5], v[4:5]
	v_fma_f64 v[2:3], 0xc1f00000, v[4:5], v[2:3]
	v_cvt_u32_f64_e32 v2, v[2:3]
	global_store_byte v[0:1], v2, off
	s_endpgm
.LBB9_1848:
	s_endpgm
.LBB9_1849:
	s_mov_b32 s0, -1
	s_mov_b32 s6, 0
.LBB9_1850:
	s_and_b32 vcc_lo, exec_lo, s0
	s_cbranch_vccz .LBB9_1889
; %bb.1851:
	s_and_b32 s0, 0xffff, s1
	s_mov_b32 s1, -1
	s_cmp_lt_i32 s0, 5
	s_cbranch_scc1 .LBB9_1872
; %bb.1852:
	s_cmp_lt_i32 s0, 8
	s_cbranch_scc1 .LBB9_1862
; %bb.1853:
	;; [unrolled: 3-line block ×3, first 2 shown]
	s_cmp_gt_i32 s0, 9
	s_cbranch_scc0 .LBB9_1856
; %bb.1855:
	v_mov_b32_e32 v2, 0
	s_mov_b32 s1, 0
	v_mov_b32_e32 v3, v2
	global_store_dwordx4 v[15:16], v[0:3], off
.LBB9_1856:
	s_andn2_b32 vcc_lo, exec_lo, s1
	s_cbranch_vccnz .LBB9_1858
; %bb.1857:
	v_cvt_f32_f64_e32 v2, v[0:1]
	v_mov_b32_e32 v3, 0
	global_store_dwordx2 v[15:16], v[2:3], off
.LBB9_1858:
	s_mov_b32 s1, 0
.LBB9_1859:
	s_andn2_b32 vcc_lo, exec_lo, s1
	s_cbranch_vccnz .LBB9_1861
; %bb.1860:
	v_and_or_b32 v2, 0x1ff, v1, v0
	v_lshrrev_b32_e32 v3, 8, v1
	v_bfe_u32 v7, v1, 20, 11
	v_cmp_ne_u32_e32 vcc_lo, 0, v2
	v_sub_nc_u32_e32 v11, 0x3f1, v7
	v_add_nc_u32_e32 v7, 0xfffffc10, v7
	v_cndmask_b32_e64 v2, 0, 1, vcc_lo
	v_and_or_b32 v2, 0xffe, v3, v2
	v_med3_i32 v3, v11, 0, 13
	v_or_b32_e32 v11, 0x1000, v2
	v_lshrrev_b32_e32 v17, v3, v11
	v_lshlrev_b32_e32 v3, v3, v17
	v_cmp_ne_u32_e32 vcc_lo, v3, v11
	v_lshl_or_b32 v11, v7, 12, v2
	v_cndmask_b32_e64 v3, 0, 1, vcc_lo
	v_cmp_gt_i32_e32 vcc_lo, 1, v7
	v_or_b32_e32 v3, v17, v3
	v_cndmask_b32_e32 v3, v11, v3, vcc_lo
	v_and_b32_e32 v11, 7, v3
	v_lshrrev_b32_e32 v3, 2, v3
	v_cmp_lt_i32_e32 vcc_lo, 5, v11
	v_cndmask_b32_e64 v17, 0, 1, vcc_lo
	v_cmp_eq_u32_e32 vcc_lo, 3, v11
	v_cndmask_b32_e64 v11, 0, 1, vcc_lo
	v_cmp_ne_u32_e32 vcc_lo, 0, v2
	v_or_b32_e32 v11, v11, v17
	v_mov_b32_e32 v17, 0x7e00
	v_add_nc_u32_e32 v3, v3, v11
	v_cndmask_b32_e32 v2, 0x7c00, v17, vcc_lo
	v_cmp_gt_i32_e32 vcc_lo, 31, v7
	v_cndmask_b32_e32 v3, 0x7c00, v3, vcc_lo
	v_cmp_eq_u32_e32 vcc_lo, 0x40f, v7
	v_cndmask_b32_e32 v2, v3, v2, vcc_lo
	v_lshrrev_b32_e32 v3, 16, v1
	v_and_or_b32 v2, 0x8000, v3, v2
	v_and_b32_e32 v2, 0xffff, v2
	global_store_dword v[15:16], v2, off
.LBB9_1861:
	s_mov_b32 s1, 0
.LBB9_1862:
	s_andn2_b32 vcc_lo, exec_lo, s1
	s_cbranch_vccnz .LBB9_1871
; %bb.1863:
	s_cmp_lt_i32 s0, 6
	s_mov_b32 s1, -1
	s_cbranch_scc1 .LBB9_1869
; %bb.1864:
	s_cmp_gt_i32 s0, 6
	s_cbranch_scc0 .LBB9_1866
; %bb.1865:
	s_mov_b32 s1, 0
	global_store_dwordx2 v[15:16], v[0:1], off
.LBB9_1866:
	s_andn2_b32 vcc_lo, exec_lo, s1
	s_cbranch_vccnz .LBB9_1868
; %bb.1867:
	v_cvt_f32_f64_e32 v2, v[0:1]
	global_store_dword v[15:16], v2, off
.LBB9_1868:
	s_mov_b32 s1, 0
.LBB9_1869:
	s_andn2_b32 vcc_lo, exec_lo, s1
	s_cbranch_vccnz .LBB9_1871
; %bb.1870:
	v_and_or_b32 v2, 0x1ff, v1, v0
	v_lshrrev_b32_e32 v3, 8, v1
	v_bfe_u32 v7, v1, 20, 11
	v_cmp_ne_u32_e32 vcc_lo, 0, v2
	v_sub_nc_u32_e32 v11, 0x3f1, v7
	v_add_nc_u32_e32 v7, 0xfffffc10, v7
	v_cndmask_b32_e64 v2, 0, 1, vcc_lo
	v_and_or_b32 v2, 0xffe, v3, v2
	v_med3_i32 v3, v11, 0, 13
	v_or_b32_e32 v11, 0x1000, v2
	v_lshrrev_b32_e32 v17, v3, v11
	v_lshlrev_b32_e32 v3, v3, v17
	v_cmp_ne_u32_e32 vcc_lo, v3, v11
	v_lshl_or_b32 v11, v7, 12, v2
	v_cndmask_b32_e64 v3, 0, 1, vcc_lo
	v_cmp_gt_i32_e32 vcc_lo, 1, v7
	v_or_b32_e32 v3, v17, v3
	v_cndmask_b32_e32 v3, v11, v3, vcc_lo
	v_and_b32_e32 v11, 7, v3
	v_lshrrev_b32_e32 v3, 2, v3
	v_cmp_lt_i32_e32 vcc_lo, 5, v11
	v_cndmask_b32_e64 v17, 0, 1, vcc_lo
	v_cmp_eq_u32_e32 vcc_lo, 3, v11
	v_cndmask_b32_e64 v11, 0, 1, vcc_lo
	v_cmp_ne_u32_e32 vcc_lo, 0, v2
	v_or_b32_e32 v11, v11, v17
	v_mov_b32_e32 v17, 0x7e00
	v_add_nc_u32_e32 v3, v3, v11
	v_cndmask_b32_e32 v2, 0x7c00, v17, vcc_lo
	v_cmp_gt_i32_e32 vcc_lo, 31, v7
	v_cndmask_b32_e32 v3, 0x7c00, v3, vcc_lo
	v_cmp_eq_u32_e32 vcc_lo, 0x40f, v7
	v_cndmask_b32_e32 v2, v3, v2, vcc_lo
	v_lshrrev_b32_e32 v3, 16, v1
	v_and_or_b32 v2, 0x8000, v3, v2
	global_store_short v[15:16], v2, off
.LBB9_1871:
	s_mov_b32 s1, 0
.LBB9_1872:
	s_andn2_b32 vcc_lo, exec_lo, s1
	s_cbranch_vccnz .LBB9_1888
; %bb.1873:
	s_cmp_lt_i32 s0, 2
	s_mov_b32 s1, -1
	s_cbranch_scc1 .LBB9_1883
; %bb.1874:
	s_cmp_lt_i32 s0, 3
	s_cbranch_scc1 .LBB9_1880
; %bb.1875:
	s_cmp_gt_i32 s0, 3
	s_cbranch_scc0 .LBB9_1877
; %bb.1876:
	v_trunc_f64_e32 v[2:3], v[0:1]
	s_mov_b32 s1, 0
	v_ldexp_f64 v[17:18], v[2:3], 0xffffffe0
	v_floor_f64_e32 v[17:18], v[17:18]
	v_fma_f64 v[2:3], 0xc1f00000, v[17:18], v[2:3]
	v_cvt_i32_f64_e32 v18, v[17:18]
	v_cvt_u32_f64_e32 v17, v[2:3]
	global_store_dwordx2 v[15:16], v[17:18], off
.LBB9_1877:
	s_andn2_b32 vcc_lo, exec_lo, s1
	s_cbranch_vccnz .LBB9_1879
; %bb.1878:
	v_cvt_i32_f64_e32 v2, v[0:1]
	global_store_dword v[15:16], v2, off
.LBB9_1879:
	s_mov_b32 s1, 0
.LBB9_1880:
	s_andn2_b32 vcc_lo, exec_lo, s1
	s_cbranch_vccnz .LBB9_1882
; %bb.1881:
	v_cvt_i32_f64_e32 v2, v[0:1]
	global_store_short v[15:16], v2, off
.LBB9_1882:
	s_mov_b32 s1, 0
.LBB9_1883:
	s_andn2_b32 vcc_lo, exec_lo, s1
	s_cbranch_vccnz .LBB9_1888
; %bb.1884:
	s_cmp_gt_i32 s0, 0
	s_mov_b32 s0, -1
	s_cbranch_scc0 .LBB9_1886
; %bb.1885:
	v_cvt_i32_f64_e32 v2, v[0:1]
	s_mov_b32 s0, 0
	global_store_byte v[15:16], v2, off
.LBB9_1886:
	s_andn2_b32 vcc_lo, exec_lo, s0
	s_cbranch_vccnz .LBB9_1888
; %bb.1887:
	v_trunc_f64_e32 v[0:1], v[0:1]
	v_ldexp_f64 v[2:3], v[0:1], 0xffffffe0
	v_floor_f64_e32 v[2:3], v[2:3]
	v_fma_f64 v[0:1], 0xc1f00000, v[2:3], v[0:1]
	v_cvt_u32_f64_e32 v0, v[0:1]
	global_store_byte v[15:16], v0, off
.LBB9_1888:
	s_mov_b32 s6, -1
.LBB9_1889:
	s_andn2_b32 vcc_lo, exec_lo, s6
	s_cbranch_vccnz .LBB9_2204
; %bb.1890:
	s_lshr_b32 s0, s3, 8
	s_and_b32 s1, s0, 0xff
	v_add_co_u32 v0, s0, s8, v6
	v_add_co_ci_u32_e64 v1, null, s9, 0, s0
	s_cmp_lt_i32 s1, 11
	s_cbranch_scc1 .LBB9_1968
; %bb.1891:
	s_and_b32 s3, 0xffff, s1
	s_mov_b32 s6, -1
	s_mov_b32 s4, 0
	s_cmp_gt_i32 s3, 25
	s_mov_b32 s5, 0
	s_mov_b32 s0, 0
	s_cbranch_scc0 .LBB9_1924
; %bb.1892:
	s_cmp_gt_i32 s3, 28
	s_cbranch_scc0 .LBB9_1907
; %bb.1893:
	s_cmp_gt_i32 s3, 43
	;; [unrolled: 3-line block ×3, first 2 shown]
	s_cbranch_scc0 .LBB9_1897
; %bb.1895:
	s_mov_b32 s0, -1
	s_mov_b32 s6, 0
	s_cmp_eq_u32 s3, 46
	s_cbranch_scc0 .LBB9_1897
; %bb.1896:
	v_cvt_f32_f64_e32 v2, v[4:5]
	s_mov_b32 s0, 0
	s_mov_b32 s5, -1
	v_bfe_u32 v3, v2, 16, 1
	v_cmp_o_f32_e32 vcc_lo, v2, v2
	v_add3_u32 v2, v2, v3, 0x7fff
	v_mov_b32_e32 v3, 0x7fc0
	v_cndmask_b32_sdwa v2, v3, v2, vcc_lo dst_sel:DWORD dst_unused:UNUSED_PAD src0_sel:DWORD src1_sel:WORD_1
	global_store_dword v[0:1], v2, off
.LBB9_1897:
	s_and_b32 vcc_lo, exec_lo, s6
	s_cbranch_vccz .LBB9_1902
; %bb.1898:
	s_cmp_eq_u32 s3, 44
	s_mov_b32 s0, -1
	s_cbranch_scc0 .LBB9_1902
; %bb.1899:
	v_cvt_f32_f64_e32 v2, v[4:5]
	v_mov_b32_e32 v3, 0xff
	s_mov_b32 s5, exec_lo
	v_bfe_u32 v6, v2, 23, 8
	v_cmpx_ne_u32_e32 0xff, v6
	s_cbranch_execz .LBB9_1901
; %bb.1900:
	v_and_b32_e32 v3, 0x400000, v2
	v_and_or_b32 v6, 0x3fffff, v2, v6
	v_lshrrev_b32_e32 v2, 23, v2
	v_cmp_ne_u32_e32 vcc_lo, 0, v3
	v_cmp_ne_u32_e64 s0, 0, v6
	s_and_b32 s0, vcc_lo, s0
	v_cndmask_b32_e64 v3, 0, 1, s0
	v_add_nc_u32_e32 v3, v2, v3
.LBB9_1901:
	s_or_b32 exec_lo, exec_lo, s5
	s_mov_b32 s0, 0
	s_mov_b32 s5, -1
	global_store_byte v[0:1], v3, off
.LBB9_1902:
	s_mov_b32 s6, 0
.LBB9_1903:
	s_and_b32 vcc_lo, exec_lo, s6
	s_cbranch_vccz .LBB9_1906
; %bb.1904:
	s_cmp_eq_u32 s3, 29
	s_mov_b32 s0, -1
	s_cbranch_scc0 .LBB9_1906
; %bb.1905:
	v_trunc_f64_e32 v[2:3], v[4:5]
	s_mov_b32 s0, 0
	s_mov_b32 s5, -1
	v_ldexp_f64 v[6:7], v[2:3], 0xffffffe0
	v_floor_f64_e32 v[6:7], v[6:7]
	v_fma_f64 v[2:3], 0xc1f00000, v[6:7], v[2:3]
	v_cvt_u32_f64_e32 v7, v[6:7]
	v_cvt_u32_f64_e32 v6, v[2:3]
	global_store_dwordx2 v[0:1], v[6:7], off
.LBB9_1906:
	s_mov_b32 s6, 0
.LBB9_1907:
	s_and_b32 vcc_lo, exec_lo, s6
	s_cbranch_vccz .LBB9_1923
; %bb.1908:
	s_cmp_lt_i32 s3, 27
	s_mov_b32 s5, -1
	s_cbranch_scc1 .LBB9_1914
; %bb.1909:
	s_cmp_gt_i32 s3, 27
	s_cbranch_scc0 .LBB9_1911
; %bb.1910:
	v_cvt_u32_f64_e32 v2, v[4:5]
	s_mov_b32 s5, 0
	global_store_dword v[0:1], v2, off
.LBB9_1911:
	s_andn2_b32 vcc_lo, exec_lo, s5
	s_cbranch_vccnz .LBB9_1913
; %bb.1912:
	v_cvt_u32_f64_e32 v2, v[4:5]
	global_store_short v[0:1], v2, off
.LBB9_1913:
	s_mov_b32 s5, 0
.LBB9_1914:
	s_andn2_b32 vcc_lo, exec_lo, s5
	s_cbranch_vccnz .LBB9_1922
; %bb.1915:
	v_cvt_f32_f64_e32 v2, v[4:5]
	v_mov_b32_e32 v6, 0x80
	s_mov_b32 s5, exec_lo
	v_and_b32_e32 v3, 0x7fffffff, v2
	v_cmpx_gt_u32_e32 0x43800000, v3
	s_cbranch_execz .LBB9_1921
; %bb.1916:
	v_cmp_lt_u32_e32 vcc_lo, 0x3bffffff, v3
	s_mov_b32 s6, 0
                                        ; implicit-def: $vgpr3
	s_and_saveexec_b32 s7, vcc_lo
	s_xor_b32 s7, exec_lo, s7
	s_cbranch_execz .LBB9_2212
; %bb.1917:
	v_bfe_u32 v3, v2, 20, 1
	s_mov_b32 s6, exec_lo
	v_add3_u32 v3, v2, v3, 0x487ffff
	v_lshrrev_b32_e32 v3, 20, v3
	s_andn2_saveexec_b32 s7, s7
	s_cbranch_execnz .LBB9_2213
.LBB9_1918:
	s_or_b32 exec_lo, exec_lo, s7
	v_mov_b32_e32 v6, 0
	s_and_saveexec_b32 s7, s6
.LBB9_1919:
	v_lshrrev_b32_e32 v2, 24, v2
	v_and_or_b32 v6, 0x80, v2, v3
.LBB9_1920:
	s_or_b32 exec_lo, exec_lo, s7
.LBB9_1921:
	s_or_b32 exec_lo, exec_lo, s5
	global_store_byte v[0:1], v6, off
.LBB9_1922:
	s_mov_b32 s5, -1
.LBB9_1923:
	s_mov_b32 s6, 0
.LBB9_1924:
	s_and_b32 vcc_lo, exec_lo, s6
	s_cbranch_vccz .LBB9_1964
; %bb.1925:
	s_cmp_gt_i32 s3, 22
	s_mov_b32 s4, -1
	s_cbranch_scc0 .LBB9_1957
; %bb.1926:
	s_cmp_lt_i32 s3, 24
	s_cbranch_scc1 .LBB9_1946
; %bb.1927:
	s_cmp_gt_i32 s3, 24
	s_cbranch_scc0 .LBB9_1935
; %bb.1928:
	v_cvt_f32_f64_e32 v2, v[4:5]
	v_mov_b32_e32 v6, 0x80
	s_mov_b32 s4, exec_lo
	v_and_b32_e32 v3, 0x7fffffff, v2
	v_cmpx_gt_u32_e32 0x47800000, v3
	s_cbranch_execz .LBB9_1934
; %bb.1929:
	v_cmp_lt_u32_e32 vcc_lo, 0x37ffffff, v3
	s_mov_b32 s5, 0
                                        ; implicit-def: $vgpr3
	s_and_saveexec_b32 s6, vcc_lo
	s_xor_b32 s6, exec_lo, s6
	s_cbranch_execz .LBB9_2215
; %bb.1930:
	v_bfe_u32 v3, v2, 21, 1
	s_mov_b32 s5, exec_lo
	v_add3_u32 v3, v2, v3, 0x88fffff
	v_lshrrev_b32_e32 v3, 21, v3
	s_andn2_saveexec_b32 s6, s6
	s_cbranch_execnz .LBB9_2216
.LBB9_1931:
	s_or_b32 exec_lo, exec_lo, s6
	v_mov_b32_e32 v6, 0
	s_and_saveexec_b32 s6, s5
.LBB9_1932:
	v_lshrrev_b32_e32 v2, 24, v2
	v_and_or_b32 v6, 0x80, v2, v3
.LBB9_1933:
	s_or_b32 exec_lo, exec_lo, s6
.LBB9_1934:
	s_or_b32 exec_lo, exec_lo, s4
	s_mov_b32 s4, 0
	global_store_byte v[0:1], v6, off
.LBB9_1935:
	s_and_b32 vcc_lo, exec_lo, s4
	s_cbranch_vccz .LBB9_1945
; %bb.1936:
	v_cvt_f32_f64_e32 v2, v[4:5]
	s_mov_b32 s4, exec_lo
                                        ; implicit-def: $vgpr3
	v_and_b32_e32 v6, 0x7fffffff, v2
	v_cmpx_gt_u32_e32 0x43f00000, v6
	s_xor_b32 s4, exec_lo, s4
	s_cbranch_execz .LBB9_1942
; %bb.1937:
	s_mov_b32 s5, exec_lo
                                        ; implicit-def: $vgpr3
	v_cmpx_lt_u32_e32 0x3c7fffff, v6
	s_xor_b32 s5, exec_lo, s5
; %bb.1938:
	v_bfe_u32 v3, v2, 20, 1
	v_add3_u32 v3, v2, v3, 0x407ffff
	v_and_b32_e32 v6, 0xff00000, v3
	v_lshrrev_b32_e32 v3, 20, v3
	v_cmp_ne_u32_e32 vcc_lo, 0x7f00000, v6
	v_cndmask_b32_e32 v3, 0x7e, v3, vcc_lo
; %bb.1939:
	s_andn2_saveexec_b32 s5, s5
; %bb.1940:
	v_add_f32_e64 v3, 0x46800000, |v2|
; %bb.1941:
	s_or_b32 exec_lo, exec_lo, s5
                                        ; implicit-def: $vgpr6
.LBB9_1942:
	s_andn2_saveexec_b32 s4, s4
; %bb.1943:
	v_mov_b32_e32 v3, 0x7f
	v_cmp_lt_u32_e32 vcc_lo, 0x7f800000, v6
	v_cndmask_b32_e32 v3, 0x7e, v3, vcc_lo
; %bb.1944:
	s_or_b32 exec_lo, exec_lo, s4
	v_lshrrev_b32_e32 v2, 24, v2
	v_and_or_b32 v2, 0x80, v2, v3
	global_store_byte v[0:1], v2, off
.LBB9_1945:
	s_mov_b32 s4, 0
.LBB9_1946:
	s_andn2_b32 vcc_lo, exec_lo, s4
	s_cbranch_vccnz .LBB9_1956
; %bb.1947:
	v_cvt_f32_f64_e32 v2, v[4:5]
	s_mov_b32 s4, exec_lo
                                        ; implicit-def: $vgpr3
	v_and_b32_e32 v6, 0x7fffffff, v2
	v_cmpx_gt_u32_e32 0x47800000, v6
	s_xor_b32 s4, exec_lo, s4
	s_cbranch_execz .LBB9_1953
; %bb.1948:
	s_mov_b32 s5, exec_lo
                                        ; implicit-def: $vgpr3
	v_cmpx_lt_u32_e32 0x387fffff, v6
	s_xor_b32 s5, exec_lo, s5
; %bb.1949:
	v_bfe_u32 v3, v2, 21, 1
	v_add3_u32 v3, v2, v3, 0x80fffff
	v_lshrrev_b32_e32 v3, 21, v3
; %bb.1950:
	s_andn2_saveexec_b32 s5, s5
; %bb.1951:
	v_add_f32_e64 v3, 0x43000000, |v2|
; %bb.1952:
	s_or_b32 exec_lo, exec_lo, s5
                                        ; implicit-def: $vgpr6
.LBB9_1953:
	s_andn2_saveexec_b32 s4, s4
; %bb.1954:
	v_mov_b32_e32 v3, 0x7f
	v_cmp_lt_u32_e32 vcc_lo, 0x7f800000, v6
	v_cndmask_b32_e32 v3, 0x7c, v3, vcc_lo
; %bb.1955:
	s_or_b32 exec_lo, exec_lo, s4
	v_lshrrev_b32_e32 v2, 24, v2
	v_and_or_b32 v2, 0x80, v2, v3
	global_store_byte v[0:1], v2, off
.LBB9_1956:
	s_mov_b32 s4, 0
	s_mov_b32 s5, -1
.LBB9_1957:
	s_andn2_b32 vcc_lo, exec_lo, s4
	s_mov_b32 s4, 0
	s_cbranch_vccnz .LBB9_1964
; %bb.1958:
	s_cmp_gt_i32 s3, 14
	s_mov_b32 s4, -1
	s_cbranch_scc0 .LBB9_1962
; %bb.1959:
	s_cmp_eq_u32 s3, 15
	s_mov_b32 s0, -1
	s_cbranch_scc0 .LBB9_1961
; %bb.1960:
	v_cvt_f32_f64_e32 v2, v[4:5]
	s_mov_b32 s0, 0
	s_mov_b32 s5, -1
	v_bfe_u32 v3, v2, 16, 1
	v_cmp_o_f32_e32 vcc_lo, v2, v2
	v_add3_u32 v2, v2, v3, 0x7fff
	v_mov_b32_e32 v3, 0x7fc0
	v_cndmask_b32_sdwa v2, v3, v2, vcc_lo dst_sel:DWORD dst_unused:UNUSED_PAD src0_sel:DWORD src1_sel:WORD_1
	global_store_short v[0:1], v2, off
.LBB9_1961:
	s_mov_b32 s4, 0
.LBB9_1962:
	s_and_b32 vcc_lo, exec_lo, s4
	s_mov_b32 s4, 0
	s_cbranch_vccz .LBB9_1964
; %bb.1963:
	s_cmp_lg_u32 s3, 11
	s_mov_b32 s4, -1
	s_cselect_b32 s0, -1, 0
.LBB9_1964:
	s_and_b32 vcc_lo, exec_lo, s0
	s_cbranch_vccnz .LBB9_2214
; %bb.1965:
	s_andn2_b32 vcc_lo, exec_lo, s4
	s_cbranch_vccnz .LBB9_1967
.LBB9_1966:
	v_cmp_neq_f64_e32 vcc_lo, 0, v[4:5]
	s_mov_b32 s5, -1
	v_cndmask_b32_e64 v2, 0, 1, vcc_lo
	global_store_byte v[0:1], v2, off
.LBB9_1967:
	s_mov_b32 s0, 0
	s_branch .LBB9_1969
.LBB9_1968:
	s_mov_b32 s0, -1
	s_mov_b32 s5, 0
.LBB9_1969:
	s_and_b32 vcc_lo, exec_lo, s0
	s_cbranch_vccz .LBB9_2008
; %bb.1970:
	s_and_b32 s0, 0xffff, s1
	s_mov_b32 s3, -1
	s_cmp_lt_i32 s0, 5
	s_cbranch_scc1 .LBB9_1991
; %bb.1971:
	s_cmp_lt_i32 s0, 8
	s_cbranch_scc1 .LBB9_1981
; %bb.1972:
	;; [unrolled: 3-line block ×3, first 2 shown]
	s_cmp_gt_i32 s0, 9
	s_cbranch_scc0 .LBB9_1975
; %bb.1974:
	v_mov_b32_e32 v6, 0
	s_mov_b32 s3, 0
	v_mov_b32_e32 v7, v6
	global_store_dwordx4 v[0:1], v[4:7], off
.LBB9_1975:
	s_andn2_b32 vcc_lo, exec_lo, s3
	s_cbranch_vccnz .LBB9_1977
; %bb.1976:
	v_cvt_f32_f64_e32 v2, v[4:5]
	v_mov_b32_e32 v3, 0
	global_store_dwordx2 v[0:1], v[2:3], off
.LBB9_1977:
	s_mov_b32 s3, 0
.LBB9_1978:
	s_andn2_b32 vcc_lo, exec_lo, s3
	s_cbranch_vccnz .LBB9_1980
; %bb.1979:
	v_and_or_b32 v2, 0x1ff, v5, v4
	v_lshrrev_b32_e32 v3, 8, v5
	v_bfe_u32 v6, v5, 20, 11
	v_cmp_ne_u32_e32 vcc_lo, 0, v2
	v_sub_nc_u32_e32 v7, 0x3f1, v6
	v_add_nc_u32_e32 v6, 0xfffffc10, v6
	v_cndmask_b32_e64 v2, 0, 1, vcc_lo
	v_and_or_b32 v2, 0xffe, v3, v2
	v_med3_i32 v3, v7, 0, 13
	v_or_b32_e32 v7, 0x1000, v2
	v_lshrrev_b32_e32 v11, v3, v7
	v_lshlrev_b32_e32 v3, v3, v11
	v_cmp_ne_u32_e32 vcc_lo, v3, v7
	v_lshl_or_b32 v7, v6, 12, v2
	v_cndmask_b32_e64 v3, 0, 1, vcc_lo
	v_cmp_gt_i32_e32 vcc_lo, 1, v6
	v_or_b32_e32 v3, v11, v3
	v_cndmask_b32_e32 v3, v7, v3, vcc_lo
	v_and_b32_e32 v7, 7, v3
	v_lshrrev_b32_e32 v3, 2, v3
	v_cmp_lt_i32_e32 vcc_lo, 5, v7
	v_cndmask_b32_e64 v11, 0, 1, vcc_lo
	v_cmp_eq_u32_e32 vcc_lo, 3, v7
	v_cndmask_b32_e64 v7, 0, 1, vcc_lo
	v_cmp_ne_u32_e32 vcc_lo, 0, v2
	v_or_b32_e32 v7, v7, v11
	v_mov_b32_e32 v11, 0x7e00
	v_add_nc_u32_e32 v3, v3, v7
	v_cndmask_b32_e32 v2, 0x7c00, v11, vcc_lo
	v_cmp_gt_i32_e32 vcc_lo, 31, v6
	v_cndmask_b32_e32 v3, 0x7c00, v3, vcc_lo
	v_cmp_eq_u32_e32 vcc_lo, 0x40f, v6
	v_cndmask_b32_e32 v2, v3, v2, vcc_lo
	v_lshrrev_b32_e32 v3, 16, v5
	v_and_or_b32 v2, 0x8000, v3, v2
	v_and_b32_e32 v2, 0xffff, v2
	global_store_dword v[0:1], v2, off
.LBB9_1980:
	s_mov_b32 s3, 0
.LBB9_1981:
	s_andn2_b32 vcc_lo, exec_lo, s3
	s_cbranch_vccnz .LBB9_1990
; %bb.1982:
	s_cmp_lt_i32 s0, 6
	s_mov_b32 s3, -1
	s_cbranch_scc1 .LBB9_1988
; %bb.1983:
	s_cmp_gt_i32 s0, 6
	s_cbranch_scc0 .LBB9_1985
; %bb.1984:
	s_mov_b32 s3, 0
	global_store_dwordx2 v[0:1], v[4:5], off
.LBB9_1985:
	s_andn2_b32 vcc_lo, exec_lo, s3
	s_cbranch_vccnz .LBB9_1987
; %bb.1986:
	v_cvt_f32_f64_e32 v2, v[4:5]
	global_store_dword v[0:1], v2, off
.LBB9_1987:
	s_mov_b32 s3, 0
.LBB9_1988:
	s_andn2_b32 vcc_lo, exec_lo, s3
	s_cbranch_vccnz .LBB9_1990
; %bb.1989:
	v_and_or_b32 v2, 0x1ff, v5, v4
	v_lshrrev_b32_e32 v3, 8, v5
	v_bfe_u32 v6, v5, 20, 11
	v_cmp_ne_u32_e32 vcc_lo, 0, v2
	v_sub_nc_u32_e32 v7, 0x3f1, v6
	v_add_nc_u32_e32 v6, 0xfffffc10, v6
	v_cndmask_b32_e64 v2, 0, 1, vcc_lo
	v_and_or_b32 v2, 0xffe, v3, v2
	v_med3_i32 v3, v7, 0, 13
	v_or_b32_e32 v7, 0x1000, v2
	v_lshrrev_b32_e32 v11, v3, v7
	v_lshlrev_b32_e32 v3, v3, v11
	v_cmp_ne_u32_e32 vcc_lo, v3, v7
	v_lshl_or_b32 v7, v6, 12, v2
	v_cndmask_b32_e64 v3, 0, 1, vcc_lo
	v_cmp_gt_i32_e32 vcc_lo, 1, v6
	v_or_b32_e32 v3, v11, v3
	v_cndmask_b32_e32 v3, v7, v3, vcc_lo
	v_and_b32_e32 v7, 7, v3
	v_lshrrev_b32_e32 v3, 2, v3
	v_cmp_lt_i32_e32 vcc_lo, 5, v7
	v_cndmask_b32_e64 v11, 0, 1, vcc_lo
	v_cmp_eq_u32_e32 vcc_lo, 3, v7
	v_cndmask_b32_e64 v7, 0, 1, vcc_lo
	v_cmp_ne_u32_e32 vcc_lo, 0, v2
	v_or_b32_e32 v7, v7, v11
	v_mov_b32_e32 v11, 0x7e00
	v_add_nc_u32_e32 v3, v3, v7
	v_cndmask_b32_e32 v2, 0x7c00, v11, vcc_lo
	v_cmp_gt_i32_e32 vcc_lo, 31, v6
	v_cndmask_b32_e32 v3, 0x7c00, v3, vcc_lo
	v_cmp_eq_u32_e32 vcc_lo, 0x40f, v6
	v_cndmask_b32_e32 v2, v3, v2, vcc_lo
	v_lshrrev_b32_e32 v3, 16, v5
	v_and_or_b32 v2, 0x8000, v3, v2
	global_store_short v[0:1], v2, off
.LBB9_1990:
	s_mov_b32 s3, 0
.LBB9_1991:
	s_andn2_b32 vcc_lo, exec_lo, s3
	s_cbranch_vccnz .LBB9_2007
; %bb.1992:
	s_cmp_lt_i32 s0, 2
	s_mov_b32 s3, -1
	s_cbranch_scc1 .LBB9_2002
; %bb.1993:
	s_cmp_lt_i32 s0, 3
	s_cbranch_scc1 .LBB9_1999
; %bb.1994:
	s_cmp_gt_i32 s0, 3
	s_cbranch_scc0 .LBB9_1996
; %bb.1995:
	v_trunc_f64_e32 v[2:3], v[4:5]
	s_mov_b32 s3, 0
	v_ldexp_f64 v[6:7], v[2:3], 0xffffffe0
	v_floor_f64_e32 v[6:7], v[6:7]
	v_fma_f64 v[2:3], 0xc1f00000, v[6:7], v[2:3]
	v_cvt_i32_f64_e32 v7, v[6:7]
	v_cvt_u32_f64_e32 v6, v[2:3]
	global_store_dwordx2 v[0:1], v[6:7], off
.LBB9_1996:
	s_andn2_b32 vcc_lo, exec_lo, s3
	s_cbranch_vccnz .LBB9_1998
; %bb.1997:
	v_cvt_i32_f64_e32 v2, v[4:5]
	global_store_dword v[0:1], v2, off
.LBB9_1998:
	s_mov_b32 s3, 0
.LBB9_1999:
	s_andn2_b32 vcc_lo, exec_lo, s3
	s_cbranch_vccnz .LBB9_2001
; %bb.2000:
	v_cvt_i32_f64_e32 v2, v[4:5]
	global_store_short v[0:1], v2, off
.LBB9_2001:
	s_mov_b32 s3, 0
.LBB9_2002:
	s_andn2_b32 vcc_lo, exec_lo, s3
	s_cbranch_vccnz .LBB9_2007
; %bb.2003:
	s_cmp_gt_i32 s0, 0
	s_mov_b32 s0, -1
	s_cbranch_scc0 .LBB9_2005
; %bb.2004:
	v_cvt_i32_f64_e32 v2, v[4:5]
	s_mov_b32 s0, 0
	global_store_byte v[0:1], v2, off
.LBB9_2005:
	s_andn2_b32 vcc_lo, exec_lo, s0
	s_cbranch_vccnz .LBB9_2007
; %bb.2006:
	v_trunc_f64_e32 v[2:3], v[4:5]
	v_ldexp_f64 v[4:5], v[2:3], 0xffffffe0
	v_floor_f64_e32 v[4:5], v[4:5]
	v_fma_f64 v[2:3], 0xc1f00000, v[4:5], v[2:3]
	v_cvt_u32_f64_e32 v2, v[2:3]
	global_store_byte v[0:1], v2, off
.LBB9_2007:
	s_mov_b32 s5, -1
.LBB9_2008:
	s_andn2_b32 vcc_lo, exec_lo, s5
	s_cbranch_vccnz .LBB9_2204
; %bb.2009:
	v_add_co_u32 v0, s0, s8, v10
	v_add_co_ci_u32_e64 v1, null, s9, 0, s0
	s_cmp_lt_i32 s1, 11
	s_cbranch_scc1 .LBB9_2087
; %bb.2010:
	s_and_b32 s3, 0xffff, s1
	s_mov_b32 s6, -1
	s_mov_b32 s4, 0
	s_cmp_gt_i32 s3, 25
	s_mov_b32 s5, 0
	s_mov_b32 s0, 0
	s_cbranch_scc0 .LBB9_2043
; %bb.2011:
	s_cmp_gt_i32 s3, 28
	s_cbranch_scc0 .LBB9_2026
; %bb.2012:
	s_cmp_gt_i32 s3, 43
	;; [unrolled: 3-line block ×3, first 2 shown]
	s_cbranch_scc0 .LBB9_2016
; %bb.2014:
	s_mov_b32 s0, -1
	s_mov_b32 s6, 0
	s_cmp_eq_u32 s3, 46
	s_cbranch_scc0 .LBB9_2016
; %bb.2015:
	v_cvt_f32_f64_e32 v2, v[8:9]
	s_mov_b32 s0, 0
	s_mov_b32 s5, -1
	v_bfe_u32 v3, v2, 16, 1
	v_cmp_o_f32_e32 vcc_lo, v2, v2
	v_add3_u32 v2, v2, v3, 0x7fff
	v_mov_b32_e32 v3, 0x7fc0
	v_cndmask_b32_sdwa v2, v3, v2, vcc_lo dst_sel:DWORD dst_unused:UNUSED_PAD src0_sel:DWORD src1_sel:WORD_1
	global_store_dword v[0:1], v2, off
.LBB9_2016:
	s_and_b32 vcc_lo, exec_lo, s6
	s_cbranch_vccz .LBB9_2021
; %bb.2017:
	s_cmp_eq_u32 s3, 44
	s_mov_b32 s0, -1
	s_cbranch_scc0 .LBB9_2021
; %bb.2018:
	v_cvt_f32_f64_e32 v2, v[8:9]
	v_mov_b32_e32 v3, 0xff
	s_mov_b32 s5, exec_lo
	v_bfe_u32 v4, v2, 23, 8
	v_cmpx_ne_u32_e32 0xff, v4
	s_cbranch_execz .LBB9_2020
; %bb.2019:
	v_and_b32_e32 v3, 0x400000, v2
	v_and_or_b32 v4, 0x3fffff, v2, v4
	v_lshrrev_b32_e32 v2, 23, v2
	v_cmp_ne_u32_e32 vcc_lo, 0, v3
	v_cmp_ne_u32_e64 s0, 0, v4
	s_and_b32 s0, vcc_lo, s0
	v_cndmask_b32_e64 v3, 0, 1, s0
	v_add_nc_u32_e32 v3, v2, v3
.LBB9_2020:
	s_or_b32 exec_lo, exec_lo, s5
	s_mov_b32 s0, 0
	s_mov_b32 s5, -1
	global_store_byte v[0:1], v3, off
.LBB9_2021:
	s_mov_b32 s6, 0
.LBB9_2022:
	s_and_b32 vcc_lo, exec_lo, s6
	s_cbranch_vccz .LBB9_2025
; %bb.2023:
	s_cmp_eq_u32 s3, 29
	s_mov_b32 s0, -1
	s_cbranch_scc0 .LBB9_2025
; %bb.2024:
	v_trunc_f64_e32 v[2:3], v[8:9]
	s_mov_b32 s0, 0
	s_mov_b32 s5, -1
	v_ldexp_f64 v[4:5], v[2:3], 0xffffffe0
	v_floor_f64_e32 v[4:5], v[4:5]
	v_fma_f64 v[2:3], 0xc1f00000, v[4:5], v[2:3]
	v_cvt_u32_f64_e32 v4, v[4:5]
	v_cvt_u32_f64_e32 v3, v[2:3]
	global_store_dwordx2 v[0:1], v[3:4], off
.LBB9_2025:
	s_mov_b32 s6, 0
.LBB9_2026:
	s_and_b32 vcc_lo, exec_lo, s6
	s_cbranch_vccz .LBB9_2042
; %bb.2027:
	s_cmp_lt_i32 s3, 27
	s_mov_b32 s5, -1
	s_cbranch_scc1 .LBB9_2033
; %bb.2028:
	v_cvt_u32_f64_e32 v2, v[8:9]
	s_cmp_gt_i32 s3, 27
	s_cbranch_scc0 .LBB9_2030
; %bb.2029:
	s_mov_b32 s5, 0
	global_store_dword v[0:1], v2, off
.LBB9_2030:
	s_andn2_b32 vcc_lo, exec_lo, s5
	s_cbranch_vccnz .LBB9_2032
; %bb.2031:
	global_store_short v[0:1], v2, off
.LBB9_2032:
	s_mov_b32 s5, 0
.LBB9_2033:
	s_andn2_b32 vcc_lo, exec_lo, s5
	s_cbranch_vccnz .LBB9_2041
; %bb.2034:
	v_cvt_f32_f64_e32 v2, v[8:9]
	v_mov_b32_e32 v4, 0x80
	s_mov_b32 s5, exec_lo
	v_and_b32_e32 v3, 0x7fffffff, v2
	v_cmpx_gt_u32_e32 0x43800000, v3
	s_cbranch_execz .LBB9_2040
; %bb.2035:
	v_cmp_lt_u32_e32 vcc_lo, 0x3bffffff, v3
	s_mov_b32 s6, 0
                                        ; implicit-def: $vgpr3
	s_and_saveexec_b32 s7, vcc_lo
	s_xor_b32 s7, exec_lo, s7
	s_cbranch_execz .LBB9_2217
; %bb.2036:
	v_bfe_u32 v3, v2, 20, 1
	s_mov_b32 s6, exec_lo
	v_add3_u32 v3, v2, v3, 0x487ffff
	v_lshrrev_b32_e32 v3, 20, v3
	s_andn2_saveexec_b32 s7, s7
	s_cbranch_execnz .LBB9_2218
.LBB9_2037:
	s_or_b32 exec_lo, exec_lo, s7
	v_mov_b32_e32 v4, 0
	s_and_saveexec_b32 s7, s6
.LBB9_2038:
	v_lshrrev_b32_e32 v2, 24, v2
	v_and_or_b32 v4, 0x80, v2, v3
.LBB9_2039:
	s_or_b32 exec_lo, exec_lo, s7
.LBB9_2040:
	s_or_b32 exec_lo, exec_lo, s5
	global_store_byte v[0:1], v4, off
.LBB9_2041:
	s_mov_b32 s5, -1
.LBB9_2042:
	s_mov_b32 s6, 0
.LBB9_2043:
	s_and_b32 vcc_lo, exec_lo, s6
	s_cbranch_vccz .LBB9_2083
; %bb.2044:
	s_cmp_gt_i32 s3, 22
	s_mov_b32 s4, -1
	s_cbranch_scc0 .LBB9_2076
; %bb.2045:
	s_cmp_lt_i32 s3, 24
	s_cbranch_scc1 .LBB9_2065
; %bb.2046:
	s_cmp_gt_i32 s3, 24
	s_cbranch_scc0 .LBB9_2054
; %bb.2047:
	v_cvt_f32_f64_e32 v2, v[8:9]
	v_mov_b32_e32 v4, 0x80
	s_mov_b32 s4, exec_lo
	v_and_b32_e32 v3, 0x7fffffff, v2
	v_cmpx_gt_u32_e32 0x47800000, v3
	s_cbranch_execz .LBB9_2053
; %bb.2048:
	v_cmp_lt_u32_e32 vcc_lo, 0x37ffffff, v3
	s_mov_b32 s5, 0
                                        ; implicit-def: $vgpr3
	s_and_saveexec_b32 s6, vcc_lo
	s_xor_b32 s6, exec_lo, s6
	s_cbranch_execz .LBB9_2220
; %bb.2049:
	v_bfe_u32 v3, v2, 21, 1
	s_mov_b32 s5, exec_lo
	v_add3_u32 v3, v2, v3, 0x88fffff
	v_lshrrev_b32_e32 v3, 21, v3
	s_andn2_saveexec_b32 s6, s6
	s_cbranch_execnz .LBB9_2221
.LBB9_2050:
	s_or_b32 exec_lo, exec_lo, s6
	v_mov_b32_e32 v4, 0
	s_and_saveexec_b32 s6, s5
.LBB9_2051:
	v_lshrrev_b32_e32 v2, 24, v2
	v_and_or_b32 v4, 0x80, v2, v3
.LBB9_2052:
	s_or_b32 exec_lo, exec_lo, s6
.LBB9_2053:
	s_or_b32 exec_lo, exec_lo, s4
	s_mov_b32 s4, 0
	global_store_byte v[0:1], v4, off
.LBB9_2054:
	s_and_b32 vcc_lo, exec_lo, s4
	s_cbranch_vccz .LBB9_2064
; %bb.2055:
	v_cvt_f32_f64_e32 v2, v[8:9]
	s_mov_b32 s4, exec_lo
                                        ; implicit-def: $vgpr3
	v_and_b32_e32 v4, 0x7fffffff, v2
	v_cmpx_gt_u32_e32 0x43f00000, v4
	s_xor_b32 s4, exec_lo, s4
	s_cbranch_execz .LBB9_2061
; %bb.2056:
	s_mov_b32 s5, exec_lo
                                        ; implicit-def: $vgpr3
	v_cmpx_lt_u32_e32 0x3c7fffff, v4
	s_xor_b32 s5, exec_lo, s5
; %bb.2057:
	v_bfe_u32 v3, v2, 20, 1
	v_add3_u32 v3, v2, v3, 0x407ffff
	v_and_b32_e32 v4, 0xff00000, v3
	v_lshrrev_b32_e32 v3, 20, v3
	v_cmp_ne_u32_e32 vcc_lo, 0x7f00000, v4
	v_cndmask_b32_e32 v3, 0x7e, v3, vcc_lo
; %bb.2058:
	s_andn2_saveexec_b32 s5, s5
; %bb.2059:
	v_add_f32_e64 v3, 0x46800000, |v2|
; %bb.2060:
	s_or_b32 exec_lo, exec_lo, s5
                                        ; implicit-def: $vgpr4
.LBB9_2061:
	s_andn2_saveexec_b32 s4, s4
; %bb.2062:
	v_mov_b32_e32 v3, 0x7f
	v_cmp_lt_u32_e32 vcc_lo, 0x7f800000, v4
	v_cndmask_b32_e32 v3, 0x7e, v3, vcc_lo
; %bb.2063:
	s_or_b32 exec_lo, exec_lo, s4
	v_lshrrev_b32_e32 v2, 24, v2
	v_and_or_b32 v2, 0x80, v2, v3
	global_store_byte v[0:1], v2, off
.LBB9_2064:
	s_mov_b32 s4, 0
.LBB9_2065:
	s_andn2_b32 vcc_lo, exec_lo, s4
	s_cbranch_vccnz .LBB9_2075
; %bb.2066:
	v_cvt_f32_f64_e32 v2, v[8:9]
	s_mov_b32 s4, exec_lo
                                        ; implicit-def: $vgpr3
	v_and_b32_e32 v4, 0x7fffffff, v2
	v_cmpx_gt_u32_e32 0x47800000, v4
	s_xor_b32 s4, exec_lo, s4
	s_cbranch_execz .LBB9_2072
; %bb.2067:
	s_mov_b32 s5, exec_lo
                                        ; implicit-def: $vgpr3
	v_cmpx_lt_u32_e32 0x387fffff, v4
	s_xor_b32 s5, exec_lo, s5
; %bb.2068:
	v_bfe_u32 v3, v2, 21, 1
	v_add3_u32 v3, v2, v3, 0x80fffff
	v_lshrrev_b32_e32 v3, 21, v3
; %bb.2069:
	s_andn2_saveexec_b32 s5, s5
; %bb.2070:
	v_add_f32_e64 v3, 0x43000000, |v2|
; %bb.2071:
	s_or_b32 exec_lo, exec_lo, s5
                                        ; implicit-def: $vgpr4
.LBB9_2072:
	s_andn2_saveexec_b32 s4, s4
; %bb.2073:
	v_mov_b32_e32 v3, 0x7f
	v_cmp_lt_u32_e32 vcc_lo, 0x7f800000, v4
	v_cndmask_b32_e32 v3, 0x7c, v3, vcc_lo
; %bb.2074:
	s_or_b32 exec_lo, exec_lo, s4
	v_lshrrev_b32_e32 v2, 24, v2
	v_and_or_b32 v2, 0x80, v2, v3
	global_store_byte v[0:1], v2, off
.LBB9_2075:
	s_mov_b32 s4, 0
	s_mov_b32 s5, -1
.LBB9_2076:
	s_andn2_b32 vcc_lo, exec_lo, s4
	s_mov_b32 s4, 0
	s_cbranch_vccnz .LBB9_2083
; %bb.2077:
	s_cmp_gt_i32 s3, 14
	s_mov_b32 s4, -1
	s_cbranch_scc0 .LBB9_2081
; %bb.2078:
	s_cmp_eq_u32 s3, 15
	s_mov_b32 s0, -1
	s_cbranch_scc0 .LBB9_2080
; %bb.2079:
	v_cvt_f32_f64_e32 v2, v[8:9]
	s_mov_b32 s0, 0
	s_mov_b32 s5, -1
	v_bfe_u32 v3, v2, 16, 1
	v_cmp_o_f32_e32 vcc_lo, v2, v2
	v_add3_u32 v2, v2, v3, 0x7fff
	v_mov_b32_e32 v3, 0x7fc0
	v_cndmask_b32_sdwa v2, v3, v2, vcc_lo dst_sel:DWORD dst_unused:UNUSED_PAD src0_sel:DWORD src1_sel:WORD_1
	global_store_short v[0:1], v2, off
.LBB9_2080:
	s_mov_b32 s4, 0
.LBB9_2081:
	s_and_b32 vcc_lo, exec_lo, s4
	s_mov_b32 s4, 0
	s_cbranch_vccz .LBB9_2083
; %bb.2082:
	s_cmp_lg_u32 s3, 11
	s_mov_b32 s4, -1
	s_cselect_b32 s0, -1, 0
.LBB9_2083:
	s_and_b32 vcc_lo, exec_lo, s0
	s_cbranch_vccnz .LBB9_2219
; %bb.2084:
	s_andn2_b32 vcc_lo, exec_lo, s4
	s_cbranch_vccnz .LBB9_2086
.LBB9_2085:
	v_cmp_neq_f64_e32 vcc_lo, 0, v[8:9]
	s_mov_b32 s5, -1
	v_cndmask_b32_e64 v2, 0, 1, vcc_lo
	global_store_byte v[0:1], v2, off
.LBB9_2086:
	s_mov_b32 s0, 0
	s_branch .LBB9_2088
.LBB9_2087:
	s_mov_b32 s0, -1
	s_mov_b32 s5, 0
.LBB9_2088:
	s_and_b32 vcc_lo, exec_lo, s0
	s_cbranch_vccz .LBB9_2127
; %bb.2089:
	s_and_b32 s0, 0xffff, s1
	s_mov_b32 s3, -1
	s_cmp_lt_i32 s0, 5
	s_cbranch_scc1 .LBB9_2110
; %bb.2090:
	s_cmp_lt_i32 s0, 8
	s_cbranch_scc1 .LBB9_2100
; %bb.2091:
	;; [unrolled: 3-line block ×3, first 2 shown]
	s_cmp_gt_i32 s0, 9
	s_cbranch_scc0 .LBB9_2094
; %bb.2093:
	v_mov_b32_e32 v10, 0
	s_mov_b32 s3, 0
	v_mov_b32_e32 v11, v10
	global_store_dwordx4 v[0:1], v[8:11], off
.LBB9_2094:
	s_andn2_b32 vcc_lo, exec_lo, s3
	s_cbranch_vccnz .LBB9_2096
; %bb.2095:
	v_cvt_f32_f64_e32 v2, v[8:9]
	v_mov_b32_e32 v3, 0
	global_store_dwordx2 v[0:1], v[2:3], off
.LBB9_2096:
	s_mov_b32 s3, 0
.LBB9_2097:
	s_andn2_b32 vcc_lo, exec_lo, s3
	s_cbranch_vccnz .LBB9_2099
; %bb.2098:
	v_and_or_b32 v2, 0x1ff, v9, v8
	v_lshrrev_b32_e32 v3, 8, v9
	v_bfe_u32 v4, v9, 20, 11
	v_cmp_ne_u32_e32 vcc_lo, 0, v2
	v_sub_nc_u32_e32 v5, 0x3f1, v4
	v_add_nc_u32_e32 v4, 0xfffffc10, v4
	v_cndmask_b32_e64 v2, 0, 1, vcc_lo
	v_and_or_b32 v2, 0xffe, v3, v2
	v_med3_i32 v3, v5, 0, 13
	v_or_b32_e32 v5, 0x1000, v2
	v_lshrrev_b32_e32 v6, v3, v5
	v_lshlrev_b32_e32 v3, v3, v6
	v_cmp_ne_u32_e32 vcc_lo, v3, v5
	v_lshl_or_b32 v5, v4, 12, v2
	v_cndmask_b32_e64 v3, 0, 1, vcc_lo
	v_cmp_gt_i32_e32 vcc_lo, 1, v4
	v_or_b32_e32 v3, v6, v3
	v_cndmask_b32_e32 v3, v5, v3, vcc_lo
	v_and_b32_e32 v5, 7, v3
	v_lshrrev_b32_e32 v3, 2, v3
	v_cmp_lt_i32_e32 vcc_lo, 5, v5
	v_cndmask_b32_e64 v6, 0, 1, vcc_lo
	v_cmp_eq_u32_e32 vcc_lo, 3, v5
	v_cndmask_b32_e64 v5, 0, 1, vcc_lo
	v_cmp_ne_u32_e32 vcc_lo, 0, v2
	v_or_b32_e32 v5, v5, v6
	v_mov_b32_e32 v6, 0x7e00
	v_add_nc_u32_e32 v3, v3, v5
	v_cndmask_b32_e32 v2, 0x7c00, v6, vcc_lo
	v_cmp_gt_i32_e32 vcc_lo, 31, v4
	v_cndmask_b32_e32 v3, 0x7c00, v3, vcc_lo
	v_cmp_eq_u32_e32 vcc_lo, 0x40f, v4
	v_cndmask_b32_e32 v2, v3, v2, vcc_lo
	v_lshrrev_b32_e32 v3, 16, v9
	v_and_or_b32 v2, 0x8000, v3, v2
	v_and_b32_e32 v2, 0xffff, v2
	global_store_dword v[0:1], v2, off
.LBB9_2099:
	s_mov_b32 s3, 0
.LBB9_2100:
	s_andn2_b32 vcc_lo, exec_lo, s3
	s_cbranch_vccnz .LBB9_2109
; %bb.2101:
	s_cmp_lt_i32 s0, 6
	s_mov_b32 s3, -1
	s_cbranch_scc1 .LBB9_2107
; %bb.2102:
	s_cmp_gt_i32 s0, 6
	s_cbranch_scc0 .LBB9_2104
; %bb.2103:
	s_mov_b32 s3, 0
	global_store_dwordx2 v[0:1], v[8:9], off
.LBB9_2104:
	s_andn2_b32 vcc_lo, exec_lo, s3
	s_cbranch_vccnz .LBB9_2106
; %bb.2105:
	v_cvt_f32_f64_e32 v2, v[8:9]
	global_store_dword v[0:1], v2, off
.LBB9_2106:
	s_mov_b32 s3, 0
.LBB9_2107:
	s_andn2_b32 vcc_lo, exec_lo, s3
	s_cbranch_vccnz .LBB9_2109
; %bb.2108:
	v_and_or_b32 v2, 0x1ff, v9, v8
	v_lshrrev_b32_e32 v3, 8, v9
	v_bfe_u32 v4, v9, 20, 11
	v_cmp_ne_u32_e32 vcc_lo, 0, v2
	v_sub_nc_u32_e32 v5, 0x3f1, v4
	v_add_nc_u32_e32 v4, 0xfffffc10, v4
	v_cndmask_b32_e64 v2, 0, 1, vcc_lo
	v_and_or_b32 v2, 0xffe, v3, v2
	v_med3_i32 v3, v5, 0, 13
	v_or_b32_e32 v5, 0x1000, v2
	v_lshrrev_b32_e32 v6, v3, v5
	v_lshlrev_b32_e32 v3, v3, v6
	v_cmp_ne_u32_e32 vcc_lo, v3, v5
	v_lshl_or_b32 v5, v4, 12, v2
	v_cndmask_b32_e64 v3, 0, 1, vcc_lo
	v_cmp_gt_i32_e32 vcc_lo, 1, v4
	v_or_b32_e32 v3, v6, v3
	v_cndmask_b32_e32 v3, v5, v3, vcc_lo
	v_and_b32_e32 v5, 7, v3
	v_lshrrev_b32_e32 v3, 2, v3
	v_cmp_lt_i32_e32 vcc_lo, 5, v5
	v_cndmask_b32_e64 v6, 0, 1, vcc_lo
	v_cmp_eq_u32_e32 vcc_lo, 3, v5
	v_cndmask_b32_e64 v5, 0, 1, vcc_lo
	v_cmp_ne_u32_e32 vcc_lo, 0, v2
	v_or_b32_e32 v5, v5, v6
	v_mov_b32_e32 v6, 0x7e00
	v_add_nc_u32_e32 v3, v3, v5
	v_cndmask_b32_e32 v2, 0x7c00, v6, vcc_lo
	v_cmp_gt_i32_e32 vcc_lo, 31, v4
	v_cndmask_b32_e32 v3, 0x7c00, v3, vcc_lo
	v_cmp_eq_u32_e32 vcc_lo, 0x40f, v4
	v_cndmask_b32_e32 v2, v3, v2, vcc_lo
	v_lshrrev_b32_e32 v3, 16, v9
	v_and_or_b32 v2, 0x8000, v3, v2
	global_store_short v[0:1], v2, off
.LBB9_2109:
	s_mov_b32 s3, 0
.LBB9_2110:
	s_andn2_b32 vcc_lo, exec_lo, s3
	s_cbranch_vccnz .LBB9_2126
; %bb.2111:
	s_cmp_lt_i32 s0, 2
	s_mov_b32 s3, -1
	s_cbranch_scc1 .LBB9_2121
; %bb.2112:
	s_cmp_lt_i32 s0, 3
	s_cbranch_scc1 .LBB9_2118
; %bb.2113:
	s_cmp_gt_i32 s0, 3
	s_cbranch_scc0 .LBB9_2115
; %bb.2114:
	v_trunc_f64_e32 v[2:3], v[8:9]
	s_mov_b32 s3, 0
	v_ldexp_f64 v[4:5], v[2:3], 0xffffffe0
	v_floor_f64_e32 v[4:5], v[4:5]
	v_fma_f64 v[2:3], 0xc1f00000, v[4:5], v[2:3]
	v_cvt_i32_f64_e32 v4, v[4:5]
	v_cvt_u32_f64_e32 v3, v[2:3]
	global_store_dwordx2 v[0:1], v[3:4], off
.LBB9_2115:
	s_andn2_b32 vcc_lo, exec_lo, s3
	s_cbranch_vccnz .LBB9_2117
; %bb.2116:
	v_cvt_i32_f64_e32 v2, v[8:9]
	global_store_dword v[0:1], v2, off
.LBB9_2117:
	s_mov_b32 s3, 0
.LBB9_2118:
	s_andn2_b32 vcc_lo, exec_lo, s3
	s_cbranch_vccnz .LBB9_2120
; %bb.2119:
	v_cvt_i32_f64_e32 v2, v[8:9]
	global_store_short v[0:1], v2, off
.LBB9_2120:
	s_mov_b32 s3, 0
.LBB9_2121:
	s_andn2_b32 vcc_lo, exec_lo, s3
	s_cbranch_vccnz .LBB9_2126
; %bb.2122:
	s_cmp_gt_i32 s0, 0
	s_mov_b32 s0, -1
	s_cbranch_scc0 .LBB9_2124
; %bb.2123:
	v_cvt_i32_f64_e32 v2, v[8:9]
	s_mov_b32 s0, 0
	global_store_byte v[0:1], v2, off
.LBB9_2124:
	s_andn2_b32 vcc_lo, exec_lo, s0
	s_cbranch_vccnz .LBB9_2126
; %bb.2125:
	v_trunc_f64_e32 v[2:3], v[8:9]
	v_ldexp_f64 v[4:5], v[2:3], 0xffffffe0
	v_floor_f64_e32 v[4:5], v[4:5]
	v_fma_f64 v[2:3], 0xc1f00000, v[4:5], v[2:3]
	v_cvt_u32_f64_e32 v2, v[2:3]
	global_store_byte v[0:1], v2, off
.LBB9_2126:
	s_mov_b32 s5, -1
.LBB9_2127:
	s_andn2_b32 vcc_lo, exec_lo, s5
	s_cbranch_vccnz .LBB9_2204
; %bb.2128:
	v_add_co_u32 v0, s0, s8, v14
	v_add_co_ci_u32_e64 v1, null, s9, 0, s0
	s_cmp_lt_i32 s1, 11
	s_cbranch_scc1 .LBB9_2205
; %bb.2129:
	s_and_b32 s3, 0xffff, s1
	s_mov_b32 s5, -1
	s_mov_b32 s4, 0
	s_cmp_gt_i32 s3, 25
	s_mov_b32 s0, 0
	s_cbranch_scc0 .LBB9_2162
; %bb.2130:
	s_cmp_gt_i32 s3, 28
	s_cbranch_scc0 .LBB9_2146
; %bb.2131:
	s_cmp_gt_i32 s3, 43
	;; [unrolled: 3-line block ×3, first 2 shown]
	s_cbranch_scc0 .LBB9_2136
; %bb.2133:
	s_cmp_eq_u32 s3, 46
	s_mov_b32 s0, -1
	s_cbranch_scc0 .LBB9_2135
; %bb.2134:
	v_cvt_f32_f64_e32 v2, v[12:13]
	s_mov_b32 s0, 0
	v_bfe_u32 v3, v2, 16, 1
	v_cmp_o_f32_e32 vcc_lo, v2, v2
	v_add3_u32 v2, v2, v3, 0x7fff
	v_mov_b32_e32 v3, 0x7fc0
	v_cndmask_b32_sdwa v2, v3, v2, vcc_lo dst_sel:DWORD dst_unused:UNUSED_PAD src0_sel:DWORD src1_sel:WORD_1
	global_store_dword v[0:1], v2, off
.LBB9_2135:
	s_mov_b32 s5, 0
.LBB9_2136:
	s_and_b32 vcc_lo, exec_lo, s5
	s_cbranch_vccz .LBB9_2141
; %bb.2137:
	s_cmp_eq_u32 s3, 44
	s_mov_b32 s0, -1
	s_cbranch_scc0 .LBB9_2141
; %bb.2138:
	v_cvt_f32_f64_e32 v2, v[12:13]
	v_mov_b32_e32 v3, 0xff
	s_mov_b32 s5, exec_lo
	v_bfe_u32 v4, v2, 23, 8
	v_cmpx_ne_u32_e32 0xff, v4
	s_cbranch_execz .LBB9_2140
; %bb.2139:
	v_and_b32_e32 v3, 0x400000, v2
	v_and_or_b32 v4, 0x3fffff, v2, v4
	v_lshrrev_b32_e32 v2, 23, v2
	v_cmp_ne_u32_e32 vcc_lo, 0, v3
	v_cmp_ne_u32_e64 s0, 0, v4
	s_and_b32 s0, vcc_lo, s0
	v_cndmask_b32_e64 v3, 0, 1, s0
	v_add_nc_u32_e32 v3, v2, v3
.LBB9_2140:
	s_or_b32 exec_lo, exec_lo, s5
	s_mov_b32 s0, 0
	global_store_byte v[0:1], v3, off
.LBB9_2141:
	s_mov_b32 s5, 0
.LBB9_2142:
	s_and_b32 vcc_lo, exec_lo, s5
	s_cbranch_vccz .LBB9_2145
; %bb.2143:
	s_cmp_eq_u32 s3, 29
	s_mov_b32 s0, -1
	s_cbranch_scc0 .LBB9_2145
; %bb.2144:
	v_trunc_f64_e32 v[2:3], v[12:13]
	s_mov_b32 s0, 0
	v_ldexp_f64 v[4:5], v[2:3], 0xffffffe0
	v_floor_f64_e32 v[4:5], v[4:5]
	v_fma_f64 v[2:3], 0xc1f00000, v[4:5], v[2:3]
	v_cvt_u32_f64_e32 v4, v[4:5]
	v_cvt_u32_f64_e32 v3, v[2:3]
	global_store_dwordx2 v[0:1], v[3:4], off
.LBB9_2145:
	s_mov_b32 s5, 0
.LBB9_2146:
	s_and_b32 vcc_lo, exec_lo, s5
	s_cbranch_vccz .LBB9_2161
; %bb.2147:
	s_cmp_lt_i32 s3, 27
	s_mov_b32 s5, -1
	s_cbranch_scc1 .LBB9_2153
; %bb.2148:
	s_cmp_gt_i32 s3, 27
	s_cbranch_scc0 .LBB9_2150
; %bb.2149:
	v_cvt_u32_f64_e32 v2, v[12:13]
	s_mov_b32 s5, 0
	global_store_dword v[0:1], v2, off
.LBB9_2150:
	s_andn2_b32 vcc_lo, exec_lo, s5
	s_cbranch_vccnz .LBB9_2152
; %bb.2151:
	v_cvt_u32_f64_e32 v2, v[12:13]
	global_store_short v[0:1], v2, off
.LBB9_2152:
	s_mov_b32 s5, 0
.LBB9_2153:
	s_andn2_b32 vcc_lo, exec_lo, s5
	s_cbranch_vccnz .LBB9_2161
; %bb.2154:
	v_cvt_f32_f64_e32 v2, v[12:13]
	v_mov_b32_e32 v4, 0x80
	s_mov_b32 s5, exec_lo
	v_and_b32_e32 v3, 0x7fffffff, v2
	v_cmpx_gt_u32_e32 0x43800000, v3
	s_cbranch_execz .LBB9_2160
; %bb.2155:
	v_cmp_lt_u32_e32 vcc_lo, 0x3bffffff, v3
	s_mov_b32 s6, 0
                                        ; implicit-def: $vgpr3
	s_and_saveexec_b32 s7, vcc_lo
	s_xor_b32 s7, exec_lo, s7
	s_cbranch_execz .LBB9_2222
; %bb.2156:
	v_bfe_u32 v3, v2, 20, 1
	s_mov_b32 s6, exec_lo
	v_add3_u32 v3, v2, v3, 0x487ffff
	v_lshrrev_b32_e32 v3, 20, v3
	s_andn2_saveexec_b32 s7, s7
	s_cbranch_execnz .LBB9_2223
.LBB9_2157:
	s_or_b32 exec_lo, exec_lo, s7
	v_mov_b32_e32 v4, 0
	s_and_saveexec_b32 s7, s6
.LBB9_2158:
	v_lshrrev_b32_e32 v2, 24, v2
	v_and_or_b32 v4, 0x80, v2, v3
.LBB9_2159:
	s_or_b32 exec_lo, exec_lo, s7
.LBB9_2160:
	s_or_b32 exec_lo, exec_lo, s5
	global_store_byte v[0:1], v4, off
.LBB9_2161:
	s_mov_b32 s5, 0
.LBB9_2162:
	s_and_b32 vcc_lo, exec_lo, s5
	s_cbranch_vccz .LBB9_2202
; %bb.2163:
	s_cmp_gt_i32 s3, 22
	s_mov_b32 s4, -1
	s_cbranch_scc0 .LBB9_2195
; %bb.2164:
	s_cmp_lt_i32 s3, 24
	s_cbranch_scc1 .LBB9_2184
; %bb.2165:
	s_cmp_gt_i32 s3, 24
	s_cbranch_scc0 .LBB9_2173
; %bb.2166:
	v_cvt_f32_f64_e32 v2, v[12:13]
	v_mov_b32_e32 v4, 0x80
	s_mov_b32 s4, exec_lo
	v_and_b32_e32 v3, 0x7fffffff, v2
	v_cmpx_gt_u32_e32 0x47800000, v3
	s_cbranch_execz .LBB9_2172
; %bb.2167:
	v_cmp_lt_u32_e32 vcc_lo, 0x37ffffff, v3
	s_mov_b32 s5, 0
                                        ; implicit-def: $vgpr3
	s_and_saveexec_b32 s6, vcc_lo
	s_xor_b32 s6, exec_lo, s6
	s_cbranch_execz .LBB9_2225
; %bb.2168:
	v_bfe_u32 v3, v2, 21, 1
	s_mov_b32 s5, exec_lo
	v_add3_u32 v3, v2, v3, 0x88fffff
	v_lshrrev_b32_e32 v3, 21, v3
	s_andn2_saveexec_b32 s6, s6
	s_cbranch_execnz .LBB9_2226
.LBB9_2169:
	s_or_b32 exec_lo, exec_lo, s6
	v_mov_b32_e32 v4, 0
	s_and_saveexec_b32 s6, s5
.LBB9_2170:
	v_lshrrev_b32_e32 v2, 24, v2
	v_and_or_b32 v4, 0x80, v2, v3
.LBB9_2171:
	s_or_b32 exec_lo, exec_lo, s6
.LBB9_2172:
	s_or_b32 exec_lo, exec_lo, s4
	s_mov_b32 s4, 0
	global_store_byte v[0:1], v4, off
.LBB9_2173:
	s_and_b32 vcc_lo, exec_lo, s4
	s_cbranch_vccz .LBB9_2183
; %bb.2174:
	v_cvt_f32_f64_e32 v2, v[12:13]
	s_mov_b32 s4, exec_lo
                                        ; implicit-def: $vgpr3
	v_and_b32_e32 v4, 0x7fffffff, v2
	v_cmpx_gt_u32_e32 0x43f00000, v4
	s_xor_b32 s4, exec_lo, s4
	s_cbranch_execz .LBB9_2180
; %bb.2175:
	s_mov_b32 s5, exec_lo
                                        ; implicit-def: $vgpr3
	v_cmpx_lt_u32_e32 0x3c7fffff, v4
	s_xor_b32 s5, exec_lo, s5
; %bb.2176:
	v_bfe_u32 v3, v2, 20, 1
	v_add3_u32 v3, v2, v3, 0x407ffff
	v_and_b32_e32 v4, 0xff00000, v3
	v_lshrrev_b32_e32 v3, 20, v3
	v_cmp_ne_u32_e32 vcc_lo, 0x7f00000, v4
	v_cndmask_b32_e32 v3, 0x7e, v3, vcc_lo
; %bb.2177:
	s_andn2_saveexec_b32 s5, s5
; %bb.2178:
	v_add_f32_e64 v3, 0x46800000, |v2|
; %bb.2179:
	s_or_b32 exec_lo, exec_lo, s5
                                        ; implicit-def: $vgpr4
.LBB9_2180:
	s_andn2_saveexec_b32 s4, s4
; %bb.2181:
	v_mov_b32_e32 v3, 0x7f
	v_cmp_lt_u32_e32 vcc_lo, 0x7f800000, v4
	v_cndmask_b32_e32 v3, 0x7e, v3, vcc_lo
; %bb.2182:
	s_or_b32 exec_lo, exec_lo, s4
	v_lshrrev_b32_e32 v2, 24, v2
	v_and_or_b32 v2, 0x80, v2, v3
	global_store_byte v[0:1], v2, off
.LBB9_2183:
	s_mov_b32 s4, 0
.LBB9_2184:
	s_andn2_b32 vcc_lo, exec_lo, s4
	s_cbranch_vccnz .LBB9_2194
; %bb.2185:
	v_cvt_f32_f64_e32 v2, v[12:13]
	s_mov_b32 s4, exec_lo
                                        ; implicit-def: $vgpr3
	v_and_b32_e32 v4, 0x7fffffff, v2
	v_cmpx_gt_u32_e32 0x47800000, v4
	s_xor_b32 s4, exec_lo, s4
	s_cbranch_execz .LBB9_2191
; %bb.2186:
	s_mov_b32 s5, exec_lo
                                        ; implicit-def: $vgpr3
	v_cmpx_lt_u32_e32 0x387fffff, v4
	s_xor_b32 s5, exec_lo, s5
; %bb.2187:
	v_bfe_u32 v3, v2, 21, 1
	v_add3_u32 v3, v2, v3, 0x80fffff
	v_lshrrev_b32_e32 v3, 21, v3
; %bb.2188:
	s_andn2_saveexec_b32 s5, s5
; %bb.2189:
	v_add_f32_e64 v3, 0x43000000, |v2|
; %bb.2190:
	s_or_b32 exec_lo, exec_lo, s5
                                        ; implicit-def: $vgpr4
.LBB9_2191:
	s_andn2_saveexec_b32 s4, s4
; %bb.2192:
	v_mov_b32_e32 v3, 0x7f
	v_cmp_lt_u32_e32 vcc_lo, 0x7f800000, v4
	v_cndmask_b32_e32 v3, 0x7c, v3, vcc_lo
; %bb.2193:
	s_or_b32 exec_lo, exec_lo, s4
	v_lshrrev_b32_e32 v2, 24, v2
	v_and_or_b32 v2, 0x80, v2, v3
	global_store_byte v[0:1], v2, off
.LBB9_2194:
	s_mov_b32 s4, 0
.LBB9_2195:
	s_andn2_b32 vcc_lo, exec_lo, s4
	s_mov_b32 s4, 0
	s_cbranch_vccnz .LBB9_2202
; %bb.2196:
	s_cmp_gt_i32 s3, 14
	s_mov_b32 s4, -1
	s_cbranch_scc0 .LBB9_2200
; %bb.2197:
	s_cmp_eq_u32 s3, 15
	s_mov_b32 s0, -1
	s_cbranch_scc0 .LBB9_2199
; %bb.2198:
	v_cvt_f32_f64_e32 v2, v[12:13]
	s_mov_b32 s0, 0
	v_bfe_u32 v3, v2, 16, 1
	v_cmp_o_f32_e32 vcc_lo, v2, v2
	v_add3_u32 v2, v2, v3, 0x7fff
	v_mov_b32_e32 v3, 0x7fc0
	v_cndmask_b32_sdwa v2, v3, v2, vcc_lo dst_sel:DWORD dst_unused:UNUSED_PAD src0_sel:DWORD src1_sel:WORD_1
	global_store_short v[0:1], v2, off
.LBB9_2199:
	s_mov_b32 s4, 0
.LBB9_2200:
	s_and_b32 vcc_lo, exec_lo, s4
	s_mov_b32 s4, 0
	s_cbranch_vccz .LBB9_2202
; %bb.2201:
	s_cmp_lg_u32 s3, 11
	s_mov_b32 s4, -1
	s_cselect_b32 s0, -1, 0
.LBB9_2202:
	s_and_b32 vcc_lo, exec_lo, s0
	s_cbranch_vccnz .LBB9_2224
.LBB9_2203:
	s_mov_b32 s0, 0
	s_branch .LBB9_1805
.LBB9_2204:
	s_mov_b32 s0, 0
	s_mov_b32 s4, 0
                                        ; implicit-def: $vgpr0_vgpr1
                                        ; implicit-def: $sgpr1
	s_branch .LBB9_1805
.LBB9_2205:
	s_mov_b32 s4, 0
	s_mov_b32 s0, -1
	s_branch .LBB9_1805
.LBB9_2206:
	s_or_b32 s2, s2, exec_lo
	s_trap 2
	s_cbranch_execz .LBB9_1666
	s_branch .LBB9_1667
.LBB9_2207:
	s_andn2_saveexec_b32 s10, s10
	s_cbranch_execz .LBB9_1754
.LBB9_2208:
	v_add_f32_e64 v3, 0x46000000, |v2|
	s_andn2_b32 s7, s7, exec_lo
	v_and_b32_e32 v3, 0xff, v3
	v_cmp_ne_u32_e32 vcc_lo, 0, v3
	s_and_b32 s11, vcc_lo, exec_lo
	s_or_b32 s7, s7, s11
	s_or_b32 exec_lo, exec_lo, s10
	v_mov_b32_e32 v7, 0
	s_and_saveexec_b32 s10, s7
	s_cbranch_execnz .LBB9_1755
	s_branch .LBB9_1756
.LBB9_2209:
	s_or_b32 s2, s2, exec_lo
	s_trap 2
	s_cbranch_execz .LBB9_1802
	s_branch .LBB9_1803
.LBB9_2210:
	s_andn2_saveexec_b32 s7, s7
	s_cbranch_execz .LBB9_1767
.LBB9_2211:
	v_add_f32_e64 v3, 0x42800000, |v2|
	s_andn2_b32 s6, s6, exec_lo
	v_and_b32_e32 v3, 0xff, v3
	v_cmp_ne_u32_e32 vcc_lo, 0, v3
	s_and_b32 s10, vcc_lo, exec_lo
	s_or_b32 s6, s6, s10
	s_or_b32 exec_lo, exec_lo, s7
	v_mov_b32_e32 v7, 0
	s_and_saveexec_b32 s7, s6
	s_cbranch_execnz .LBB9_1768
	s_branch .LBB9_1769
.LBB9_2212:
	s_andn2_saveexec_b32 s7, s7
	s_cbranch_execz .LBB9_1918
.LBB9_2213:
	v_add_f32_e64 v3, 0x46000000, |v2|
	s_andn2_b32 s6, s6, exec_lo
	v_and_b32_e32 v3, 0xff, v3
	v_cmp_ne_u32_e32 vcc_lo, 0, v3
	s_and_b32 s10, vcc_lo, exec_lo
	s_or_b32 s6, s6, s10
	s_or_b32 exec_lo, exec_lo, s7
	v_mov_b32_e32 v6, 0
	s_and_saveexec_b32 s7, s6
	s_cbranch_execnz .LBB9_1919
	s_branch .LBB9_1920
.LBB9_2214:
	s_or_b32 s2, s2, exec_lo
	s_trap 2
	s_cbranch_execz .LBB9_1966
	s_branch .LBB9_1967
.LBB9_2215:
	s_andn2_saveexec_b32 s6, s6
	s_cbranch_execz .LBB9_1931
.LBB9_2216:
	v_add_f32_e64 v3, 0x42800000, |v2|
	s_andn2_b32 s5, s5, exec_lo
	v_and_b32_e32 v3, 0xff, v3
	v_cmp_ne_u32_e32 vcc_lo, 0, v3
	s_and_b32 s7, vcc_lo, exec_lo
	s_or_b32 s5, s5, s7
	s_or_b32 exec_lo, exec_lo, s6
	v_mov_b32_e32 v6, 0
	s_and_saveexec_b32 s6, s5
	s_cbranch_execnz .LBB9_1932
	s_branch .LBB9_1933
.LBB9_2217:
	s_andn2_saveexec_b32 s7, s7
	s_cbranch_execz .LBB9_2037
.LBB9_2218:
	v_add_f32_e64 v3, 0x46000000, |v2|
	s_andn2_b32 s6, s6, exec_lo
	v_and_b32_e32 v3, 0xff, v3
	v_cmp_ne_u32_e32 vcc_lo, 0, v3
	s_and_b32 s10, vcc_lo, exec_lo
	s_or_b32 s6, s6, s10
	s_or_b32 exec_lo, exec_lo, s7
	v_mov_b32_e32 v4, 0
	s_and_saveexec_b32 s7, s6
	s_cbranch_execnz .LBB9_2038
	s_branch .LBB9_2039
.LBB9_2219:
	s_or_b32 s2, s2, exec_lo
	s_trap 2
	s_cbranch_execz .LBB9_2085
	s_branch .LBB9_2086
.LBB9_2220:
	s_andn2_saveexec_b32 s6, s6
	s_cbranch_execz .LBB9_2050
.LBB9_2221:
	v_add_f32_e64 v3, 0x42800000, |v2|
	s_andn2_b32 s5, s5, exec_lo
	v_and_b32_e32 v3, 0xff, v3
	v_cmp_ne_u32_e32 vcc_lo, 0, v3
	s_and_b32 s7, vcc_lo, exec_lo
	s_or_b32 s5, s5, s7
	s_or_b32 exec_lo, exec_lo, s6
	v_mov_b32_e32 v4, 0
	s_and_saveexec_b32 s6, s5
	s_cbranch_execnz .LBB9_2051
	s_branch .LBB9_2052
.LBB9_2222:
	s_andn2_saveexec_b32 s7, s7
	s_cbranch_execz .LBB9_2157
.LBB9_2223:
	v_add_f32_e64 v3, 0x46000000, |v2|
	s_andn2_b32 s6, s6, exec_lo
	v_and_b32_e32 v3, 0xff, v3
	v_cmp_ne_u32_e32 vcc_lo, 0, v3
	s_and_b32 s8, vcc_lo, exec_lo
	s_or_b32 s6, s6, s8
	s_or_b32 exec_lo, exec_lo, s7
	v_mov_b32_e32 v4, 0
	s_and_saveexec_b32 s7, s6
	s_cbranch_execnz .LBB9_2158
	s_branch .LBB9_2159
.LBB9_2224:
	s_mov_b32 s4, 0
	s_or_b32 s2, s2, exec_lo
	s_trap 2
	s_branch .LBB9_2203
.LBB9_2225:
	s_andn2_saveexec_b32 s6, s6
	s_cbranch_execz .LBB9_2169
.LBB9_2226:
	v_add_f32_e64 v3, 0x42800000, |v2|
	s_andn2_b32 s5, s5, exec_lo
	v_and_b32_e32 v3, 0xff, v3
	v_cmp_ne_u32_e32 vcc_lo, 0, v3
	s_and_b32 s7, vcc_lo, exec_lo
	s_or_b32 s5, s5, s7
	s_or_b32 exec_lo, exec_lo, s6
	v_mov_b32_e32 v4, 0
	s_and_saveexec_b32 s6, s5
	s_cbranch_execnz .LBB9_2170
	s_branch .LBB9_2171
	.section	.rodata,"a",@progbits
	.p2align	6, 0x0
	.amdhsa_kernel _ZN2at6native32elementwise_kernel_manual_unrollILi128ELi4EZNS0_15gpu_kernel_implIZZZNS0_12_GLOBAL__N_130modified_bessel_k1_kernel_cudaERNS_18TensorIteratorBaseEENKUlvE_clEvENKUlvE_clEvEUldE_EEvS5_RKT_EUlibE0_EEviT1_
		.amdhsa_group_segment_fixed_size 0
		.amdhsa_private_segment_fixed_size 0
		.amdhsa_kernarg_size 360
		.amdhsa_user_sgpr_count 6
		.amdhsa_user_sgpr_private_segment_buffer 1
		.amdhsa_user_sgpr_dispatch_ptr 0
		.amdhsa_user_sgpr_queue_ptr 0
		.amdhsa_user_sgpr_kernarg_segment_ptr 1
		.amdhsa_user_sgpr_dispatch_id 0
		.amdhsa_user_sgpr_flat_scratch_init 0
		.amdhsa_user_sgpr_private_segment_size 0
		.amdhsa_wavefront_size32 1
		.amdhsa_uses_dynamic_stack 0
		.amdhsa_system_sgpr_private_segment_wavefront_offset 0
		.amdhsa_system_sgpr_workgroup_id_x 1
		.amdhsa_system_sgpr_workgroup_id_y 0
		.amdhsa_system_sgpr_workgroup_id_z 0
		.amdhsa_system_sgpr_workgroup_info 0
		.amdhsa_system_vgpr_workitem_id 0
		.amdhsa_next_free_vgpr 51
		.amdhsa_next_free_sgpr 68
		.amdhsa_reserve_vcc 1
		.amdhsa_reserve_flat_scratch 0
		.amdhsa_float_round_mode_32 0
		.amdhsa_float_round_mode_16_64 0
		.amdhsa_float_denorm_mode_32 3
		.amdhsa_float_denorm_mode_16_64 3
		.amdhsa_dx10_clamp 1
		.amdhsa_ieee_mode 1
		.amdhsa_fp16_overflow 0
		.amdhsa_workgroup_processor_mode 1
		.amdhsa_memory_ordered 1
		.amdhsa_forward_progress 1
		.amdhsa_shared_vgpr_count 0
		.amdhsa_exception_fp_ieee_invalid_op 0
		.amdhsa_exception_fp_denorm_src 0
		.amdhsa_exception_fp_ieee_div_zero 0
		.amdhsa_exception_fp_ieee_overflow 0
		.amdhsa_exception_fp_ieee_underflow 0
		.amdhsa_exception_fp_ieee_inexact 0
		.amdhsa_exception_int_div_zero 0
	.end_amdhsa_kernel
	.section	.text._ZN2at6native32elementwise_kernel_manual_unrollILi128ELi4EZNS0_15gpu_kernel_implIZZZNS0_12_GLOBAL__N_130modified_bessel_k1_kernel_cudaERNS_18TensorIteratorBaseEENKUlvE_clEvENKUlvE_clEvEUldE_EEvS5_RKT_EUlibE0_EEviT1_,"axG",@progbits,_ZN2at6native32elementwise_kernel_manual_unrollILi128ELi4EZNS0_15gpu_kernel_implIZZZNS0_12_GLOBAL__N_130modified_bessel_k1_kernel_cudaERNS_18TensorIteratorBaseEENKUlvE_clEvENKUlvE_clEvEUldE_EEvS5_RKT_EUlibE0_EEviT1_,comdat
.Lfunc_end9:
	.size	_ZN2at6native32elementwise_kernel_manual_unrollILi128ELi4EZNS0_15gpu_kernel_implIZZZNS0_12_GLOBAL__N_130modified_bessel_k1_kernel_cudaERNS_18TensorIteratorBaseEENKUlvE_clEvENKUlvE_clEvEUldE_EEvS5_RKT_EUlibE0_EEviT1_, .Lfunc_end9-_ZN2at6native32elementwise_kernel_manual_unrollILi128ELi4EZNS0_15gpu_kernel_implIZZZNS0_12_GLOBAL__N_130modified_bessel_k1_kernel_cudaERNS_18TensorIteratorBaseEENKUlvE_clEvENKUlvE_clEvEUldE_EEvS5_RKT_EUlibE0_EEviT1_
                                        ; -- End function
	.set _ZN2at6native32elementwise_kernel_manual_unrollILi128ELi4EZNS0_15gpu_kernel_implIZZZNS0_12_GLOBAL__N_130modified_bessel_k1_kernel_cudaERNS_18TensorIteratorBaseEENKUlvE_clEvENKUlvE_clEvEUldE_EEvS5_RKT_EUlibE0_EEviT1_.num_vgpr, 51
	.set _ZN2at6native32elementwise_kernel_manual_unrollILi128ELi4EZNS0_15gpu_kernel_implIZZZNS0_12_GLOBAL__N_130modified_bessel_k1_kernel_cudaERNS_18TensorIteratorBaseEENKUlvE_clEvENKUlvE_clEvEUldE_EEvS5_RKT_EUlibE0_EEviT1_.num_agpr, 0
	.set _ZN2at6native32elementwise_kernel_manual_unrollILi128ELi4EZNS0_15gpu_kernel_implIZZZNS0_12_GLOBAL__N_130modified_bessel_k1_kernel_cudaERNS_18TensorIteratorBaseEENKUlvE_clEvENKUlvE_clEvEUldE_EEvS5_RKT_EUlibE0_EEviT1_.numbered_sgpr, 68
	.set _ZN2at6native32elementwise_kernel_manual_unrollILi128ELi4EZNS0_15gpu_kernel_implIZZZNS0_12_GLOBAL__N_130modified_bessel_k1_kernel_cudaERNS_18TensorIteratorBaseEENKUlvE_clEvENKUlvE_clEvEUldE_EEvS5_RKT_EUlibE0_EEviT1_.num_named_barrier, 0
	.set _ZN2at6native32elementwise_kernel_manual_unrollILi128ELi4EZNS0_15gpu_kernel_implIZZZNS0_12_GLOBAL__N_130modified_bessel_k1_kernel_cudaERNS_18TensorIteratorBaseEENKUlvE_clEvENKUlvE_clEvEUldE_EEvS5_RKT_EUlibE0_EEviT1_.private_seg_size, 0
	.set _ZN2at6native32elementwise_kernel_manual_unrollILi128ELi4EZNS0_15gpu_kernel_implIZZZNS0_12_GLOBAL__N_130modified_bessel_k1_kernel_cudaERNS_18TensorIteratorBaseEENKUlvE_clEvENKUlvE_clEvEUldE_EEvS5_RKT_EUlibE0_EEviT1_.uses_vcc, 1
	.set _ZN2at6native32elementwise_kernel_manual_unrollILi128ELi4EZNS0_15gpu_kernel_implIZZZNS0_12_GLOBAL__N_130modified_bessel_k1_kernel_cudaERNS_18TensorIteratorBaseEENKUlvE_clEvENKUlvE_clEvEUldE_EEvS5_RKT_EUlibE0_EEviT1_.uses_flat_scratch, 0
	.set _ZN2at6native32elementwise_kernel_manual_unrollILi128ELi4EZNS0_15gpu_kernel_implIZZZNS0_12_GLOBAL__N_130modified_bessel_k1_kernel_cudaERNS_18TensorIteratorBaseEENKUlvE_clEvENKUlvE_clEvEUldE_EEvS5_RKT_EUlibE0_EEviT1_.has_dyn_sized_stack, 0
	.set _ZN2at6native32elementwise_kernel_manual_unrollILi128ELi4EZNS0_15gpu_kernel_implIZZZNS0_12_GLOBAL__N_130modified_bessel_k1_kernel_cudaERNS_18TensorIteratorBaseEENKUlvE_clEvENKUlvE_clEvEUldE_EEvS5_RKT_EUlibE0_EEviT1_.has_recursion, 0
	.set _ZN2at6native32elementwise_kernel_manual_unrollILi128ELi4EZNS0_15gpu_kernel_implIZZZNS0_12_GLOBAL__N_130modified_bessel_k1_kernel_cudaERNS_18TensorIteratorBaseEENKUlvE_clEvENKUlvE_clEvEUldE_EEvS5_RKT_EUlibE0_EEviT1_.has_indirect_call, 0
	.section	.AMDGPU.csdata,"",@progbits
; Kernel info:
; codeLenInByte = 72760
; TotalNumSgprs: 70
; NumVgprs: 51
; ScratchSize: 0
; MemoryBound: 1
; FloatMode: 240
; IeeeMode: 1
; LDSByteSize: 0 bytes/workgroup (compile time only)
; SGPRBlocks: 0
; VGPRBlocks: 6
; NumSGPRsForWavesPerEU: 70
; NumVGPRsForWavesPerEU: 51
; Occupancy: 16
; WaveLimiterHint : 1
; COMPUTE_PGM_RSRC2:SCRATCH_EN: 0
; COMPUTE_PGM_RSRC2:USER_SGPR: 6
; COMPUTE_PGM_RSRC2:TRAP_HANDLER: 0
; COMPUTE_PGM_RSRC2:TGID_X_EN: 1
; COMPUTE_PGM_RSRC2:TGID_Y_EN: 0
; COMPUTE_PGM_RSRC2:TGID_Z_EN: 0
; COMPUTE_PGM_RSRC2:TIDIG_COMP_CNT: 0
	.text
	.p2align	2                               ; -- Begin function _ZN2at6native25elementwise_kernel_helperILb0EZZZNS0_12_GLOBAL__N_130modified_bessel_k1_kernel_cudaERNS_18TensorIteratorBaseEENKUlvE_clEvENKUlvE0_clEvEUlfE_NS0_6memory8policies11unroll_baseILi256ESt5arrayIPcLm2EE23TrivialOffsetCalculatorILi1EjESF_NS8_15LoadWithoutCastENS8_16StoreWithoutCastELi4ELi1EEEEEvT0_T1_
	.type	_ZN2at6native25elementwise_kernel_helperILb0EZZZNS0_12_GLOBAL__N_130modified_bessel_k1_kernel_cudaERNS_18TensorIteratorBaseEENKUlvE_clEvENKUlvE0_clEvEUlfE_NS0_6memory8policies11unroll_baseILi256ESt5arrayIPcLm2EE23TrivialOffsetCalculatorILi1EjESF_NS8_15LoadWithoutCastENS8_16StoreWithoutCastELi4ELi1EEEEEvT0_T1_,@function
_ZN2at6native25elementwise_kernel_helperILb0EZZZNS0_12_GLOBAL__N_130modified_bessel_k1_kernel_cudaERNS_18TensorIteratorBaseEENKUlvE_clEvENKUlvE0_clEvEUlfE_NS0_6memory8policies11unroll_baseILi256ESt5arrayIPcLm2EE23TrivialOffsetCalculatorILi1EjESF_NS8_15LoadWithoutCastENS8_16StoreWithoutCastELi4ELi1EEEEEvT0_T1_: ; @_ZN2at6native25elementwise_kernel_helperILb0EZZZNS0_12_GLOBAL__N_130modified_bessel_k1_kernel_cudaERNS_18TensorIteratorBaseEENKUlvE_clEvENKUlvE0_clEvEUlfE_NS0_6memory8policies11unroll_baseILi256ESt5arrayIPcLm2EE23TrivialOffsetCalculatorILi1EjESF_NS8_15LoadWithoutCastENS8_16StoreWithoutCastELi4ELi1EEEEEvT0_T1_
; %bb.0:
	s_waitcnt vmcnt(0) expcnt(0) lgkmcnt(0)
	v_and_b32_e32 v7, 0x3ff, v31
	s_lshl_b32 s6, s12, 10
	v_mov_b32_e32 v12, 0
	v_mov_b32_e32 v13, 0
	v_cmp_lt_i32_e64 s4, v7, v4
	v_or_b32_e32 v5, s6, v7
	v_add_nc_u32_e32 v8, 0x100, v7
	v_mov_b32_e32 v10, v7
	s_and_saveexec_b32 s5, s4
	s_cbranch_execz .LBB10_2
; %bb.1:
	v_mov_b32_e32 v6, 0
	v_lshlrev_b64 v[9:10], 2, v[5:6]
	v_add_co_u32 v9, vcc_lo, v2, v9
	v_add_co_ci_u32_e64 v10, null, v3, v10, vcc_lo
	flat_load_dword v13, v[9:10]
	v_add_nc_u32_e32 v10, 0x100, v7
.LBB10_2:
	s_or_b32 exec_lo, exec_lo, s5
	s_mov_b32 s5, exec_lo
	v_cmpx_lt_i32_e64 v10, v4
	s_cbranch_execz .LBB10_4
; %bb.3:
	v_add_nc_u32_e32 v11, s6, v10
	v_mov_b32_e32 v12, 0
	v_add_nc_u32_e32 v10, 0x100, v10
	v_lshlrev_b64 v[11:12], 2, v[11:12]
	v_add_co_u32 v11, vcc_lo, v2, v11
	v_add_co_ci_u32_e64 v12, null, v3, v12, vcc_lo
	flat_load_dword v12, v[11:12]
.LBB10_4:
	s_or_b32 exec_lo, exec_lo, s5
	v_mov_b32_e32 v6, 0
	v_mov_b32_e32 v9, 0
	s_mov_b32 s5, exec_lo
	v_cmpx_lt_i32_e64 v10, v4
	s_cbranch_execz .LBB10_6
; %bb.5:
	v_add_nc_u32_e32 v14, s6, v10
	v_mov_b32_e32 v15, 0
	v_add_nc_u32_e32 v10, 0x100, v10
	v_lshlrev_b64 v[14:15], 2, v[14:15]
	v_add_co_u32 v14, vcc_lo, v2, v14
	v_add_co_ci_u32_e64 v15, null, v3, v15, vcc_lo
	flat_load_dword v9, v[14:15]
.LBB10_6:
	s_or_b32 exec_lo, exec_lo, s5
	s_mov_b32 s5, exec_lo
	v_cmpx_lt_i32_e64 v10, v4
	s_cbranch_execz .LBB10_8
; %bb.7:
	v_add_nc_u32_e32 v10, s6, v10
	v_mov_b32_e32 v11, 0
	v_lshlrev_b64 v[10:11], 2, v[10:11]
	v_add_co_u32 v2, vcc_lo, v2, v10
	v_add_co_ci_u32_e64 v3, null, v3, v11, vcc_lo
	flat_load_dword v6, v[2:3]
.LBB10_8:
	s_or_b32 exec_lo, exec_lo, s5
	v_mov_b32_e32 v2, 0
	v_mov_b32_e32 v11, v2
	;; [unrolled: 1-line block ×4, first 2 shown]
	s_and_saveexec_b32 s7, s4
	s_cbranch_execz .LBB10_18
; %bb.9:
	v_mov_b32_e32 v2, 0x7f800000
	s_mov_b32 s8, exec_lo
	s_waitcnt vmcnt(0) lgkmcnt(0)
	v_cmpx_neq_f32_e32 0, v13
	s_cbranch_execz .LBB10_17
; %bb.10:
	v_mov_b32_e32 v2, 0x7fc00000
	s_mov_b32 s9, exec_lo
	v_cmpx_ngt_f32_e32 0, v13
	s_cbranch_execz .LBB10_16
; %bb.11:
                                        ; implicit-def: $vgpr2
	s_mov_b32 s5, exec_lo
	v_cmpx_ge_f32_e32 2.0, v13
	s_xor_b32 s10, exec_lo, s5
	s_cbranch_execz .LBB10_13
; %bb.12:
	v_fma_f32 v2, v13, 0.5, -2.0
	s_mov_b32 s5, 0x224cf950
	v_fma_f32 v11, v13, v13, -2.0
	v_fmaak_f32 v3, s5, v2, 0xa3c2be86
	s_mov_b32 s5, 0xa3019142
	v_fmaak_f32 v14, s5, v11, 0xa72eea8c
	v_fmaak_f32 v10, v2, v3, 0xa24cf950
	;; [unrolled: 1-line block ×3, first 2 shown]
	v_add_f32_e32 v10, 0x25331f1f, v10
	v_add_f32_e32 v15, 0xab3ba817, v15
	v_fma_f32 v3, v2, v10, -v3
	v_fma_f32 v14, v11, v15, -v14
	v_add_f32_e32 v3, 0xa69f5554, v3
	v_add_f32_e32 v14, 0xaf1b31de, v14
	v_fma_f32 v10, v2, v3, -v10
	v_fma_f32 v15, v11, v14, -v15
	;; [unrolled: 4-line block ×8, first 2 shown]
	v_mul_f32_e32 v14, 0.5, v13
	v_add_f32_e32 v10, 0x2fc751a6, v10
	v_add_f32_e32 v11, 0x3fc33d0a, v11
	v_cmp_gt_f32_e32 vcc_lo, 0x800000, v14
	v_fma_f32 v3, v2, v10, -v3
	v_sub_f32_e32 v11, v11, v15
	v_mul_f32_e32 v15, 0x3fb8aa3b, v13
	v_add_f32_e32 v3, 0xb101b0d9, v3
	v_cndmask_b32_e64 v16, 0, 32, vcc_lo
	v_cndmask_b32_e64 v21, 0, 0x41b17218, vcc_lo
	v_mul_f32_e32 v11, 0.5, v11
	v_rndne_f32_e32 v17, v15
	v_fma_f32 v10, v2, v3, -v10
	v_fma_f32 v19, 0x3fb8aa3b, v13, -v15
	v_ldexp_f32 v14, v14, v16
	v_div_scale_f32 v18, null, v13, v13, v11
	v_add_f32_e32 v10, 0x32212c70, v10
	v_sub_f32_e32 v15, v15, v17
	v_fmamk_f32 v19, v13, 0x32a5705f, v19
	v_rcp_f32_e32 v16, v18
	v_log_f32_e32 v14, v14
	v_fma_f32 v3, v2, v10, -v3
	v_div_scale_f32 v20, s5, v11, v13, v11
	v_add_f32_e32 v15, v15, v19
	v_cmp_ngt_f32_e32 vcc_lo, 0xc2ce8ed0, v13
	v_add_f32_e32 v3, 0xb33ee9f1, v3
	v_exp_f32_e32 v15, v15
	v_fma_f32 v19, -v18, v16, 1.0
	v_fma_f32 v10, v2, v3, -v10
	v_fmac_f32_e32 v16, v19, v16
	v_add_f32_e32 v10, 0x34571a26, v10
	v_mul_f32_e32 v19, 0x3f317217, v14
	v_fma_f32 v3, v2, v10, -v3
	v_fma_f32 v19, 0x3f317217, v14, -v19
	v_add_f32_e32 v3, 0xb56603cc, v3
	v_fmamk_f32 v19, v14, 0x3377d1cf, v19
	v_fma_f32 v10, v2, v3, -v10
	v_fmac_f32_e32 v19, 0x3f317217, v14
	v_add_f32_e32 v10, 0x3668e277, v10
	v_fma_f32 v3, v2, v10, -v3
	v_add_f32_e32 v3, 0xb75eafce, v3
	v_fma_f32 v10, v2, v3, -v10
	;; [unrolled: 2-line block ×12, first 2 shown]
	v_cvt_i32_f32_e32 v3, v17
	v_mul_f32_e32 v17, v20, v16
	v_add_f32_e32 v2, 0x3e81531c, v2
	v_ldexp_f32 v3, v15, v3
	v_fma_f32 v15, -v18, v17, v20
	v_sub_f32_e32 v2, v2, v10
	v_cndmask_b32_e32 v3, 0, v3, vcc_lo
	v_cmp_nlt_f32_e32 vcc_lo, 0x42b17218, v13
	v_fmac_f32_e32 v17, v15, v16
	v_mul_f32_e32 v2, 0.5, v2
	v_cndmask_b32_e32 v3, 0x7f800000, v3, vcc_lo
	v_cmp_gt_f32_e64 vcc_lo, 0x7f800000, |v14|
	v_fma_f32 v10, -v18, v17, v20
	v_mul_f32_e32 v2, v13, v2
	v_cndmask_b32_e32 v14, v14, v19, vcc_lo
	s_mov_b32 vcc_lo, s5
	v_mul_f32_e32 v3, v3, v2
	v_div_fmas_f32 v10, v10, v16, v17
	v_sub_f32_e32 v14, v14, v21
	v_div_fixup_f32 v2, v10, v13, v11
                                        ; implicit-def: $vgpr13
	v_fmac_f32_e32 v2, v14, v3
.LBB10_13:
	s_andn2_saveexec_b32 s10, s10
	s_cbranch_execz .LBB10_15
; %bb.14:
	v_div_scale_f32 v2, null, v13, v13, 0x41000000
	v_div_scale_f32 v11, vcc_lo, 0x41000000, v13, 0x41000000
	s_mov_b32 s5, 0xa2d462ea
	v_rcp_f32_e32 v3, v2
	v_fma_f32 v10, -v2, v3, 1.0
	v_fmac_f32_e32 v3, v10, v3
	v_mul_f32_e32 v10, v11, v3
	v_fma_f32 v14, -v2, v10, v11
	v_fmac_f32_e32 v10, v14, v3
	v_mul_f32_e32 v14, 0xbfb8aa3b, v13
	v_fma_f32 v2, -v2, v10, v11
	v_mul_f32_e32 v11, 0x4f800000, v13
	v_rndne_f32_e32 v15, v14
	v_fma_f32 v16, 0xbfb8aa3b, v13, -v14
	v_div_fmas_f32 v2, v2, v3, v10
	v_cmp_gt_f32_e32 vcc_lo, 0xf800000, v13
	v_sub_f32_e32 v14, v14, v15
	v_fmamk_f32 v16, v13, 0xb2a5705f, v16
	v_cvt_i32_f32_e32 v15, v15
	v_div_fixup_f32 v2, v2, v13, 0x41000000
	v_cndmask_b32_e32 v11, v13, v11, vcc_lo
	v_add_f32_e32 v14, v14, v16
	v_add_f32_e32 v2, -2.0, v2
	v_sqrt_f32_e32 v17, v11
	v_exp_f32_e32 v14, v14
	v_fmaak_f32 v3, s5, v2, 0x23a578d4
	v_fmaak_f32 v10, v2, v3, 0x22d462ea
	v_add_nc_u32_e32 v16, -1, v17
	v_add_nc_u32_e32 v18, 1, v17
	v_add_f32_e32 v10, 0xa48330a9, v10
	v_fma_f32 v19, -v16, v17, v11
	v_fma_f32 v20, -v18, v17, v11
	v_fma_f32 v3, v2, v10, -v3
	v_cmp_ge_f32_e64 s5, 0, v19
	v_add_f32_e32 v3, 0x2553eaf2, v3
	v_cndmask_b32_e64 v16, v17, v16, s5
	v_cmp_lt_f32_e64 s5, 0, v20
	v_fma_f32 v10, v2, v3, -v10
	v_add_f32_e32 v10, 0xa62e951f, v10
	v_fma_f32 v3, v2, v10, -v3
	v_add_f32_e32 v3, 0x2712e76f, v3
	;; [unrolled: 2-line block ×20, first 2 shown]
	v_fma_f32 v2, v2, v3, -v10
	v_ldexp_f32 v3, v14, v15
	v_cndmask_b32_e64 v14, v16, v18, s5
	v_cmp_nlt_f32_e64 s5, 0x42ce8ed0, v13
	v_add_f32_e32 v2, 0x402e1ebd, v2
	v_mul_f32_e32 v15, 0x37800000, v14
	v_cndmask_b32_e64 v3, 0, v3, s5
	v_cmp_ngt_f32_e64 s5, 0xc2b17218, v13
	v_sub_f32_e32 v2, v2, v10
	v_cndmask_b32_e32 v10, v14, v15, vcc_lo
	v_cmp_class_f32_e64 vcc_lo, v11, 0x260
	v_cndmask_b32_e64 v3, 0x7f800000, v3, s5
	v_mul_f32_e32 v2, 0.5, v2
	v_cndmask_b32_e32 v10, v10, v11, vcc_lo
	v_mul_f32_e32 v2, v3, v2
	v_div_scale_f32 v3, null, v10, v10, v2
	v_rcp_f32_e32 v11, v3
	v_fma_f32 v13, -v3, v11, 1.0
	v_fmac_f32_e32 v11, v13, v11
	v_div_scale_f32 v13, vcc_lo, v2, v10, v2
	v_mul_f32_e32 v14, v13, v11
	v_fma_f32 v15, -v3, v14, v13
	v_fmac_f32_e32 v14, v15, v11
	v_fma_f32 v3, -v3, v14, v13
	v_div_fmas_f32 v3, v3, v11, v14
	v_div_fixup_f32 v2, v3, v10, v2
.LBB10_15:
	s_or_b32 exec_lo, exec_lo, s10
.LBB10_16:
	s_or_b32 exec_lo, exec_lo, s9
.LBB10_17:
	s_or_b32 exec_lo, exec_lo, s8
	v_mov_b32_e32 v11, 0
	v_mov_b32_e32 v10, v11
	;; [unrolled: 1-line block ×3, first 2 shown]
.LBB10_18:
	s_or_b32 exec_lo, exec_lo, s7
	s_mov_b32 s7, exec_lo
	v_cmpx_lt_i32_e64 v8, v4
	s_cbranch_execz .LBB10_28
; %bb.19:
	v_mov_b32_e32 v11, 0x7f800000
	s_mov_b32 s8, exec_lo
	s_waitcnt vmcnt(0) lgkmcnt(0)
	v_cmpx_neq_f32_e32 0, v12
	s_cbranch_execz .LBB10_27
; %bb.20:
	v_mov_b32_e32 v11, 0x7fc00000
	s_mov_b32 s9, exec_lo
	v_cmpx_ngt_f32_e32 0, v12
	s_cbranch_execz .LBB10_26
; %bb.21:
	s_mov_b32 s5, exec_lo
	v_cmpx_ge_f32_e32 2.0, v12
	s_xor_b32 s10, exec_lo, s5
                                        ; implicit-def: $vgpr11
	s_cbranch_execz .LBB10_23
; %bb.22:
	v_fma_f32 v11, v12, 0.5, -2.0
	s_mov_b32 s5, 0x224cf950
	v_fma_f32 v15, v12, v12, -2.0
	v_fmaak_f32 v13, s5, v11, 0xa3c2be86
	s_mov_b32 s5, 0xa3019142
	v_fmaak_f32 v16, s5, v15, 0xa72eea8c
	v_fmaak_f32 v14, v11, v13, 0xa24cf950
	;; [unrolled: 1-line block ×3, first 2 shown]
	v_add_f32_e32 v14, 0x25331f1f, v14
	v_add_f32_e32 v17, 0xab3ba817, v17
	v_fma_f32 v13, v11, v14, -v13
	v_fma_f32 v16, v15, v17, -v16
	v_add_f32_e32 v13, 0xa69f5554, v13
	v_add_f32_e32 v16, 0xaf1b31de, v16
	v_fma_f32 v14, v11, v13, -v14
	v_fma_f32 v17, v15, v16, -v17
	;; [unrolled: 4-line block ×8, first 2 shown]
	v_mul_f32_e32 v16, 0.5, v12
	v_add_f32_e32 v14, 0x2fc751a6, v14
	v_add_f32_e32 v15, 0x3fc33d0a, v15
	v_cmp_gt_f32_e32 vcc_lo, 0x800000, v16
	v_fma_f32 v13, v11, v14, -v13
	v_sub_f32_e32 v15, v15, v17
	v_mul_f32_e32 v17, 0x3fb8aa3b, v12
	v_add_f32_e32 v13, 0xb101b0d9, v13
	v_cndmask_b32_e64 v18, 0, 32, vcc_lo
	v_cndmask_b32_e64 v23, 0, 0x41b17218, vcc_lo
	v_mul_f32_e32 v15, 0.5, v15
	v_rndne_f32_e32 v19, v17
	v_fma_f32 v14, v11, v13, -v14
	v_fma_f32 v21, 0x3fb8aa3b, v12, -v17
	v_ldexp_f32 v16, v16, v18
	v_div_scale_f32 v20, null, v12, v12, v15
	v_add_f32_e32 v14, 0x32212c70, v14
	v_sub_f32_e32 v17, v17, v19
	v_fmamk_f32 v21, v12, 0x32a5705f, v21
	v_rcp_f32_e32 v18, v20
	v_log_f32_e32 v16, v16
	v_fma_f32 v13, v11, v14, -v13
	v_div_scale_f32 v22, s5, v15, v12, v15
	v_add_f32_e32 v17, v17, v21
	v_cmp_ngt_f32_e32 vcc_lo, 0xc2ce8ed0, v12
	v_add_f32_e32 v13, 0xb33ee9f1, v13
	v_exp_f32_e32 v17, v17
	v_fma_f32 v21, -v20, v18, 1.0
	v_fma_f32 v14, v11, v13, -v14
	v_fmac_f32_e32 v18, v21, v18
	v_add_f32_e32 v14, 0x34571a26, v14
	v_mul_f32_e32 v21, 0x3f317217, v16
	v_fma_f32 v13, v11, v14, -v13
	v_fma_f32 v21, 0x3f317217, v16, -v21
	v_add_f32_e32 v13, 0xb56603cc, v13
	v_fmamk_f32 v21, v16, 0x3377d1cf, v21
	v_fma_f32 v14, v11, v13, -v14
	v_fmac_f32_e32 v21, 0x3f317217, v16
	v_add_f32_e32 v14, 0x3668e277, v14
	v_fma_f32 v13, v11, v14, -v13
	v_add_f32_e32 v13, 0xb75eafce, v13
	v_fma_f32 v14, v11, v13, -v14
	;; [unrolled: 2-line block ×12, first 2 shown]
	v_cvt_i32_f32_e32 v13, v19
	v_mul_f32_e32 v19, v22, v18
	v_add_f32_e32 v11, 0x3e81531c, v11
	v_ldexp_f32 v13, v17, v13
	v_fma_f32 v17, -v20, v19, v22
	v_sub_f32_e32 v11, v11, v14
	v_cndmask_b32_e32 v13, 0, v13, vcc_lo
	v_cmp_nlt_f32_e32 vcc_lo, 0x42b17218, v12
	v_fmac_f32_e32 v19, v17, v18
	v_mul_f32_e32 v11, 0.5, v11
	v_cndmask_b32_e32 v13, 0x7f800000, v13, vcc_lo
	v_cmp_gt_f32_e64 vcc_lo, 0x7f800000, |v16|
	v_fma_f32 v14, -v20, v19, v22
	v_mul_f32_e32 v11, v12, v11
	v_cndmask_b32_e32 v16, v16, v21, vcc_lo
	s_mov_b32 vcc_lo, s5
	v_mul_f32_e32 v13, v13, v11
	v_div_fmas_f32 v14, v14, v18, v19
	v_sub_f32_e32 v16, v16, v23
	v_div_fixup_f32 v11, v14, v12, v15
                                        ; implicit-def: $vgpr12
	v_fmac_f32_e32 v11, v16, v13
.LBB10_23:
	s_andn2_saveexec_b32 s10, s10
	s_cbranch_execz .LBB10_25
; %bb.24:
	v_div_scale_f32 v11, null, v12, v12, 0x41000000
	v_div_scale_f32 v15, vcc_lo, 0x41000000, v12, 0x41000000
	s_mov_b32 s5, 0xa2d462ea
	v_rcp_f32_e32 v13, v11
	v_fma_f32 v14, -v11, v13, 1.0
	v_fmac_f32_e32 v13, v14, v13
	v_mul_f32_e32 v14, v15, v13
	v_fma_f32 v16, -v11, v14, v15
	v_fmac_f32_e32 v14, v16, v13
	v_mul_f32_e32 v16, 0xbfb8aa3b, v12
	v_fma_f32 v11, -v11, v14, v15
	v_mul_f32_e32 v15, 0x4f800000, v12
	v_rndne_f32_e32 v17, v16
	v_fma_f32 v18, 0xbfb8aa3b, v12, -v16
	v_div_fmas_f32 v11, v11, v13, v14
	v_cmp_gt_f32_e32 vcc_lo, 0xf800000, v12
	v_sub_f32_e32 v16, v16, v17
	v_fmamk_f32 v18, v12, 0xb2a5705f, v18
	v_cvt_i32_f32_e32 v17, v17
	v_div_fixup_f32 v11, v11, v12, 0x41000000
	v_cndmask_b32_e32 v15, v12, v15, vcc_lo
	v_add_f32_e32 v16, v16, v18
	v_add_f32_e32 v11, -2.0, v11
	v_sqrt_f32_e32 v19, v15
	v_exp_f32_e32 v16, v16
	v_fmaak_f32 v13, s5, v11, 0x23a578d4
	v_fmaak_f32 v14, v11, v13, 0x22d462ea
	v_add_nc_u32_e32 v18, -1, v19
	v_add_nc_u32_e32 v20, 1, v19
	v_add_f32_e32 v14, 0xa48330a9, v14
	v_fma_f32 v21, -v18, v19, v15
	v_fma_f32 v22, -v20, v19, v15
	v_fma_f32 v13, v11, v14, -v13
	v_cmp_ge_f32_e64 s5, 0, v21
	v_add_f32_e32 v13, 0x2553eaf2, v13
	v_cndmask_b32_e64 v18, v19, v18, s5
	v_cmp_lt_f32_e64 s5, 0, v22
	v_fma_f32 v14, v11, v13, -v14
	v_add_f32_e32 v14, 0xa62e951f, v14
	v_fma_f32 v13, v11, v14, -v13
	v_add_f32_e32 v13, 0x2712e76f, v13
	;; [unrolled: 2-line block ×20, first 2 shown]
	v_fma_f32 v11, v11, v13, -v14
	v_ldexp_f32 v13, v16, v17
	v_cndmask_b32_e64 v16, v18, v20, s5
	v_cmp_nlt_f32_e64 s5, 0x42ce8ed0, v12
	v_add_f32_e32 v11, 0x402e1ebd, v11
	v_mul_f32_e32 v17, 0x37800000, v16
	v_cndmask_b32_e64 v13, 0, v13, s5
	v_cmp_ngt_f32_e64 s5, 0xc2b17218, v12
	v_sub_f32_e32 v11, v11, v14
	v_cndmask_b32_e64 v12, 0x7f800000, v13, s5
	v_cndmask_b32_e32 v13, v16, v17, vcc_lo
	v_mul_f32_e32 v11, 0.5, v11
	v_cmp_class_f32_e64 vcc_lo, v15, 0x260
	v_mul_f32_e32 v11, v12, v11
	v_cndmask_b32_e32 v13, v13, v15, vcc_lo
	v_div_scale_f32 v12, null, v13, v13, v11
	v_rcp_f32_e32 v14, v12
	v_fma_f32 v15, -v12, v14, 1.0
	v_fmac_f32_e32 v14, v15, v14
	v_div_scale_f32 v15, vcc_lo, v11, v13, v11
	v_mul_f32_e32 v16, v15, v14
	v_fma_f32 v17, -v12, v16, v15
	v_fmac_f32_e32 v16, v17, v14
	v_fma_f32 v12, -v12, v16, v15
	v_div_fmas_f32 v12, v12, v14, v16
	v_div_fixup_f32 v11, v12, v13, v11
.LBB10_25:
	s_or_b32 exec_lo, exec_lo, s10
.LBB10_26:
	s_or_b32 exec_lo, exec_lo, s9
.LBB10_27:
	s_or_b32 exec_lo, exec_lo, s8
.LBB10_28:
	s_or_b32 exec_lo, exec_lo, s7
	s_waitcnt vmcnt(0) lgkmcnt(0)
	v_add_nc_u32_e32 v12, 0x200, v7
	s_mov_b32 s7, exec_lo
	v_cmpx_lt_i32_e64 v12, v4
	s_cbranch_execz .LBB10_38
; %bb.29:
	v_mov_b32_e32 v10, 0x7f800000
	s_mov_b32 s8, exec_lo
	v_cmpx_neq_f32_e32 0, v9
	s_cbranch_execz .LBB10_37
; %bb.30:
	v_mov_b32_e32 v10, 0x7fc00000
	s_mov_b32 s9, exec_lo
	v_cmpx_ngt_f32_e32 0, v9
	s_cbranch_execz .LBB10_36
; %bb.31:
	s_mov_b32 s5, exec_lo
	v_cmpx_ge_f32_e32 2.0, v9
	s_xor_b32 s10, exec_lo, s5
                                        ; implicit-def: $vgpr10
	s_cbranch_execz .LBB10_33
; %bb.32:
	v_fma_f32 v10, v9, 0.5, -2.0
	s_mov_b32 s5, 0x224cf950
	v_fma_f32 v14, v9, v9, -2.0
	v_fmaak_f32 v12, s5, v10, 0xa3c2be86
	s_mov_b32 s5, 0xa3019142
	v_fmaak_f32 v15, s5, v14, 0xa72eea8c
	v_fmaak_f32 v13, v10, v12, 0xa24cf950
	;; [unrolled: 1-line block ×3, first 2 shown]
	v_add_f32_e32 v13, 0x25331f1f, v13
	v_add_f32_e32 v16, 0xab3ba817, v16
	v_fma_f32 v12, v10, v13, -v12
	v_fma_f32 v15, v14, v16, -v15
	v_add_f32_e32 v12, 0xa69f5554, v12
	v_add_f32_e32 v15, 0xaf1b31de, v15
	v_fma_f32 v13, v10, v12, -v13
	v_fma_f32 v16, v14, v15, -v16
	;; [unrolled: 4-line block ×8, first 2 shown]
	v_mul_f32_e32 v15, 0.5, v9
	v_add_f32_e32 v13, 0x2fc751a6, v13
	v_add_f32_e32 v14, 0x3fc33d0a, v14
	v_cmp_gt_f32_e32 vcc_lo, 0x800000, v15
	v_fma_f32 v12, v10, v13, -v12
	v_sub_f32_e32 v14, v14, v16
	v_mul_f32_e32 v16, 0x3fb8aa3b, v9
	v_add_f32_e32 v12, 0xb101b0d9, v12
	v_cndmask_b32_e64 v17, 0, 32, vcc_lo
	v_cndmask_b32_e64 v22, 0, 0x41b17218, vcc_lo
	v_mul_f32_e32 v14, 0.5, v14
	v_rndne_f32_e32 v18, v16
	v_fma_f32 v13, v10, v12, -v13
	v_fma_f32 v20, 0x3fb8aa3b, v9, -v16
	v_ldexp_f32 v15, v15, v17
	v_div_scale_f32 v19, null, v9, v9, v14
	v_add_f32_e32 v13, 0x32212c70, v13
	v_sub_f32_e32 v16, v16, v18
	v_fmamk_f32 v20, v9, 0x32a5705f, v20
	v_rcp_f32_e32 v17, v19
	v_log_f32_e32 v15, v15
	v_fma_f32 v12, v10, v13, -v12
	v_div_scale_f32 v21, s5, v14, v9, v14
	v_add_f32_e32 v16, v16, v20
	v_cmp_ngt_f32_e32 vcc_lo, 0xc2ce8ed0, v9
	v_add_f32_e32 v12, 0xb33ee9f1, v12
	v_exp_f32_e32 v16, v16
	v_fma_f32 v20, -v19, v17, 1.0
	v_fma_f32 v13, v10, v12, -v13
	v_fmac_f32_e32 v17, v20, v17
	v_add_f32_e32 v13, 0x34571a26, v13
	v_mul_f32_e32 v20, 0x3f317217, v15
	v_fma_f32 v12, v10, v13, -v12
	v_fma_f32 v20, 0x3f317217, v15, -v20
	v_add_f32_e32 v12, 0xb56603cc, v12
	v_fmamk_f32 v20, v15, 0x3377d1cf, v20
	v_fma_f32 v13, v10, v12, -v13
	v_fmac_f32_e32 v20, 0x3f317217, v15
	v_add_f32_e32 v13, 0x3668e277, v13
	v_fma_f32 v12, v10, v13, -v12
	v_add_f32_e32 v12, 0xb75eafce, v12
	v_fma_f32 v13, v10, v12, -v13
	;; [unrolled: 2-line block ×12, first 2 shown]
	v_cvt_i32_f32_e32 v12, v18
	v_mul_f32_e32 v18, v21, v17
	v_add_f32_e32 v10, 0x3e81531c, v10
	v_ldexp_f32 v12, v16, v12
	v_fma_f32 v16, -v19, v18, v21
	v_sub_f32_e32 v10, v10, v13
	v_cndmask_b32_e32 v12, 0, v12, vcc_lo
	v_cmp_nlt_f32_e32 vcc_lo, 0x42b17218, v9
	v_fmac_f32_e32 v18, v16, v17
	v_mul_f32_e32 v10, 0.5, v10
	v_cndmask_b32_e32 v12, 0x7f800000, v12, vcc_lo
	v_cmp_gt_f32_e64 vcc_lo, 0x7f800000, |v15|
	v_fma_f32 v13, -v19, v18, v21
	v_mul_f32_e32 v10, v9, v10
	v_cndmask_b32_e32 v15, v15, v20, vcc_lo
	s_mov_b32 vcc_lo, s5
	v_mul_f32_e32 v12, v12, v10
	v_div_fmas_f32 v13, v13, v17, v18
	v_sub_f32_e32 v15, v15, v22
	v_div_fixup_f32 v10, v13, v9, v14
                                        ; implicit-def: $vgpr9
	v_fmac_f32_e32 v10, v15, v12
.LBB10_33:
	s_andn2_saveexec_b32 s10, s10
	s_cbranch_execz .LBB10_35
; %bb.34:
	v_div_scale_f32 v10, null, v9, v9, 0x41000000
	v_div_scale_f32 v14, vcc_lo, 0x41000000, v9, 0x41000000
	s_mov_b32 s5, 0xa2d462ea
	v_rcp_f32_e32 v12, v10
	v_fma_f32 v13, -v10, v12, 1.0
	v_fmac_f32_e32 v12, v13, v12
	v_mul_f32_e32 v13, v14, v12
	v_fma_f32 v15, -v10, v13, v14
	v_fmac_f32_e32 v13, v15, v12
	v_mul_f32_e32 v15, 0xbfb8aa3b, v9
	v_fma_f32 v10, -v10, v13, v14
	v_mul_f32_e32 v14, 0x4f800000, v9
	v_rndne_f32_e32 v16, v15
	v_fma_f32 v17, 0xbfb8aa3b, v9, -v15
	v_div_fmas_f32 v10, v10, v12, v13
	v_cmp_gt_f32_e32 vcc_lo, 0xf800000, v9
	v_sub_f32_e32 v15, v15, v16
	v_fmamk_f32 v17, v9, 0xb2a5705f, v17
	v_cvt_i32_f32_e32 v16, v16
	v_div_fixup_f32 v10, v10, v9, 0x41000000
	v_cndmask_b32_e32 v14, v9, v14, vcc_lo
	v_add_f32_e32 v15, v15, v17
	v_add_f32_e32 v10, -2.0, v10
	v_sqrt_f32_e32 v18, v14
	v_exp_f32_e32 v15, v15
	v_fmaak_f32 v12, s5, v10, 0x23a578d4
	v_fmaak_f32 v13, v10, v12, 0x22d462ea
	v_add_nc_u32_e32 v17, -1, v18
	v_add_nc_u32_e32 v19, 1, v18
	v_add_f32_e32 v13, 0xa48330a9, v13
	v_fma_f32 v20, -v17, v18, v14
	v_fma_f32 v21, -v19, v18, v14
	v_fma_f32 v12, v10, v13, -v12
	v_cmp_ge_f32_e64 s5, 0, v20
	v_add_f32_e32 v12, 0x2553eaf2, v12
	v_cndmask_b32_e64 v17, v18, v17, s5
	v_cmp_lt_f32_e64 s5, 0, v21
	v_fma_f32 v13, v10, v12, -v13
	v_add_f32_e32 v13, 0xa62e951f, v13
	v_fma_f32 v12, v10, v13, -v12
	v_add_f32_e32 v12, 0x2712e76f, v12
	;; [unrolled: 2-line block ×20, first 2 shown]
	v_fma_f32 v10, v10, v12, -v13
	v_ldexp_f32 v12, v15, v16
	v_cndmask_b32_e64 v15, v17, v19, s5
	v_cmp_nlt_f32_e64 s5, 0x42ce8ed0, v9
	v_add_f32_e32 v10, 0x402e1ebd, v10
	v_mul_f32_e32 v16, 0x37800000, v15
	v_cndmask_b32_e64 v12, 0, v12, s5
	v_cmp_ngt_f32_e64 s5, 0xc2b17218, v9
	v_sub_f32_e32 v10, v10, v13
	v_cndmask_b32_e64 v9, 0x7f800000, v12, s5
	v_cndmask_b32_e32 v12, v15, v16, vcc_lo
	v_mul_f32_e32 v10, 0.5, v10
	v_cmp_class_f32_e64 vcc_lo, v14, 0x260
	v_mul_f32_e32 v9, v9, v10
	v_cndmask_b32_e32 v12, v12, v14, vcc_lo
	v_div_scale_f32 v10, null, v12, v12, v9
	v_rcp_f32_e32 v13, v10
	v_fma_f32 v14, -v10, v13, 1.0
	v_fmac_f32_e32 v13, v14, v13
	v_div_scale_f32 v14, vcc_lo, v9, v12, v9
	v_mul_f32_e32 v15, v14, v13
	v_fma_f32 v16, -v10, v15, v14
	v_fmac_f32_e32 v15, v16, v13
	v_fma_f32 v10, -v10, v15, v14
	v_div_fmas_f32 v10, v10, v13, v15
	v_div_fixup_f32 v10, v10, v12, v9
.LBB10_35:
	s_or_b32 exec_lo, exec_lo, s10
.LBB10_36:
	s_or_b32 exec_lo, exec_lo, s9
.LBB10_37:
	s_or_b32 exec_lo, exec_lo, s8
.LBB10_38:
	s_or_b32 exec_lo, exec_lo, s7
	v_add_nc_u32_e32 v9, 0x300, v7
	s_mov_b32 s7, exec_lo
	v_cmpx_lt_i32_e64 v9, v4
	s_cbranch_execnz .LBB10_44
; %bb.39:
	s_or_b32 exec_lo, exec_lo, s7
	s_and_saveexec_b32 s5, s4
	s_xor_b32 s4, exec_lo, s5
	s_cbranch_execnz .LBB10_53
.LBB10_40:
	s_or_b32 exec_lo, exec_lo, s4
	s_mov_b32 s4, exec_lo
	v_cmpx_lt_i32_e64 v7, v4
	s_cbranch_execnz .LBB10_54
.LBB10_41:
	s_or_b32 exec_lo, exec_lo, s4
	s_mov_b32 s4, exec_lo
	v_cmpx_lt_i32_e64 v7, v4
	s_cbranch_execnz .LBB10_55
.LBB10_42:
	s_or_b32 exec_lo, exec_lo, s4
	s_mov_b32 s4, exec_lo
	v_cmpx_lt_i32_e64 v7, v4
	s_cbranch_execnz .LBB10_56
.LBB10_43:
	s_or_b32 exec_lo, exec_lo, s4
	s_waitcnt lgkmcnt(0)
	s_setpc_b64 s[30:31]
.LBB10_44:
	v_mov_b32_e32 v3, 0x7f800000
	s_mov_b32 s8, exec_lo
	v_cmpx_neq_f32_e32 0, v6
	s_cbranch_execz .LBB10_52
; %bb.45:
	v_mov_b32_e32 v3, 0x7fc00000
	s_mov_b32 s9, exec_lo
	v_cmpx_ngt_f32_e32 0, v6
	s_cbranch_execz .LBB10_51
; %bb.46:
	s_mov_b32 s5, exec_lo
	v_cmpx_ge_f32_e32 2.0, v6
	s_xor_b32 s10, exec_lo, s5
                                        ; implicit-def: $vgpr3
	s_cbranch_execz .LBB10_48
; %bb.47:
	v_fma_f32 v3, v6, 0.5, -2.0
	s_mov_b32 s5, 0x224cf950
	v_fma_f32 v13, v6, v6, -2.0
	v_fmaak_f32 v9, s5, v3, 0xa3c2be86
	s_mov_b32 s5, 0xa3019142
	v_fmaak_f32 v14, s5, v13, 0xa72eea8c
	v_fmaak_f32 v12, v3, v9, 0xa24cf950
	;; [unrolled: 1-line block ×3, first 2 shown]
	v_add_f32_e32 v12, 0x25331f1f, v12
	v_add_f32_e32 v15, 0xab3ba817, v15
	v_fma_f32 v9, v3, v12, -v9
	v_fma_f32 v14, v13, v15, -v14
	v_add_f32_e32 v9, 0xa69f5554, v9
	v_add_f32_e32 v14, 0xaf1b31de, v14
	v_fma_f32 v12, v3, v9, -v12
	v_fma_f32 v15, v13, v14, -v15
	;; [unrolled: 4-line block ×8, first 2 shown]
	v_mul_f32_e32 v14, 0.5, v6
	v_add_f32_e32 v12, 0x2fc751a6, v12
	v_add_f32_e32 v13, 0x3fc33d0a, v13
	v_cmp_gt_f32_e32 vcc_lo, 0x800000, v14
	v_fma_f32 v9, v3, v12, -v9
	v_sub_f32_e32 v13, v13, v15
	v_mul_f32_e32 v15, 0x3fb8aa3b, v6
	v_add_f32_e32 v9, 0xb101b0d9, v9
	v_cndmask_b32_e64 v16, 0, 32, vcc_lo
	v_cndmask_b32_e64 v21, 0, 0x41b17218, vcc_lo
	v_mul_f32_e32 v13, 0.5, v13
	v_rndne_f32_e32 v17, v15
	v_fma_f32 v12, v3, v9, -v12
	v_fma_f32 v19, 0x3fb8aa3b, v6, -v15
	v_ldexp_f32 v14, v14, v16
	v_div_scale_f32 v18, null, v6, v6, v13
	v_add_f32_e32 v12, 0x32212c70, v12
	v_sub_f32_e32 v15, v15, v17
	v_fmamk_f32 v19, v6, 0x32a5705f, v19
	v_rcp_f32_e32 v16, v18
	v_log_f32_e32 v14, v14
	v_fma_f32 v9, v3, v12, -v9
	v_div_scale_f32 v20, s5, v13, v6, v13
	v_add_f32_e32 v15, v15, v19
	v_cmp_ngt_f32_e32 vcc_lo, 0xc2ce8ed0, v6
	v_add_f32_e32 v9, 0xb33ee9f1, v9
	v_exp_f32_e32 v15, v15
	v_fma_f32 v19, -v18, v16, 1.0
	v_fma_f32 v12, v3, v9, -v12
	v_fmac_f32_e32 v16, v19, v16
	v_add_f32_e32 v12, 0x34571a26, v12
	v_mul_f32_e32 v19, 0x3f317217, v14
	v_fma_f32 v9, v3, v12, -v9
	v_fma_f32 v19, 0x3f317217, v14, -v19
	v_add_f32_e32 v9, 0xb56603cc, v9
	v_fmamk_f32 v19, v14, 0x3377d1cf, v19
	v_fma_f32 v12, v3, v9, -v12
	v_fmac_f32_e32 v19, 0x3f317217, v14
	v_add_f32_e32 v12, 0x3668e277, v12
	v_fma_f32 v9, v3, v12, -v9
	v_add_f32_e32 v9, 0xb75eafce, v9
	v_fma_f32 v12, v3, v9, -v12
	;; [unrolled: 2-line block ×12, first 2 shown]
	v_cvt_i32_f32_e32 v9, v17
	v_mul_f32_e32 v17, v20, v16
	v_add_f32_e32 v3, 0x3e81531c, v3
	v_ldexp_f32 v9, v15, v9
	v_fma_f32 v15, -v18, v17, v20
	v_sub_f32_e32 v3, v3, v12
	v_cndmask_b32_e32 v9, 0, v9, vcc_lo
	v_cmp_nlt_f32_e32 vcc_lo, 0x42b17218, v6
	v_fmac_f32_e32 v17, v15, v16
	v_mul_f32_e32 v3, 0.5, v3
	v_cndmask_b32_e32 v9, 0x7f800000, v9, vcc_lo
	v_cmp_gt_f32_e64 vcc_lo, 0x7f800000, |v14|
	v_fma_f32 v12, -v18, v17, v20
	v_mul_f32_e32 v3, v6, v3
	v_cndmask_b32_e32 v14, v14, v19, vcc_lo
	s_mov_b32 vcc_lo, s5
	v_mul_f32_e32 v9, v9, v3
	v_div_fmas_f32 v12, v12, v16, v17
	v_sub_f32_e32 v14, v14, v21
	v_div_fixup_f32 v3, v12, v6, v13
                                        ; implicit-def: $vgpr6
	v_fmac_f32_e32 v3, v14, v9
.LBB10_48:
	s_andn2_saveexec_b32 s10, s10
	s_cbranch_execz .LBB10_50
; %bb.49:
	v_div_scale_f32 v3, null, v6, v6, 0x41000000
	v_div_scale_f32 v13, vcc_lo, 0x41000000, v6, 0x41000000
	s_mov_b32 s5, 0xa2d462ea
	v_rcp_f32_e32 v9, v3
	v_fma_f32 v12, -v3, v9, 1.0
	v_fmac_f32_e32 v9, v12, v9
	v_mul_f32_e32 v12, v13, v9
	v_fma_f32 v14, -v3, v12, v13
	v_fmac_f32_e32 v12, v14, v9
	v_mul_f32_e32 v14, 0xbfb8aa3b, v6
	v_fma_f32 v3, -v3, v12, v13
	v_mul_f32_e32 v13, 0x4f800000, v6
	v_rndne_f32_e32 v15, v14
	v_fma_f32 v16, 0xbfb8aa3b, v6, -v14
	v_div_fmas_f32 v3, v3, v9, v12
	v_cmp_gt_f32_e32 vcc_lo, 0xf800000, v6
	v_sub_f32_e32 v14, v14, v15
	v_fmamk_f32 v16, v6, 0xb2a5705f, v16
	v_cvt_i32_f32_e32 v15, v15
	v_div_fixup_f32 v3, v3, v6, 0x41000000
	v_cndmask_b32_e32 v13, v6, v13, vcc_lo
	v_add_f32_e32 v14, v14, v16
	v_add_f32_e32 v3, -2.0, v3
	v_sqrt_f32_e32 v17, v13
	v_exp_f32_e32 v14, v14
	v_fmaak_f32 v9, s5, v3, 0x23a578d4
	v_fmaak_f32 v12, v3, v9, 0x22d462ea
	v_add_nc_u32_e32 v16, -1, v17
	v_add_nc_u32_e32 v18, 1, v17
	v_add_f32_e32 v12, 0xa48330a9, v12
	v_fma_f32 v19, -v16, v17, v13
	v_fma_f32 v20, -v18, v17, v13
	v_fma_f32 v9, v3, v12, -v9
	v_cmp_ge_f32_e64 s5, 0, v19
	v_add_f32_e32 v9, 0x2553eaf2, v9
	v_cndmask_b32_e64 v16, v17, v16, s5
	v_cmp_lt_f32_e64 s5, 0, v20
	v_fma_f32 v12, v3, v9, -v12
	v_add_f32_e32 v12, 0xa62e951f, v12
	v_fma_f32 v9, v3, v12, -v9
	v_add_f32_e32 v9, 0x2712e76f, v9
	;; [unrolled: 2-line block ×20, first 2 shown]
	v_fma_f32 v3, v3, v9, -v12
	v_ldexp_f32 v9, v14, v15
	v_cndmask_b32_e64 v14, v16, v18, s5
	v_cmp_nlt_f32_e64 s5, 0x42ce8ed0, v6
	v_add_f32_e32 v3, 0x402e1ebd, v3
	v_mul_f32_e32 v15, 0x37800000, v14
	v_cndmask_b32_e64 v9, 0, v9, s5
	v_cmp_ngt_f32_e64 s5, 0xc2b17218, v6
	v_sub_f32_e32 v3, v3, v12
	v_cndmask_b32_e64 v6, 0x7f800000, v9, s5
	v_cndmask_b32_e32 v9, v14, v15, vcc_lo
	v_mul_f32_e32 v3, 0.5, v3
	v_cmp_class_f32_e64 vcc_lo, v13, 0x260
	v_mul_f32_e32 v3, v6, v3
	v_cndmask_b32_e32 v9, v9, v13, vcc_lo
	v_div_scale_f32 v6, null, v9, v9, v3
	v_rcp_f32_e32 v12, v6
	v_fma_f32 v13, -v6, v12, 1.0
	v_fmac_f32_e32 v12, v13, v12
	v_div_scale_f32 v13, vcc_lo, v3, v9, v3
	v_mul_f32_e32 v14, v13, v12
	v_fma_f32 v15, -v6, v14, v13
	v_fmac_f32_e32 v14, v15, v12
	v_fma_f32 v6, -v6, v14, v13
	v_div_fmas_f32 v6, v6, v12, v14
	v_div_fixup_f32 v3, v6, v9, v3
.LBB10_50:
	s_or_b32 exec_lo, exec_lo, s10
.LBB10_51:
	s_or_b32 exec_lo, exec_lo, s9
.LBB10_52:
	s_or_b32 exec_lo, exec_lo, s8
	s_or_b32 exec_lo, exec_lo, s7
	s_and_saveexec_b32 s5, s4
	s_xor_b32 s4, exec_lo, s5
	s_cbranch_execz .LBB10_40
.LBB10_53:
	v_mov_b32_e32 v6, 0
	v_mov_b32_e32 v7, v8
	v_lshlrev_b64 v[5:6], 2, v[5:6]
	v_add_co_u32 v5, vcc_lo, v0, v5
	v_add_co_ci_u32_e64 v6, null, v1, v6, vcc_lo
	flat_store_dword v[5:6], v2
	s_or_b32 exec_lo, exec_lo, s4
	s_mov_b32 s4, exec_lo
	v_cmpx_lt_i32_e64 v7, v4
	s_cbranch_execz .LBB10_41
.LBB10_54:
	v_add_nc_u32_e32 v5, s6, v7
	v_mov_b32_e32 v6, 0
	v_add_nc_u32_e32 v7, 0x100, v7
	v_lshlrev_b64 v[5:6], 2, v[5:6]
	v_add_co_u32 v5, vcc_lo, v0, v5
	v_add_co_ci_u32_e64 v6, null, v1, v6, vcc_lo
	flat_store_dword v[5:6], v11
	s_or_b32 exec_lo, exec_lo, s4
	s_mov_b32 s4, exec_lo
	v_cmpx_lt_i32_e64 v7, v4
	s_cbranch_execz .LBB10_42
.LBB10_55:
	v_add_nc_u32_e32 v5, s6, v7
	v_mov_b32_e32 v6, 0
	v_add_nc_u32_e32 v7, 0x100, v7
	v_lshlrev_b64 v[5:6], 2, v[5:6]
	v_add_co_u32 v5, vcc_lo, v0, v5
	v_add_co_ci_u32_e64 v6, null, v1, v6, vcc_lo
	flat_store_dword v[5:6], v10
	s_or_b32 exec_lo, exec_lo, s4
	s_mov_b32 s4, exec_lo
	v_cmpx_lt_i32_e64 v7, v4
	s_cbranch_execz .LBB10_43
.LBB10_56:
	v_add_nc_u32_e32 v4, s6, v7
	v_mov_b32_e32 v5, 0
	v_lshlrev_b64 v[4:5], 2, v[4:5]
	v_add_co_u32 v0, vcc_lo, v0, v4
	v_add_co_ci_u32_e64 v1, null, v1, v5, vcc_lo
	flat_store_dword v[0:1], v3
	s_or_b32 exec_lo, exec_lo, s4
	s_waitcnt lgkmcnt(0)
	s_setpc_b64 s[30:31]
.Lfunc_end10:
	.size	_ZN2at6native25elementwise_kernel_helperILb0EZZZNS0_12_GLOBAL__N_130modified_bessel_k1_kernel_cudaERNS_18TensorIteratorBaseEENKUlvE_clEvENKUlvE0_clEvEUlfE_NS0_6memory8policies11unroll_baseILi256ESt5arrayIPcLm2EE23TrivialOffsetCalculatorILi1EjESF_NS8_15LoadWithoutCastENS8_16StoreWithoutCastELi4ELi1EEEEEvT0_T1_, .Lfunc_end10-_ZN2at6native25elementwise_kernel_helperILb0EZZZNS0_12_GLOBAL__N_130modified_bessel_k1_kernel_cudaERNS_18TensorIteratorBaseEENKUlvE_clEvENKUlvE0_clEvEUlfE_NS0_6memory8policies11unroll_baseILi256ESt5arrayIPcLm2EE23TrivialOffsetCalculatorILi1EjESF_NS8_15LoadWithoutCastENS8_16StoreWithoutCastELi4ELi1EEEEEvT0_T1_
                                        ; -- End function
	.set .L_ZN2at6native25elementwise_kernel_helperILb0EZZZNS0_12_GLOBAL__N_130modified_bessel_k1_kernel_cudaERNS_18TensorIteratorBaseEENKUlvE_clEvENKUlvE0_clEvEUlfE_NS0_6memory8policies11unroll_baseILi256ESt5arrayIPcLm2EE23TrivialOffsetCalculatorILi1EjESF_NS8_15LoadWithoutCastENS8_16StoreWithoutCastELi4ELi1EEEEEvT0_T1_.num_vgpr, 32
	.set .L_ZN2at6native25elementwise_kernel_helperILb0EZZZNS0_12_GLOBAL__N_130modified_bessel_k1_kernel_cudaERNS_18TensorIteratorBaseEENKUlvE_clEvENKUlvE0_clEvEUlfE_NS0_6memory8policies11unroll_baseILi256ESt5arrayIPcLm2EE23TrivialOffsetCalculatorILi1EjESF_NS8_15LoadWithoutCastENS8_16StoreWithoutCastELi4ELi1EEEEEvT0_T1_.num_agpr, 0
	.set .L_ZN2at6native25elementwise_kernel_helperILb0EZZZNS0_12_GLOBAL__N_130modified_bessel_k1_kernel_cudaERNS_18TensorIteratorBaseEENKUlvE_clEvENKUlvE0_clEvEUlfE_NS0_6memory8policies11unroll_baseILi256ESt5arrayIPcLm2EE23TrivialOffsetCalculatorILi1EjESF_NS8_15LoadWithoutCastENS8_16StoreWithoutCastELi4ELi1EEEEEvT0_T1_.numbered_sgpr, 32
	.set .L_ZN2at6native25elementwise_kernel_helperILb0EZZZNS0_12_GLOBAL__N_130modified_bessel_k1_kernel_cudaERNS_18TensorIteratorBaseEENKUlvE_clEvENKUlvE0_clEvEUlfE_NS0_6memory8policies11unroll_baseILi256ESt5arrayIPcLm2EE23TrivialOffsetCalculatorILi1EjESF_NS8_15LoadWithoutCastENS8_16StoreWithoutCastELi4ELi1EEEEEvT0_T1_.num_named_barrier, 0
	.set .L_ZN2at6native25elementwise_kernel_helperILb0EZZZNS0_12_GLOBAL__N_130modified_bessel_k1_kernel_cudaERNS_18TensorIteratorBaseEENKUlvE_clEvENKUlvE0_clEvEUlfE_NS0_6memory8policies11unroll_baseILi256ESt5arrayIPcLm2EE23TrivialOffsetCalculatorILi1EjESF_NS8_15LoadWithoutCastENS8_16StoreWithoutCastELi4ELi1EEEEEvT0_T1_.private_seg_size, 0
	.set .L_ZN2at6native25elementwise_kernel_helperILb0EZZZNS0_12_GLOBAL__N_130modified_bessel_k1_kernel_cudaERNS_18TensorIteratorBaseEENKUlvE_clEvENKUlvE0_clEvEUlfE_NS0_6memory8policies11unroll_baseILi256ESt5arrayIPcLm2EE23TrivialOffsetCalculatorILi1EjESF_NS8_15LoadWithoutCastENS8_16StoreWithoutCastELi4ELi1EEEEEvT0_T1_.uses_vcc, 1
	.set .L_ZN2at6native25elementwise_kernel_helperILb0EZZZNS0_12_GLOBAL__N_130modified_bessel_k1_kernel_cudaERNS_18TensorIteratorBaseEENKUlvE_clEvENKUlvE0_clEvEUlfE_NS0_6memory8policies11unroll_baseILi256ESt5arrayIPcLm2EE23TrivialOffsetCalculatorILi1EjESF_NS8_15LoadWithoutCastENS8_16StoreWithoutCastELi4ELi1EEEEEvT0_T1_.uses_flat_scratch, 0
	.set .L_ZN2at6native25elementwise_kernel_helperILb0EZZZNS0_12_GLOBAL__N_130modified_bessel_k1_kernel_cudaERNS_18TensorIteratorBaseEENKUlvE_clEvENKUlvE0_clEvEUlfE_NS0_6memory8policies11unroll_baseILi256ESt5arrayIPcLm2EE23TrivialOffsetCalculatorILi1EjESF_NS8_15LoadWithoutCastENS8_16StoreWithoutCastELi4ELi1EEEEEvT0_T1_.has_dyn_sized_stack, 0
	.set .L_ZN2at6native25elementwise_kernel_helperILb0EZZZNS0_12_GLOBAL__N_130modified_bessel_k1_kernel_cudaERNS_18TensorIteratorBaseEENKUlvE_clEvENKUlvE0_clEvEUlfE_NS0_6memory8policies11unroll_baseILi256ESt5arrayIPcLm2EE23TrivialOffsetCalculatorILi1EjESF_NS8_15LoadWithoutCastENS8_16StoreWithoutCastELi4ELi1EEEEEvT0_T1_.has_recursion, 0
	.set .L_ZN2at6native25elementwise_kernel_helperILb0EZZZNS0_12_GLOBAL__N_130modified_bessel_k1_kernel_cudaERNS_18TensorIteratorBaseEENKUlvE_clEvENKUlvE0_clEvEUlfE_NS0_6memory8policies11unroll_baseILi256ESt5arrayIPcLm2EE23TrivialOffsetCalculatorILi1EjESF_NS8_15LoadWithoutCastENS8_16StoreWithoutCastELi4ELi1EEEEEvT0_T1_.has_indirect_call, 0
	.section	.AMDGPU.csdata,"",@progbits
; Function info:
; codeLenInByte = 7792
; TotalNumSgprs: 34
; NumVgprs: 32
; ScratchSize: 0
; MemoryBound: 0
	.text
	.p2align	2                               ; -- Begin function _ZN2at6native25elementwise_kernel_helperILb0EZZZNS0_12_GLOBAL__N_130modified_bessel_k1_kernel_cudaERNS_18TensorIteratorBaseEENKUlvE_clEvENKUlvE0_clEvEUlfE_NS0_6memory8policies10vectorizedILi4ESt5arrayIPcLm2EELi4EEEEEvT0_T1_
	.type	_ZN2at6native25elementwise_kernel_helperILb0EZZZNS0_12_GLOBAL__N_130modified_bessel_k1_kernel_cudaERNS_18TensorIteratorBaseEENKUlvE_clEvENKUlvE0_clEvEUlfE_NS0_6memory8policies10vectorizedILi4ESt5arrayIPcLm2EELi4EEEEEvT0_T1_,@function
_ZN2at6native25elementwise_kernel_helperILb0EZZZNS0_12_GLOBAL__N_130modified_bessel_k1_kernel_cudaERNS_18TensorIteratorBaseEENKUlvE_clEvENKUlvE0_clEvEUlfE_NS0_6memory8policies10vectorizedILi4ESt5arrayIPcLm2EELi4EEEEEvT0_T1_: ; @_ZN2at6native25elementwise_kernel_helperILb0EZZZNS0_12_GLOBAL__N_130modified_bessel_k1_kernel_cudaERNS_18TensorIteratorBaseEENKUlvE_clEvENKUlvE0_clEvEUlfE_NS0_6memory8policies10vectorizedILi4ESt5arrayIPcLm2EELi4EEEEEvT0_T1_
; %bb.0:
	s_waitcnt vmcnt(0) expcnt(0) lgkmcnt(0)
	s_lshl_b32 s4, s12, 10
	v_and_b32_e32 v4, 0x3ff, v31
	s_ashr_i32 s5, s4, 31
	s_lshl_b64 s[6:7], s[4:5], 2
	s_mov_b32 s5, exec_lo
	v_lshlrev_b32_e32 v10, 4, v4
	v_add_co_u32 v2, vcc_lo, v2, s6
	v_add_co_ci_u32_e64 v3, null, s7, v3, vcc_lo
	v_add_co_u32 v2, vcc_lo, v2, v10
	v_add_co_ci_u32_e64 v3, null, 0, v3, vcc_lo
	flat_load_dwordx4 v[6:9], v[2:3]
	v_mov_b32_e32 v3, 0x7f800000
	v_mov_b32_e32 v2, 0x7f800000
	s_waitcnt vmcnt(0) lgkmcnt(0)
	v_cmpx_neq_f32_e32 0, v6
	s_cbranch_execz .LBB11_8
; %bb.1:
	v_mov_b32_e32 v2, 0x7fc00000
	s_mov_b32 s8, exec_lo
	v_cmpx_ngt_f32_e32 0, v6
	s_cbranch_execz .LBB11_7
; %bb.2:
	s_mov_b32 s4, exec_lo
	v_cmpx_ge_f32_e32 2.0, v6
	s_xor_b32 s9, exec_lo, s4
	s_cbranch_execz .LBB11_4
; %bb.3:
	v_fma_f32 v2, v6, 0.5, -2.0
	s_mov_b32 s4, 0x224cf950
	v_fma_f32 v11, v6, v6, -2.0
	v_fmaak_f32 v4, s4, v2, 0xa3c2be86
	s_mov_b32 s4, 0xa3019142
	v_fmaak_f32 v12, s4, v11, 0xa72eea8c
	v_fmaak_f32 v5, v2, v4, 0xa24cf950
	;; [unrolled: 1-line block ×3, first 2 shown]
	v_add_f32_e32 v5, 0x25331f1f, v5
	v_add_f32_e32 v13, 0xab3ba817, v13
	v_fma_f32 v4, v2, v5, -v4
	v_fma_f32 v12, v11, v13, -v12
	v_add_f32_e32 v4, 0xa69f5554, v4
	v_add_f32_e32 v12, 0xaf1b31de, v12
	v_fma_f32 v5, v2, v4, -v5
	v_fma_f32 v13, v11, v12, -v13
	;; [unrolled: 4-line block ×8, first 2 shown]
	v_mul_f32_e32 v12, 0.5, v6
	v_add_f32_e32 v5, 0x2fc751a6, v5
	v_add_f32_e32 v11, 0x3fc33d0a, v11
	v_cmp_gt_f32_e32 vcc_lo, 0x800000, v12
	v_fma_f32 v4, v2, v5, -v4
	v_sub_f32_e32 v11, v11, v13
	v_mul_f32_e32 v13, 0x3fb8aa3b, v6
	v_add_f32_e32 v4, 0xb101b0d9, v4
	v_cndmask_b32_e64 v14, 0, 32, vcc_lo
	v_cndmask_b32_e64 v19, 0, 0x41b17218, vcc_lo
	v_mul_f32_e32 v11, 0.5, v11
	v_rndne_f32_e32 v15, v13
	v_fma_f32 v5, v2, v4, -v5
	v_fma_f32 v17, 0x3fb8aa3b, v6, -v13
	v_ldexp_f32 v12, v12, v14
	v_div_scale_f32 v16, null, v6, v6, v11
	v_add_f32_e32 v5, 0x32212c70, v5
	v_sub_f32_e32 v13, v13, v15
	v_fmamk_f32 v17, v6, 0x32a5705f, v17
	v_rcp_f32_e32 v14, v16
	v_log_f32_e32 v12, v12
	v_fma_f32 v4, v2, v5, -v4
	v_div_scale_f32 v18, s4, v11, v6, v11
	v_add_f32_e32 v13, v13, v17
	v_cmp_ngt_f32_e32 vcc_lo, 0xc2ce8ed0, v6
	v_add_f32_e32 v4, 0xb33ee9f1, v4
	v_exp_f32_e32 v13, v13
	v_fma_f32 v17, -v16, v14, 1.0
	v_fma_f32 v5, v2, v4, -v5
	v_fmac_f32_e32 v14, v17, v14
	v_add_f32_e32 v5, 0x34571a26, v5
	v_mul_f32_e32 v17, 0x3f317217, v12
	v_fma_f32 v4, v2, v5, -v4
	v_fma_f32 v17, 0x3f317217, v12, -v17
	v_add_f32_e32 v4, 0xb56603cc, v4
	v_fmamk_f32 v17, v12, 0x3377d1cf, v17
	v_fma_f32 v5, v2, v4, -v5
	v_fmac_f32_e32 v17, 0x3f317217, v12
	v_add_f32_e32 v5, 0x3668e277, v5
	v_fma_f32 v4, v2, v5, -v4
	v_add_f32_e32 v4, 0xb75eafce, v4
	v_fma_f32 v5, v2, v4, -v5
	v_add_f32_e32 v5, 0x38488daa, v5
	v_fma_f32 v4, v2, v5, -v4
	v_add_f32_e32 v4, 0xb9299e57, v4
	v_fma_f32 v5, v2, v4, -v5
	v_add_f32_e32 v5, 0x3a064aee, v5
	v_fma_f32 v4, v2, v5, -v4
	v_add_f32_e32 v4, 0xbac66310, v4
	v_fma_f32 v5, v2, v4, -v5
	v_add_f32_e32 v5, 0x3b88329a, v5
	v_fma_f32 v4, v2, v5, -v4
	v_add_f32_e32 v4, 0xbc2d14fc, v4
	v_fma_f32 v5, v2, v4, -v5
	v_add_f32_e32 v5, 0x3cca8f1f, v5
	v_fma_f32 v4, v2, v5, -v4
	v_add_f32_e32 v4, 0xbd58dde3, v4
	v_fma_f32 v5, v2, v4, -v5
	v_add_f32_e32 v5, 0x3dd236d7, v5
	v_fma_f32 v4, v2, v5, -v4
	v_add_f32_e32 v4, 0xbe34a688, v4
	v_fma_f32 v2, v2, v4, -v5
	v_cvt_i32_f32_e32 v4, v15
	v_mul_f32_e32 v15, v18, v14
	v_add_f32_e32 v2, 0x3e81531c, v2
	v_ldexp_f32 v4, v13, v4
	v_fma_f32 v13, -v16, v15, v18
	v_sub_f32_e32 v2, v2, v5
	v_cndmask_b32_e32 v4, 0, v4, vcc_lo
	v_cmp_nlt_f32_e32 vcc_lo, 0x42b17218, v6
	v_fmac_f32_e32 v15, v13, v14
	v_mul_f32_e32 v2, 0.5, v2
	v_cndmask_b32_e32 v4, 0x7f800000, v4, vcc_lo
	v_cmp_gt_f32_e64 vcc_lo, 0x7f800000, |v12|
	v_fma_f32 v5, -v16, v15, v18
	v_mul_f32_e32 v2, v6, v2
	v_cndmask_b32_e32 v12, v12, v17, vcc_lo
	s_mov_b32 vcc_lo, s4
	v_mul_f32_e32 v4, v4, v2
	v_div_fmas_f32 v5, v5, v14, v15
	v_sub_f32_e32 v12, v12, v19
	v_div_fixup_f32 v2, v5, v6, v11
	v_fmac_f32_e32 v2, v12, v4
.LBB11_4:
	s_andn2_saveexec_b32 s9, s9
	s_cbranch_execz .LBB11_6
; %bb.5:
	v_div_scale_f32 v2, null, v6, v6, 0x41000000
	v_div_scale_f32 v11, vcc_lo, 0x41000000, v6, 0x41000000
	s_mov_b32 s4, 0xa2d462ea
	v_rcp_f32_e32 v4, v2
	v_fma_f32 v5, -v2, v4, 1.0
	v_fmac_f32_e32 v4, v5, v4
	v_mul_f32_e32 v5, v11, v4
	v_fma_f32 v12, -v2, v5, v11
	v_fmac_f32_e32 v5, v12, v4
	v_mul_f32_e32 v12, 0xbfb8aa3b, v6
	v_fma_f32 v2, -v2, v5, v11
	v_mul_f32_e32 v11, 0x4f800000, v6
	v_rndne_f32_e32 v13, v12
	v_fma_f32 v14, 0xbfb8aa3b, v6, -v12
	v_div_fmas_f32 v2, v2, v4, v5
	v_cmp_gt_f32_e32 vcc_lo, 0xf800000, v6
	v_sub_f32_e32 v12, v12, v13
	v_fmamk_f32 v14, v6, 0xb2a5705f, v14
	v_cvt_i32_f32_e32 v13, v13
	v_div_fixup_f32 v2, v2, v6, 0x41000000
	v_cndmask_b32_e32 v11, v6, v11, vcc_lo
	v_add_f32_e32 v12, v12, v14
	v_add_f32_e32 v2, -2.0, v2
	v_sqrt_f32_e32 v15, v11
	v_exp_f32_e32 v12, v12
	v_fmaak_f32 v4, s4, v2, 0x23a578d4
	v_fmaak_f32 v5, v2, v4, 0x22d462ea
	v_add_nc_u32_e32 v14, -1, v15
	v_add_nc_u32_e32 v16, 1, v15
	v_add_f32_e32 v5, 0xa48330a9, v5
	v_fma_f32 v17, -v14, v15, v11
	v_fma_f32 v18, -v16, v15, v11
	v_fma_f32 v4, v2, v5, -v4
	v_cmp_ge_f32_e64 s4, 0, v17
	v_add_f32_e32 v4, 0x2553eaf2, v4
	v_cndmask_b32_e64 v14, v15, v14, s4
	v_cmp_lt_f32_e64 s4, 0, v18
	v_fma_f32 v5, v2, v4, -v5
	v_add_f32_e32 v5, 0xa62e951f, v5
	v_fma_f32 v4, v2, v5, -v4
	v_add_f32_e32 v4, 0x2712e76f, v4
	;; [unrolled: 2-line block ×20, first 2 shown]
	v_fma_f32 v2, v2, v4, -v5
	v_ldexp_f32 v4, v12, v13
	v_cndmask_b32_e64 v12, v14, v16, s4
	v_cmp_nlt_f32_e64 s4, 0x42ce8ed0, v6
	v_add_f32_e32 v2, 0x402e1ebd, v2
	v_mul_f32_e32 v13, 0x37800000, v12
	v_cndmask_b32_e64 v4, 0, v4, s4
	v_cmp_ngt_f32_e64 s4, 0xc2b17218, v6
	v_sub_f32_e32 v2, v2, v5
	v_cndmask_b32_e32 v5, v12, v13, vcc_lo
	v_cmp_class_f32_e64 vcc_lo, v11, 0x260
	v_cndmask_b32_e64 v4, 0x7f800000, v4, s4
	v_mul_f32_e32 v2, 0.5, v2
	v_cndmask_b32_e32 v5, v5, v11, vcc_lo
	v_mul_f32_e32 v2, v4, v2
	v_div_scale_f32 v4, null, v5, v5, v2
	v_rcp_f32_e32 v6, v4
	v_fma_f32 v11, -v4, v6, 1.0
	v_fmac_f32_e32 v6, v11, v6
	v_div_scale_f32 v11, vcc_lo, v2, v5, v2
	v_mul_f32_e32 v12, v11, v6
	v_fma_f32 v13, -v4, v12, v11
	v_fmac_f32_e32 v12, v13, v6
	v_fma_f32 v4, -v4, v12, v11
	v_div_fmas_f32 v4, v4, v6, v12
	v_div_fixup_f32 v2, v4, v5, v2
.LBB11_6:
	s_or_b32 exec_lo, exec_lo, s9
.LBB11_7:
	s_or_b32 exec_lo, exec_lo, s8
.LBB11_8:
	s_or_b32 exec_lo, exec_lo, s5
	s_mov_b32 s5, exec_lo
	v_cmpx_neq_f32_e32 0, v7
	s_cbranch_execz .LBB11_16
; %bb.9:
	v_mov_b32_e32 v3, 0x7fc00000
	s_mov_b32 s8, exec_lo
	v_cmpx_ngt_f32_e32 0, v7
	s_cbranch_execz .LBB11_15
; %bb.10:
	s_mov_b32 s4, exec_lo
	v_cmpx_ge_f32_e32 2.0, v7
	s_xor_b32 s9, exec_lo, s4
	s_cbranch_execz .LBB11_12
; %bb.11:
	v_fma_f32 v3, v7, 0.5, -2.0
	s_mov_b32 s4, 0x224cf950
	v_fma_f32 v6, v7, v7, -2.0
	v_fmaak_f32 v4, s4, v3, 0xa3c2be86
	s_mov_b32 s4, 0xa3019142
	v_fmaak_f32 v11, s4, v6, 0xa72eea8c
	v_fmaak_f32 v5, v3, v4, 0xa24cf950
	;; [unrolled: 1-line block ×3, first 2 shown]
	v_add_f32_e32 v5, 0x25331f1f, v5
	v_add_f32_e32 v12, 0xab3ba817, v12
	v_fma_f32 v4, v3, v5, -v4
	v_fma_f32 v11, v6, v12, -v11
	v_add_f32_e32 v4, 0xa69f5554, v4
	v_add_f32_e32 v11, 0xaf1b31de, v11
	v_fma_f32 v5, v3, v4, -v5
	v_fma_f32 v12, v6, v11, -v12
	;; [unrolled: 4-line block ×8, first 2 shown]
	v_mul_f32_e32 v11, 0.5, v7
	v_add_f32_e32 v5, 0x2fc751a6, v5
	v_add_f32_e32 v6, 0x3fc33d0a, v6
	v_cmp_gt_f32_e32 vcc_lo, 0x800000, v11
	v_fma_f32 v4, v3, v5, -v4
	v_sub_f32_e32 v6, v6, v12
	v_mul_f32_e32 v12, 0x3fb8aa3b, v7
	v_add_f32_e32 v4, 0xb101b0d9, v4
	v_cndmask_b32_e64 v13, 0, 32, vcc_lo
	v_cndmask_b32_e64 v18, 0, 0x41b17218, vcc_lo
	v_mul_f32_e32 v6, 0.5, v6
	v_rndne_f32_e32 v14, v12
	v_fma_f32 v5, v3, v4, -v5
	v_fma_f32 v16, 0x3fb8aa3b, v7, -v12
	v_ldexp_f32 v11, v11, v13
	v_div_scale_f32 v15, null, v7, v7, v6
	v_add_f32_e32 v5, 0x32212c70, v5
	v_sub_f32_e32 v12, v12, v14
	v_fmamk_f32 v16, v7, 0x32a5705f, v16
	v_rcp_f32_e32 v13, v15
	v_log_f32_e32 v11, v11
	v_fma_f32 v4, v3, v5, -v4
	v_div_scale_f32 v17, s4, v6, v7, v6
	v_add_f32_e32 v12, v12, v16
	v_cmp_ngt_f32_e32 vcc_lo, 0xc2ce8ed0, v7
	v_add_f32_e32 v4, 0xb33ee9f1, v4
	v_exp_f32_e32 v12, v12
	v_fma_f32 v16, -v15, v13, 1.0
	v_fma_f32 v5, v3, v4, -v5
	v_fmac_f32_e32 v13, v16, v13
	v_add_f32_e32 v5, 0x34571a26, v5
	v_mul_f32_e32 v16, 0x3f317217, v11
	v_fma_f32 v4, v3, v5, -v4
	v_fma_f32 v16, 0x3f317217, v11, -v16
	v_add_f32_e32 v4, 0xb56603cc, v4
	v_fmamk_f32 v16, v11, 0x3377d1cf, v16
	v_fma_f32 v5, v3, v4, -v5
	v_fmac_f32_e32 v16, 0x3f317217, v11
	v_add_f32_e32 v5, 0x3668e277, v5
	v_fma_f32 v4, v3, v5, -v4
	v_add_f32_e32 v4, 0xb75eafce, v4
	v_fma_f32 v5, v3, v4, -v5
	;; [unrolled: 2-line block ×12, first 2 shown]
	v_cvt_i32_f32_e32 v4, v14
	v_mul_f32_e32 v14, v17, v13
	v_add_f32_e32 v3, 0x3e81531c, v3
	v_ldexp_f32 v4, v12, v4
	v_fma_f32 v12, -v15, v14, v17
	v_sub_f32_e32 v3, v3, v5
	v_cndmask_b32_e32 v4, 0, v4, vcc_lo
	v_cmp_nlt_f32_e32 vcc_lo, 0x42b17218, v7
	v_fmac_f32_e32 v14, v12, v13
	v_mul_f32_e32 v3, 0.5, v3
	v_cndmask_b32_e32 v4, 0x7f800000, v4, vcc_lo
	v_cmp_gt_f32_e64 vcc_lo, 0x7f800000, |v11|
	v_fma_f32 v5, -v15, v14, v17
	v_mul_f32_e32 v3, v7, v3
	v_cndmask_b32_e32 v11, v11, v16, vcc_lo
	s_mov_b32 vcc_lo, s4
	v_mul_f32_e32 v4, v4, v3
	v_div_fmas_f32 v5, v5, v13, v14
	v_sub_f32_e32 v11, v11, v18
	v_div_fixup_f32 v3, v5, v7, v6
	v_fmac_f32_e32 v3, v11, v4
.LBB11_12:
	s_andn2_saveexec_b32 s9, s9
	s_cbranch_execz .LBB11_14
; %bb.13:
	v_div_scale_f32 v3, null, v7, v7, 0x41000000
	v_div_scale_f32 v6, vcc_lo, 0x41000000, v7, 0x41000000
	s_mov_b32 s4, 0xa2d462ea
	v_rcp_f32_e32 v4, v3
	v_fma_f32 v5, -v3, v4, 1.0
	v_fmac_f32_e32 v4, v5, v4
	v_mul_f32_e32 v5, v6, v4
	v_fma_f32 v11, -v3, v5, v6
	v_fmac_f32_e32 v5, v11, v4
	v_mul_f32_e32 v11, 0xbfb8aa3b, v7
	v_fma_f32 v3, -v3, v5, v6
	v_mul_f32_e32 v6, 0x4f800000, v7
	v_rndne_f32_e32 v12, v11
	v_fma_f32 v13, 0xbfb8aa3b, v7, -v11
	v_div_fmas_f32 v3, v3, v4, v5
	v_cmp_gt_f32_e32 vcc_lo, 0xf800000, v7
	v_sub_f32_e32 v11, v11, v12
	v_fmamk_f32 v13, v7, 0xb2a5705f, v13
	v_cvt_i32_f32_e32 v12, v12
	v_div_fixup_f32 v3, v3, v7, 0x41000000
	v_cndmask_b32_e32 v6, v7, v6, vcc_lo
	v_add_f32_e32 v11, v11, v13
	v_add_f32_e32 v3, -2.0, v3
	v_sqrt_f32_e32 v14, v6
	v_exp_f32_e32 v11, v11
	v_fmaak_f32 v4, s4, v3, 0x23a578d4
	v_fmaak_f32 v5, v3, v4, 0x22d462ea
	v_add_nc_u32_e32 v13, -1, v14
	v_add_nc_u32_e32 v15, 1, v14
	v_add_f32_e32 v5, 0xa48330a9, v5
	v_fma_f32 v16, -v13, v14, v6
	v_fma_f32 v17, -v15, v14, v6
	v_fma_f32 v4, v3, v5, -v4
	v_cmp_ge_f32_e64 s4, 0, v16
	v_add_f32_e32 v4, 0x2553eaf2, v4
	v_cndmask_b32_e64 v13, v14, v13, s4
	v_cmp_lt_f32_e64 s4, 0, v17
	v_fma_f32 v5, v3, v4, -v5
	v_add_f32_e32 v5, 0xa62e951f, v5
	v_fma_f32 v4, v3, v5, -v4
	v_add_f32_e32 v4, 0x2712e76f, v4
	v_fma_f32 v5, v3, v4, -v5
	v_add_f32_e32 v5, 0xa7fcea92, v5
	v_fma_f32 v4, v3, v5, -v4
	v_add_f32_e32 v4, 0x28df1f4b, v4
	v_fma_f32 v5, v3, v4, -v5
	v_add_f32_e32 v5, 0xa9ca232f, v5
	v_fma_f32 v4, v3, v5, -v4
	v_add_f32_e32 v4, 0x2abc7fd0, v4
	v_fma_f32 v5, v3, v4, -v5
	v_add_f32_e32 v5, 0xabb56f63, v5
	v_fma_f32 v4, v3, v5, -v4
	v_add_f32_e32 v4, 0x2cb4d5c2, v4
	v_fma_f32 v5, v3, v4, -v5
	v_add_f32_e32 v5, 0xadbb5a9d, v5
	v_fma_f32 v4, v3, v5, -v4
	v_add_f32_e32 v4, 0x2ecab680, v4
	v_fma_f32 v5, v3, v4, -v5
	v_add_f32_e32 v5, 0xafe65e00, v5
	v_fma_f32 v4, v3, v5, -v4
	v_add_f32_e32 v4, 0x310a7921, v4
	v_fma_f32 v5, v3, v4, -v5
	v_add_f32_e32 v5, 0xb231bd25, v5
	v_fma_f32 v4, v3, v5, -v4
	v_add_f32_e32 v4, 0x337693e3, v4
	v_fma_f32 v5, v3, v4, -v5
	v_add_f32_e32 v5, 0xb4bc0294, v5
	v_fma_f32 v4, v3, v5, -v4
	v_add_f32_e32 v4, 0x36217f19, v4
	v_fma_f32 v5, v3, v4, -v5
	v_add_f32_e32 v5, 0xb7a26b89, v5
	v_fma_f32 v4, v3, v5, -v4
	v_add_f32_e32 v4, 0x394cb2c4, v4
	v_fma_f32 v5, v3, v4, -v5
	v_add_f32_e32 v5, 0xbb3b4a36, v5
	v_fma_f32 v4, v3, v5, -v4
	v_add_f32_e32 v4, 0x3dd4d5f8, v4
	v_fma_f32 v3, v3, v4, -v5
	v_ldexp_f32 v4, v11, v12
	v_cndmask_b32_e64 v11, v13, v15, s4
	v_cmp_nlt_f32_e64 s4, 0x42ce8ed0, v7
	v_add_f32_e32 v3, 0x402e1ebd, v3
	v_mul_f32_e32 v12, 0x37800000, v11
	v_cndmask_b32_e64 v4, 0, v4, s4
	v_cmp_ngt_f32_e64 s4, 0xc2b17218, v7
	v_sub_f32_e32 v3, v3, v5
	v_cndmask_b32_e32 v5, v11, v12, vcc_lo
	v_cmp_class_f32_e64 vcc_lo, v6, 0x260
	v_cndmask_b32_e64 v4, 0x7f800000, v4, s4
	v_mul_f32_e32 v3, 0.5, v3
	v_cndmask_b32_e32 v5, v5, v6, vcc_lo
	v_mul_f32_e32 v3, v4, v3
	v_div_scale_f32 v4, null, v5, v5, v3
	v_rcp_f32_e32 v6, v4
	v_fma_f32 v7, -v4, v6, 1.0
	v_fmac_f32_e32 v6, v7, v6
	v_div_scale_f32 v7, vcc_lo, v3, v5, v3
	v_mul_f32_e32 v11, v7, v6
	v_fma_f32 v12, -v4, v11, v7
	v_fmac_f32_e32 v11, v12, v6
	v_fma_f32 v4, -v4, v11, v7
	v_div_fmas_f32 v4, v4, v6, v11
	v_div_fixup_f32 v3, v4, v5, v3
.LBB11_14:
	s_or_b32 exec_lo, exec_lo, s9
.LBB11_15:
	s_or_b32 exec_lo, exec_lo, s8
.LBB11_16:
	s_or_b32 exec_lo, exec_lo, s5
	v_mov_b32_e32 v5, 0x7f800000
	v_mov_b32_e32 v4, 0x7f800000
	s_mov_b32 s5, exec_lo
	v_cmpx_neq_f32_e32 0, v8
	s_cbranch_execz .LBB11_24
; %bb.17:
	v_mov_b32_e32 v4, 0x7fc00000
	s_mov_b32 s8, exec_lo
	v_cmpx_ngt_f32_e32 0, v8
	s_cbranch_execz .LBB11_23
; %bb.18:
	s_mov_b32 s4, exec_lo
	v_cmpx_ge_f32_e32 2.0, v8
	s_xor_b32 s9, exec_lo, s4
	s_cbranch_execz .LBB11_20
; %bb.19:
	v_fma_f32 v4, v8, 0.5, -2.0
	s_mov_b32 s4, 0x224cf950
	v_fma_f32 v11, v8, v8, -2.0
	v_fmaak_f32 v6, s4, v4, 0xa3c2be86
	s_mov_b32 s4, 0xa3019142
	v_fmaak_f32 v12, s4, v11, 0xa72eea8c
	v_fmaak_f32 v7, v4, v6, 0xa24cf950
	v_fmaak_f32 v13, v11, v12, 0x23019142
	v_add_f32_e32 v7, 0x25331f1f, v7
	v_add_f32_e32 v13, 0xab3ba817, v13
	v_fma_f32 v6, v4, v7, -v6
	v_fma_f32 v12, v11, v13, -v12
	v_add_f32_e32 v6, 0xa69f5554, v6
	v_add_f32_e32 v12, 0xaf1b31de, v12
	v_fma_f32 v7, v4, v6, -v7
	v_fma_f32 v13, v11, v12, -v13
	v_add_f32_e32 v7, 0x2808ebf8, v7
	v_add_f32_e32 v13, 0xb2be20e9, v13
	v_fma_f32 v6, v4, v7, -v6
	v_fma_f32 v12, v11, v13, -v12
	v_add_f32_e32 v6, 0xa9631471, v6
	v_add_f32_e32 v12, 0xb6234d99, v12
	v_fma_f32 v7, v4, v6, -v7
	v_fma_f32 v13, v11, v12, -v13
	v_add_f32_e32 v7, 0x2ab57bc2, v7
	v_add_f32_e32 v13, 0xb9356f17, v13
	v_fma_f32 v6, v4, v7, -v6
	v_fma_f32 v12, v11, v13, -v12
	v_add_f32_e32 v6, 0xac0b9c1b, v6
	v_add_f32_e32 v12, 0xbbe4949d, v12
	v_fma_f32 v7, v4, v6, -v7
	v_fma_f32 v13, v11, v12, -v13
	v_add_f32_e32 v7, 0x2d4e7716, v7
	v_add_f32_e32 v13, 0xbdfb1b92, v13
	v_fma_f32 v6, v4, v7, -v6
	v_fma_f32 v12, v11, v13, -v12
	v_add_f32_e32 v6, 0xae92881d, v6
	v_add_f32_e32 v12, 0xbeb4d0dc, v12
	v_fma_f32 v7, v4, v6, -v7
	v_fma_f32 v11, v11, v12, -v13
	v_mul_f32_e32 v12, 0.5, v8
	v_add_f32_e32 v7, 0x2fc751a6, v7
	v_add_f32_e32 v11, 0x3fc33d0a, v11
	v_cmp_gt_f32_e32 vcc_lo, 0x800000, v12
	v_fma_f32 v6, v4, v7, -v6
	v_sub_f32_e32 v11, v11, v13
	v_mul_f32_e32 v13, 0x3fb8aa3b, v8
	v_add_f32_e32 v6, 0xb101b0d9, v6
	v_cndmask_b32_e64 v14, 0, 32, vcc_lo
	v_cndmask_b32_e64 v19, 0, 0x41b17218, vcc_lo
	v_mul_f32_e32 v11, 0.5, v11
	v_rndne_f32_e32 v15, v13
	v_fma_f32 v7, v4, v6, -v7
	v_fma_f32 v17, 0x3fb8aa3b, v8, -v13
	v_ldexp_f32 v12, v12, v14
	v_div_scale_f32 v16, null, v8, v8, v11
	v_add_f32_e32 v7, 0x32212c70, v7
	v_sub_f32_e32 v13, v13, v15
	v_fmamk_f32 v17, v8, 0x32a5705f, v17
	v_rcp_f32_e32 v14, v16
	v_log_f32_e32 v12, v12
	v_fma_f32 v6, v4, v7, -v6
	v_div_scale_f32 v18, s4, v11, v8, v11
	v_add_f32_e32 v13, v13, v17
	v_cmp_ngt_f32_e32 vcc_lo, 0xc2ce8ed0, v8
	v_add_f32_e32 v6, 0xb33ee9f1, v6
	v_exp_f32_e32 v13, v13
	v_fma_f32 v17, -v16, v14, 1.0
	v_fma_f32 v7, v4, v6, -v7
	v_fmac_f32_e32 v14, v17, v14
	v_add_f32_e32 v7, 0x34571a26, v7
	v_mul_f32_e32 v17, 0x3f317217, v12
	v_fma_f32 v6, v4, v7, -v6
	v_fma_f32 v17, 0x3f317217, v12, -v17
	v_add_f32_e32 v6, 0xb56603cc, v6
	v_fmamk_f32 v17, v12, 0x3377d1cf, v17
	v_fma_f32 v7, v4, v6, -v7
	v_fmac_f32_e32 v17, 0x3f317217, v12
	v_add_f32_e32 v7, 0x3668e277, v7
	v_fma_f32 v6, v4, v7, -v6
	v_add_f32_e32 v6, 0xb75eafce, v6
	v_fma_f32 v7, v4, v6, -v7
	;; [unrolled: 2-line block ×12, first 2 shown]
	v_cvt_i32_f32_e32 v6, v15
	v_mul_f32_e32 v15, v18, v14
	v_add_f32_e32 v4, 0x3e81531c, v4
	v_ldexp_f32 v6, v13, v6
	v_fma_f32 v13, -v16, v15, v18
	v_sub_f32_e32 v4, v4, v7
	v_cndmask_b32_e32 v6, 0, v6, vcc_lo
	v_cmp_nlt_f32_e32 vcc_lo, 0x42b17218, v8
	v_fmac_f32_e32 v15, v13, v14
	v_mul_f32_e32 v4, 0.5, v4
	v_cndmask_b32_e32 v6, 0x7f800000, v6, vcc_lo
	v_cmp_gt_f32_e64 vcc_lo, 0x7f800000, |v12|
	v_fma_f32 v7, -v16, v15, v18
	v_mul_f32_e32 v4, v8, v4
	v_cndmask_b32_e32 v12, v12, v17, vcc_lo
	s_mov_b32 vcc_lo, s4
	v_mul_f32_e32 v6, v6, v4
	v_div_fmas_f32 v7, v7, v14, v15
	v_sub_f32_e32 v12, v12, v19
	v_div_fixup_f32 v4, v7, v8, v11
	v_fmac_f32_e32 v4, v12, v6
.LBB11_20:
	s_andn2_saveexec_b32 s9, s9
	s_cbranch_execz .LBB11_22
; %bb.21:
	v_div_scale_f32 v4, null, v8, v8, 0x41000000
	v_div_scale_f32 v11, vcc_lo, 0x41000000, v8, 0x41000000
	s_mov_b32 s4, 0xa2d462ea
	v_rcp_f32_e32 v6, v4
	v_fma_f32 v7, -v4, v6, 1.0
	v_fmac_f32_e32 v6, v7, v6
	v_mul_f32_e32 v7, v11, v6
	v_fma_f32 v12, -v4, v7, v11
	v_fmac_f32_e32 v7, v12, v6
	v_mul_f32_e32 v12, 0xbfb8aa3b, v8
	v_fma_f32 v4, -v4, v7, v11
	v_mul_f32_e32 v11, 0x4f800000, v8
	v_rndne_f32_e32 v13, v12
	v_fma_f32 v14, 0xbfb8aa3b, v8, -v12
	v_div_fmas_f32 v4, v4, v6, v7
	v_cmp_gt_f32_e32 vcc_lo, 0xf800000, v8
	v_sub_f32_e32 v12, v12, v13
	v_fmamk_f32 v14, v8, 0xb2a5705f, v14
	v_cvt_i32_f32_e32 v13, v13
	v_div_fixup_f32 v4, v4, v8, 0x41000000
	v_cndmask_b32_e32 v11, v8, v11, vcc_lo
	v_add_f32_e32 v12, v12, v14
	v_add_f32_e32 v4, -2.0, v4
	v_sqrt_f32_e32 v15, v11
	v_exp_f32_e32 v12, v12
	v_fmaak_f32 v6, s4, v4, 0x23a578d4
	v_fmaak_f32 v7, v4, v6, 0x22d462ea
	v_add_nc_u32_e32 v14, -1, v15
	v_add_nc_u32_e32 v16, 1, v15
	v_add_f32_e32 v7, 0xa48330a9, v7
	v_fma_f32 v17, -v14, v15, v11
	v_fma_f32 v18, -v16, v15, v11
	v_fma_f32 v6, v4, v7, -v6
	v_cmp_ge_f32_e64 s4, 0, v17
	v_add_f32_e32 v6, 0x2553eaf2, v6
	v_cndmask_b32_e64 v14, v15, v14, s4
	v_cmp_lt_f32_e64 s4, 0, v18
	v_fma_f32 v7, v4, v6, -v7
	v_add_f32_e32 v7, 0xa62e951f, v7
	v_fma_f32 v6, v4, v7, -v6
	v_add_f32_e32 v6, 0x2712e76f, v6
	;; [unrolled: 2-line block ×20, first 2 shown]
	v_fma_f32 v4, v4, v6, -v7
	v_ldexp_f32 v6, v12, v13
	v_cndmask_b32_e64 v12, v14, v16, s4
	v_cmp_nlt_f32_e64 s4, 0x42ce8ed0, v8
	v_add_f32_e32 v4, 0x402e1ebd, v4
	v_mul_f32_e32 v13, 0x37800000, v12
	v_cndmask_b32_e64 v6, 0, v6, s4
	v_cmp_ngt_f32_e64 s4, 0xc2b17218, v8
	v_sub_f32_e32 v4, v4, v7
	v_cndmask_b32_e32 v7, v12, v13, vcc_lo
	v_cmp_class_f32_e64 vcc_lo, v11, 0x260
	v_cndmask_b32_e64 v6, 0x7f800000, v6, s4
	v_mul_f32_e32 v4, 0.5, v4
	v_cndmask_b32_e32 v7, v7, v11, vcc_lo
	v_mul_f32_e32 v4, v6, v4
	v_div_scale_f32 v6, null, v7, v7, v4
	v_rcp_f32_e32 v8, v6
	v_fma_f32 v11, -v6, v8, 1.0
	v_fmac_f32_e32 v8, v11, v8
	v_div_scale_f32 v11, vcc_lo, v4, v7, v4
	v_mul_f32_e32 v12, v11, v8
	v_fma_f32 v13, -v6, v12, v11
	v_fmac_f32_e32 v12, v13, v8
	v_fma_f32 v6, -v6, v12, v11
	v_div_fmas_f32 v6, v6, v8, v12
	v_div_fixup_f32 v4, v6, v7, v4
.LBB11_22:
	s_or_b32 exec_lo, exec_lo, s9
.LBB11_23:
	s_or_b32 exec_lo, exec_lo, s8
.LBB11_24:
	s_or_b32 exec_lo, exec_lo, s5
	s_mov_b32 s5, exec_lo
	v_cmpx_neq_f32_e32 0, v9
	s_cbranch_execz .LBB11_32
; %bb.25:
	v_mov_b32_e32 v5, 0x7fc00000
	s_mov_b32 s8, exec_lo
	v_cmpx_ngt_f32_e32 0, v9
	s_cbranch_execz .LBB11_31
; %bb.26:
	s_mov_b32 s4, exec_lo
	v_cmpx_ge_f32_e32 2.0, v9
	s_xor_b32 s9, exec_lo, s4
	s_cbranch_execz .LBB11_28
; %bb.27:
	v_fma_f32 v5, v9, 0.5, -2.0
	s_mov_b32 s4, 0x224cf950
	v_fma_f32 v8, v9, v9, -2.0
	v_fmaak_f32 v6, s4, v5, 0xa3c2be86
	s_mov_b32 s4, 0xa3019142
	v_fmaak_f32 v11, s4, v8, 0xa72eea8c
	v_fmaak_f32 v7, v5, v6, 0xa24cf950
	;; [unrolled: 1-line block ×3, first 2 shown]
	v_add_f32_e32 v7, 0x25331f1f, v7
	v_add_f32_e32 v12, 0xab3ba817, v12
	v_fma_f32 v6, v5, v7, -v6
	v_fma_f32 v11, v8, v12, -v11
	v_add_f32_e32 v6, 0xa69f5554, v6
	v_add_f32_e32 v11, 0xaf1b31de, v11
	v_fma_f32 v7, v5, v6, -v7
	v_fma_f32 v12, v8, v11, -v12
	;; [unrolled: 4-line block ×8, first 2 shown]
	v_mul_f32_e32 v11, 0.5, v9
	v_add_f32_e32 v7, 0x2fc751a6, v7
	v_add_f32_e32 v8, 0x3fc33d0a, v8
	v_cmp_gt_f32_e32 vcc_lo, 0x800000, v11
	v_fma_f32 v6, v5, v7, -v6
	v_sub_f32_e32 v8, v8, v12
	v_mul_f32_e32 v12, 0x3fb8aa3b, v9
	v_add_f32_e32 v6, 0xb101b0d9, v6
	v_cndmask_b32_e64 v13, 0, 32, vcc_lo
	v_cndmask_b32_e64 v18, 0, 0x41b17218, vcc_lo
	v_mul_f32_e32 v8, 0.5, v8
	v_rndne_f32_e32 v14, v12
	v_fma_f32 v7, v5, v6, -v7
	v_fma_f32 v16, 0x3fb8aa3b, v9, -v12
	v_ldexp_f32 v11, v11, v13
	v_div_scale_f32 v15, null, v9, v9, v8
	v_add_f32_e32 v7, 0x32212c70, v7
	v_sub_f32_e32 v12, v12, v14
	v_fmamk_f32 v16, v9, 0x32a5705f, v16
	v_rcp_f32_e32 v13, v15
	v_log_f32_e32 v11, v11
	v_fma_f32 v6, v5, v7, -v6
	v_div_scale_f32 v17, s4, v8, v9, v8
	v_add_f32_e32 v12, v12, v16
	v_cmp_ngt_f32_e32 vcc_lo, 0xc2ce8ed0, v9
	v_add_f32_e32 v6, 0xb33ee9f1, v6
	v_exp_f32_e32 v12, v12
	v_fma_f32 v16, -v15, v13, 1.0
	v_fma_f32 v7, v5, v6, -v7
	v_fmac_f32_e32 v13, v16, v13
	v_add_f32_e32 v7, 0x34571a26, v7
	v_mul_f32_e32 v16, 0x3f317217, v11
	v_fma_f32 v6, v5, v7, -v6
	v_fma_f32 v16, 0x3f317217, v11, -v16
	v_add_f32_e32 v6, 0xb56603cc, v6
	v_fmamk_f32 v16, v11, 0x3377d1cf, v16
	v_fma_f32 v7, v5, v6, -v7
	v_fmac_f32_e32 v16, 0x3f317217, v11
	v_add_f32_e32 v7, 0x3668e277, v7
	v_fma_f32 v6, v5, v7, -v6
	v_add_f32_e32 v6, 0xb75eafce, v6
	v_fma_f32 v7, v5, v6, -v7
	;; [unrolled: 2-line block ×12, first 2 shown]
	v_cvt_i32_f32_e32 v6, v14
	v_mul_f32_e32 v14, v17, v13
	v_add_f32_e32 v5, 0x3e81531c, v5
	v_ldexp_f32 v6, v12, v6
	v_fma_f32 v12, -v15, v14, v17
	v_sub_f32_e32 v5, v5, v7
	v_cndmask_b32_e32 v6, 0, v6, vcc_lo
	v_cmp_nlt_f32_e32 vcc_lo, 0x42b17218, v9
	v_fmac_f32_e32 v14, v12, v13
	v_mul_f32_e32 v5, 0.5, v5
	v_cndmask_b32_e32 v6, 0x7f800000, v6, vcc_lo
	v_cmp_gt_f32_e64 vcc_lo, 0x7f800000, |v11|
	v_fma_f32 v7, -v15, v14, v17
	v_mul_f32_e32 v5, v9, v5
	v_cndmask_b32_e32 v11, v11, v16, vcc_lo
	s_mov_b32 vcc_lo, s4
	v_mul_f32_e32 v6, v6, v5
	v_div_fmas_f32 v7, v7, v13, v14
	v_sub_f32_e32 v11, v11, v18
	v_div_fixup_f32 v5, v7, v9, v8
	v_fmac_f32_e32 v5, v11, v6
                                        ; implicit-def: $vgpr6_vgpr7_vgpr8_vgpr9
.LBB11_28:
	s_andn2_saveexec_b32 s9, s9
	s_cbranch_execz .LBB11_30
; %bb.29:
	v_div_scale_f32 v5, null, v9, v9, 0x41000000
	v_div_scale_f32 v8, vcc_lo, 0x41000000, v9, 0x41000000
	s_mov_b32 s4, 0xa2d462ea
	v_rcp_f32_e32 v6, v5
	v_fma_f32 v7, -v5, v6, 1.0
	v_fmac_f32_e32 v6, v7, v6
	v_mul_f32_e32 v7, v8, v6
	v_fma_f32 v11, -v5, v7, v8
	v_fmac_f32_e32 v7, v11, v6
	v_mul_f32_e32 v11, 0xbfb8aa3b, v9
	v_fma_f32 v5, -v5, v7, v8
	v_mul_f32_e32 v8, 0x4f800000, v9
	v_rndne_f32_e32 v12, v11
	v_fma_f32 v13, 0xbfb8aa3b, v9, -v11
	v_div_fmas_f32 v5, v5, v6, v7
	v_cmp_gt_f32_e32 vcc_lo, 0xf800000, v9
	v_sub_f32_e32 v11, v11, v12
	v_fmamk_f32 v13, v9, 0xb2a5705f, v13
	v_cvt_i32_f32_e32 v12, v12
	v_div_fixup_f32 v5, v5, v9, 0x41000000
	v_cndmask_b32_e32 v8, v9, v8, vcc_lo
	v_add_f32_e32 v11, v11, v13
	v_add_f32_e32 v5, -2.0, v5
	v_sqrt_f32_e32 v14, v8
	v_exp_f32_e32 v11, v11
	v_fmaak_f32 v6, s4, v5, 0x23a578d4
	v_fmaak_f32 v7, v5, v6, 0x22d462ea
	v_add_nc_u32_e32 v13, -1, v14
	v_add_nc_u32_e32 v15, 1, v14
	v_add_f32_e32 v7, 0xa48330a9, v7
	v_fma_f32 v16, -v13, v14, v8
	v_fma_f32 v17, -v15, v14, v8
	v_fma_f32 v6, v5, v7, -v6
	v_cmp_ge_f32_e64 s4, 0, v16
	v_add_f32_e32 v6, 0x2553eaf2, v6
	v_cndmask_b32_e64 v13, v14, v13, s4
	v_cmp_lt_f32_e64 s4, 0, v17
	v_fma_f32 v7, v5, v6, -v7
	v_add_f32_e32 v7, 0xa62e951f, v7
	v_fma_f32 v6, v5, v7, -v6
	v_add_f32_e32 v6, 0x2712e76f, v6
	;; [unrolled: 2-line block ×20, first 2 shown]
	v_fma_f32 v5, v5, v6, -v7
	v_ldexp_f32 v6, v11, v12
	v_cndmask_b32_e64 v11, v13, v15, s4
	v_cmp_nlt_f32_e64 s4, 0x42ce8ed0, v9
	v_add_f32_e32 v5, 0x402e1ebd, v5
	v_mul_f32_e32 v12, 0x37800000, v11
	v_cndmask_b32_e64 v6, 0, v6, s4
	v_cmp_ngt_f32_e64 s4, 0xc2b17218, v9
	v_sub_f32_e32 v5, v5, v7
	v_cndmask_b32_e32 v7, v11, v12, vcc_lo
	v_cmp_class_f32_e64 vcc_lo, v8, 0x260
	v_cndmask_b32_e64 v6, 0x7f800000, v6, s4
	v_mul_f32_e32 v5, 0.5, v5
	v_cndmask_b32_e32 v7, v7, v8, vcc_lo
	v_mul_f32_e32 v5, v6, v5
	v_div_scale_f32 v6, null, v7, v7, v5
	v_rcp_f32_e32 v8, v6
	v_fma_f32 v9, -v6, v8, 1.0
	v_fmac_f32_e32 v8, v9, v8
	v_div_scale_f32 v9, vcc_lo, v5, v7, v5
	v_mul_f32_e32 v11, v9, v8
	v_fma_f32 v12, -v6, v11, v9
	v_fmac_f32_e32 v11, v12, v8
	v_fma_f32 v6, -v6, v11, v9
	v_div_fmas_f32 v6, v6, v8, v11
	v_div_fixup_f32 v5, v6, v7, v5
.LBB11_30:
	s_or_b32 exec_lo, exec_lo, s9
.LBB11_31:
	s_or_b32 exec_lo, exec_lo, s8
.LBB11_32:
	s_or_b32 exec_lo, exec_lo, s5
	v_add_co_u32 v0, vcc_lo, v0, s6
	v_add_co_ci_u32_e64 v1, null, s7, v1, vcc_lo
	v_add_co_u32 v0, vcc_lo, v0, v10
	v_add_co_ci_u32_e64 v1, null, 0, v1, vcc_lo
	flat_store_dwordx4 v[0:1], v[2:5]
	s_waitcnt lgkmcnt(0)
	s_setpc_b64 s[30:31]
.Lfunc_end11:
	.size	_ZN2at6native25elementwise_kernel_helperILb0EZZZNS0_12_GLOBAL__N_130modified_bessel_k1_kernel_cudaERNS_18TensorIteratorBaseEENKUlvE_clEvENKUlvE0_clEvEUlfE_NS0_6memory8policies10vectorizedILi4ESt5arrayIPcLm2EELi4EEEEEvT0_T1_, .Lfunc_end11-_ZN2at6native25elementwise_kernel_helperILb0EZZZNS0_12_GLOBAL__N_130modified_bessel_k1_kernel_cudaERNS_18TensorIteratorBaseEENKUlvE_clEvENKUlvE0_clEvEUlfE_NS0_6memory8policies10vectorizedILi4ESt5arrayIPcLm2EELi4EEEEEvT0_T1_
                                        ; -- End function
	.set .L_ZN2at6native25elementwise_kernel_helperILb0EZZZNS0_12_GLOBAL__N_130modified_bessel_k1_kernel_cudaERNS_18TensorIteratorBaseEENKUlvE_clEvENKUlvE0_clEvEUlfE_NS0_6memory8policies10vectorizedILi4ESt5arrayIPcLm2EELi4EEEEEvT0_T1_.num_vgpr, 32
	.set .L_ZN2at6native25elementwise_kernel_helperILb0EZZZNS0_12_GLOBAL__N_130modified_bessel_k1_kernel_cudaERNS_18TensorIteratorBaseEENKUlvE_clEvENKUlvE0_clEvEUlfE_NS0_6memory8policies10vectorizedILi4ESt5arrayIPcLm2EELi4EEEEEvT0_T1_.num_agpr, 0
	.set .L_ZN2at6native25elementwise_kernel_helperILb0EZZZNS0_12_GLOBAL__N_130modified_bessel_k1_kernel_cudaERNS_18TensorIteratorBaseEENKUlvE_clEvENKUlvE0_clEvEUlfE_NS0_6memory8policies10vectorizedILi4ESt5arrayIPcLm2EELi4EEEEEvT0_T1_.numbered_sgpr, 32
	.set .L_ZN2at6native25elementwise_kernel_helperILb0EZZZNS0_12_GLOBAL__N_130modified_bessel_k1_kernel_cudaERNS_18TensorIteratorBaseEENKUlvE_clEvENKUlvE0_clEvEUlfE_NS0_6memory8policies10vectorizedILi4ESt5arrayIPcLm2EELi4EEEEEvT0_T1_.num_named_barrier, 0
	.set .L_ZN2at6native25elementwise_kernel_helperILb0EZZZNS0_12_GLOBAL__N_130modified_bessel_k1_kernel_cudaERNS_18TensorIteratorBaseEENKUlvE_clEvENKUlvE0_clEvEUlfE_NS0_6memory8policies10vectorizedILi4ESt5arrayIPcLm2EELi4EEEEEvT0_T1_.private_seg_size, 0
	.set .L_ZN2at6native25elementwise_kernel_helperILb0EZZZNS0_12_GLOBAL__N_130modified_bessel_k1_kernel_cudaERNS_18TensorIteratorBaseEENKUlvE_clEvENKUlvE0_clEvEUlfE_NS0_6memory8policies10vectorizedILi4ESt5arrayIPcLm2EELi4EEEEEvT0_T1_.uses_vcc, 1
	.set .L_ZN2at6native25elementwise_kernel_helperILb0EZZZNS0_12_GLOBAL__N_130modified_bessel_k1_kernel_cudaERNS_18TensorIteratorBaseEENKUlvE_clEvENKUlvE0_clEvEUlfE_NS0_6memory8policies10vectorizedILi4ESt5arrayIPcLm2EELi4EEEEEvT0_T1_.uses_flat_scratch, 0
	.set .L_ZN2at6native25elementwise_kernel_helperILb0EZZZNS0_12_GLOBAL__N_130modified_bessel_k1_kernel_cudaERNS_18TensorIteratorBaseEENKUlvE_clEvENKUlvE0_clEvEUlfE_NS0_6memory8policies10vectorizedILi4ESt5arrayIPcLm2EELi4EEEEEvT0_T1_.has_dyn_sized_stack, 0
	.set .L_ZN2at6native25elementwise_kernel_helperILb0EZZZNS0_12_GLOBAL__N_130modified_bessel_k1_kernel_cudaERNS_18TensorIteratorBaseEENKUlvE_clEvENKUlvE0_clEvEUlfE_NS0_6memory8policies10vectorizedILi4ESt5arrayIPcLm2EELi4EEEEEvT0_T1_.has_recursion, 0
	.set .L_ZN2at6native25elementwise_kernel_helperILb0EZZZNS0_12_GLOBAL__N_130modified_bessel_k1_kernel_cudaERNS_18TensorIteratorBaseEENKUlvE_clEvENKUlvE0_clEvEUlfE_NS0_6memory8policies10vectorizedILi4ESt5arrayIPcLm2EELi4EEEEEvT0_T1_.has_indirect_call, 0
	.section	.AMDGPU.csdata,"",@progbits
; Function info:
; codeLenInByte = 7128
; TotalNumSgprs: 34
; NumVgprs: 32
; ScratchSize: 0
; MemoryBound: 0
	.section	.text._ZN2at6native29vectorized_elementwise_kernelILi16EZZZNS0_12_GLOBAL__N_130modified_bessel_k1_kernel_cudaERNS_18TensorIteratorBaseEENKUlvE_clEvENKUlvE0_clEvEUlfE_St5arrayIPcLm2EEEEviT0_T1_,"axG",@progbits,_ZN2at6native29vectorized_elementwise_kernelILi16EZZZNS0_12_GLOBAL__N_130modified_bessel_k1_kernel_cudaERNS_18TensorIteratorBaseEENKUlvE_clEvENKUlvE0_clEvEUlfE_St5arrayIPcLm2EEEEviT0_T1_,comdat
	.globl	_ZN2at6native29vectorized_elementwise_kernelILi16EZZZNS0_12_GLOBAL__N_130modified_bessel_k1_kernel_cudaERNS_18TensorIteratorBaseEENKUlvE_clEvENKUlvE0_clEvEUlfE_St5arrayIPcLm2EEEEviT0_T1_ ; -- Begin function _ZN2at6native29vectorized_elementwise_kernelILi16EZZZNS0_12_GLOBAL__N_130modified_bessel_k1_kernel_cudaERNS_18TensorIteratorBaseEENKUlvE_clEvENKUlvE0_clEvEUlfE_St5arrayIPcLm2EEEEviT0_T1_
	.p2align	8
	.type	_ZN2at6native29vectorized_elementwise_kernelILi16EZZZNS0_12_GLOBAL__N_130modified_bessel_k1_kernel_cudaERNS_18TensorIteratorBaseEENKUlvE_clEvENKUlvE0_clEvEUlfE_St5arrayIPcLm2EEEEviT0_T1_,@function
_ZN2at6native29vectorized_elementwise_kernelILi16EZZZNS0_12_GLOBAL__N_130modified_bessel_k1_kernel_cudaERNS_18TensorIteratorBaseEENKUlvE_clEvENKUlvE0_clEvEUlfE_St5arrayIPcLm2EEEEviT0_T1_: ; @_ZN2at6native29vectorized_elementwise_kernelILi16EZZZNS0_12_GLOBAL__N_130modified_bessel_k1_kernel_cudaERNS_18TensorIteratorBaseEENKUlvE_clEvENKUlvE0_clEvEUlfE_St5arrayIPcLm2EEEEviT0_T1_
; %bb.0:
	s_mov_b32 s12, s6
	s_clause 0x1
	s_load_dword s6, s[4:5], 0x0
	s_load_dwordx4 s[16:19], s[4:5], 0x8
	s_add_u32 s0, s0, s7
	s_addc_u32 s1, s1, 0
	s_lshl_b32 s4, s12, 10
	v_mov_b32_e32 v31, v0
	s_mov_b32 s32, 0
	s_waitcnt lgkmcnt(0)
	s_sub_i32 s10, s6, s4
	s_mov_b32 s4, -1
	s_cmpk_gt_i32 s10, 0x3ff
	s_cbranch_scc1 .LBB12_3
; %bb.1:
	s_andn2_b32 vcc_lo, exec_lo, s4
	s_cbranch_vccz .LBB12_4
.LBB12_2:
	s_endpgm
.LBB12_3:
	v_mov_b32_e32 v0, s16
	v_mov_b32_e32 v1, s17
	;; [unrolled: 1-line block ×4, first 2 shown]
	s_getpc_b64 s[4:5]
	s_add_u32 s4, s4, _ZN2at6native25elementwise_kernel_helperILb0EZZZNS0_12_GLOBAL__N_130modified_bessel_k1_kernel_cudaERNS_18TensorIteratorBaseEENKUlvE_clEvENKUlvE0_clEvEUlfE_NS0_6memory8policies10vectorizedILi4ESt5arrayIPcLm2EELi4EEEEEvT0_T1_@rel32@lo+4
	s_addc_u32 s5, s5, _ZN2at6native25elementwise_kernel_helperILb0EZZZNS0_12_GLOBAL__N_130modified_bessel_k1_kernel_cudaERNS_18TensorIteratorBaseEENKUlvE_clEvENKUlvE0_clEvEUlfE_NS0_6memory8policies10vectorizedILi4ESt5arrayIPcLm2EELi4EEEEEvT0_T1_@rel32@hi+12
	s_swappc_b64 s[30:31], s[4:5]
	s_cbranch_execnz .LBB12_2
.LBB12_4:
	v_mov_b32_e32 v0, s16
	v_mov_b32_e32 v1, s17
	;; [unrolled: 1-line block ×5, first 2 shown]
	s_getpc_b64 s[4:5]
	s_add_u32 s4, s4, _ZN2at6native25elementwise_kernel_helperILb0EZZZNS0_12_GLOBAL__N_130modified_bessel_k1_kernel_cudaERNS_18TensorIteratorBaseEENKUlvE_clEvENKUlvE0_clEvEUlfE_NS0_6memory8policies11unroll_baseILi256ESt5arrayIPcLm2EE23TrivialOffsetCalculatorILi1EjESF_NS8_15LoadWithoutCastENS8_16StoreWithoutCastELi4ELi1EEEEEvT0_T1_@rel32@lo+4
	s_addc_u32 s5, s5, _ZN2at6native25elementwise_kernel_helperILb0EZZZNS0_12_GLOBAL__N_130modified_bessel_k1_kernel_cudaERNS_18TensorIteratorBaseEENKUlvE_clEvENKUlvE0_clEvEUlfE_NS0_6memory8policies11unroll_baseILi256ESt5arrayIPcLm2EE23TrivialOffsetCalculatorILi1EjESF_NS8_15LoadWithoutCastENS8_16StoreWithoutCastELi4ELi1EEEEEvT0_T1_@rel32@hi+12
	s_swappc_b64 s[30:31], s[4:5]
	s_endpgm
	.section	.rodata,"a",@progbits
	.p2align	6, 0x0
	.amdhsa_kernel _ZN2at6native29vectorized_elementwise_kernelILi16EZZZNS0_12_GLOBAL__N_130modified_bessel_k1_kernel_cudaERNS_18TensorIteratorBaseEENKUlvE_clEvENKUlvE0_clEvEUlfE_St5arrayIPcLm2EEEEviT0_T1_
		.amdhsa_group_segment_fixed_size 0
		.amdhsa_private_segment_fixed_size 0
		.amdhsa_kernarg_size 24
		.amdhsa_user_sgpr_count 6
		.amdhsa_user_sgpr_private_segment_buffer 1
		.amdhsa_user_sgpr_dispatch_ptr 0
		.amdhsa_user_sgpr_queue_ptr 0
		.amdhsa_user_sgpr_kernarg_segment_ptr 1
		.amdhsa_user_sgpr_dispatch_id 0
		.amdhsa_user_sgpr_flat_scratch_init 0
		.amdhsa_user_sgpr_private_segment_size 0
		.amdhsa_wavefront_size32 1
		.amdhsa_uses_dynamic_stack 0
		.amdhsa_system_sgpr_private_segment_wavefront_offset 0
		.amdhsa_system_sgpr_workgroup_id_x 1
		.amdhsa_system_sgpr_workgroup_id_y 0
		.amdhsa_system_sgpr_workgroup_id_z 0
		.amdhsa_system_sgpr_workgroup_info 0
		.amdhsa_system_vgpr_workitem_id 0
		.amdhsa_next_free_vgpr 32
		.amdhsa_next_free_sgpr 33
		.amdhsa_reserve_vcc 1
		.amdhsa_reserve_flat_scratch 0
		.amdhsa_float_round_mode_32 0
		.amdhsa_float_round_mode_16_64 0
		.amdhsa_float_denorm_mode_32 3
		.amdhsa_float_denorm_mode_16_64 3
		.amdhsa_dx10_clamp 1
		.amdhsa_ieee_mode 1
		.amdhsa_fp16_overflow 0
		.amdhsa_workgroup_processor_mode 1
		.amdhsa_memory_ordered 1
		.amdhsa_forward_progress 1
		.amdhsa_shared_vgpr_count 0
		.amdhsa_exception_fp_ieee_invalid_op 0
		.amdhsa_exception_fp_denorm_src 0
		.amdhsa_exception_fp_ieee_div_zero 0
		.amdhsa_exception_fp_ieee_overflow 0
		.amdhsa_exception_fp_ieee_underflow 0
		.amdhsa_exception_fp_ieee_inexact 0
		.amdhsa_exception_int_div_zero 0
	.end_amdhsa_kernel
	.section	.text._ZN2at6native29vectorized_elementwise_kernelILi16EZZZNS0_12_GLOBAL__N_130modified_bessel_k1_kernel_cudaERNS_18TensorIteratorBaseEENKUlvE_clEvENKUlvE0_clEvEUlfE_St5arrayIPcLm2EEEEviT0_T1_,"axG",@progbits,_ZN2at6native29vectorized_elementwise_kernelILi16EZZZNS0_12_GLOBAL__N_130modified_bessel_k1_kernel_cudaERNS_18TensorIteratorBaseEENKUlvE_clEvENKUlvE0_clEvEUlfE_St5arrayIPcLm2EEEEviT0_T1_,comdat
.Lfunc_end12:
	.size	_ZN2at6native29vectorized_elementwise_kernelILi16EZZZNS0_12_GLOBAL__N_130modified_bessel_k1_kernel_cudaERNS_18TensorIteratorBaseEENKUlvE_clEvENKUlvE0_clEvEUlfE_St5arrayIPcLm2EEEEviT0_T1_, .Lfunc_end12-_ZN2at6native29vectorized_elementwise_kernelILi16EZZZNS0_12_GLOBAL__N_130modified_bessel_k1_kernel_cudaERNS_18TensorIteratorBaseEENKUlvE_clEvENKUlvE0_clEvEUlfE_St5arrayIPcLm2EEEEviT0_T1_
                                        ; -- End function
	.set _ZN2at6native29vectorized_elementwise_kernelILi16EZZZNS0_12_GLOBAL__N_130modified_bessel_k1_kernel_cudaERNS_18TensorIteratorBaseEENKUlvE_clEvENKUlvE0_clEvEUlfE_St5arrayIPcLm2EEEEviT0_T1_.num_vgpr, max(32, .L_ZN2at6native25elementwise_kernel_helperILb0EZZZNS0_12_GLOBAL__N_130modified_bessel_k1_kernel_cudaERNS_18TensorIteratorBaseEENKUlvE_clEvENKUlvE0_clEvEUlfE_NS0_6memory8policies10vectorizedILi4ESt5arrayIPcLm2EELi4EEEEEvT0_T1_.num_vgpr, .L_ZN2at6native25elementwise_kernel_helperILb0EZZZNS0_12_GLOBAL__N_130modified_bessel_k1_kernel_cudaERNS_18TensorIteratorBaseEENKUlvE_clEvENKUlvE0_clEvEUlfE_NS0_6memory8policies11unroll_baseILi256ESt5arrayIPcLm2EE23TrivialOffsetCalculatorILi1EjESF_NS8_15LoadWithoutCastENS8_16StoreWithoutCastELi4ELi1EEEEEvT0_T1_.num_vgpr)
	.set _ZN2at6native29vectorized_elementwise_kernelILi16EZZZNS0_12_GLOBAL__N_130modified_bessel_k1_kernel_cudaERNS_18TensorIteratorBaseEENKUlvE_clEvENKUlvE0_clEvEUlfE_St5arrayIPcLm2EEEEviT0_T1_.num_agpr, max(0, .L_ZN2at6native25elementwise_kernel_helperILb0EZZZNS0_12_GLOBAL__N_130modified_bessel_k1_kernel_cudaERNS_18TensorIteratorBaseEENKUlvE_clEvENKUlvE0_clEvEUlfE_NS0_6memory8policies10vectorizedILi4ESt5arrayIPcLm2EELi4EEEEEvT0_T1_.num_agpr, .L_ZN2at6native25elementwise_kernel_helperILb0EZZZNS0_12_GLOBAL__N_130modified_bessel_k1_kernel_cudaERNS_18TensorIteratorBaseEENKUlvE_clEvENKUlvE0_clEvEUlfE_NS0_6memory8policies11unroll_baseILi256ESt5arrayIPcLm2EE23TrivialOffsetCalculatorILi1EjESF_NS8_15LoadWithoutCastENS8_16StoreWithoutCastELi4ELi1EEEEEvT0_T1_.num_agpr)
	.set _ZN2at6native29vectorized_elementwise_kernelILi16EZZZNS0_12_GLOBAL__N_130modified_bessel_k1_kernel_cudaERNS_18TensorIteratorBaseEENKUlvE_clEvENKUlvE0_clEvEUlfE_St5arrayIPcLm2EEEEviT0_T1_.numbered_sgpr, max(33, .L_ZN2at6native25elementwise_kernel_helperILb0EZZZNS0_12_GLOBAL__N_130modified_bessel_k1_kernel_cudaERNS_18TensorIteratorBaseEENKUlvE_clEvENKUlvE0_clEvEUlfE_NS0_6memory8policies10vectorizedILi4ESt5arrayIPcLm2EELi4EEEEEvT0_T1_.numbered_sgpr, .L_ZN2at6native25elementwise_kernel_helperILb0EZZZNS0_12_GLOBAL__N_130modified_bessel_k1_kernel_cudaERNS_18TensorIteratorBaseEENKUlvE_clEvENKUlvE0_clEvEUlfE_NS0_6memory8policies11unroll_baseILi256ESt5arrayIPcLm2EE23TrivialOffsetCalculatorILi1EjESF_NS8_15LoadWithoutCastENS8_16StoreWithoutCastELi4ELi1EEEEEvT0_T1_.numbered_sgpr)
	.set _ZN2at6native29vectorized_elementwise_kernelILi16EZZZNS0_12_GLOBAL__N_130modified_bessel_k1_kernel_cudaERNS_18TensorIteratorBaseEENKUlvE_clEvENKUlvE0_clEvEUlfE_St5arrayIPcLm2EEEEviT0_T1_.num_named_barrier, max(0, .L_ZN2at6native25elementwise_kernel_helperILb0EZZZNS0_12_GLOBAL__N_130modified_bessel_k1_kernel_cudaERNS_18TensorIteratorBaseEENKUlvE_clEvENKUlvE0_clEvEUlfE_NS0_6memory8policies10vectorizedILi4ESt5arrayIPcLm2EELi4EEEEEvT0_T1_.num_named_barrier, .L_ZN2at6native25elementwise_kernel_helperILb0EZZZNS0_12_GLOBAL__N_130modified_bessel_k1_kernel_cudaERNS_18TensorIteratorBaseEENKUlvE_clEvENKUlvE0_clEvEUlfE_NS0_6memory8policies11unroll_baseILi256ESt5arrayIPcLm2EE23TrivialOffsetCalculatorILi1EjESF_NS8_15LoadWithoutCastENS8_16StoreWithoutCastELi4ELi1EEEEEvT0_T1_.num_named_barrier)
	.set _ZN2at6native29vectorized_elementwise_kernelILi16EZZZNS0_12_GLOBAL__N_130modified_bessel_k1_kernel_cudaERNS_18TensorIteratorBaseEENKUlvE_clEvENKUlvE0_clEvEUlfE_St5arrayIPcLm2EEEEviT0_T1_.private_seg_size, 0+max(.L_ZN2at6native25elementwise_kernel_helperILb0EZZZNS0_12_GLOBAL__N_130modified_bessel_k1_kernel_cudaERNS_18TensorIteratorBaseEENKUlvE_clEvENKUlvE0_clEvEUlfE_NS0_6memory8policies10vectorizedILi4ESt5arrayIPcLm2EELi4EEEEEvT0_T1_.private_seg_size, .L_ZN2at6native25elementwise_kernel_helperILb0EZZZNS0_12_GLOBAL__N_130modified_bessel_k1_kernel_cudaERNS_18TensorIteratorBaseEENKUlvE_clEvENKUlvE0_clEvEUlfE_NS0_6memory8policies11unroll_baseILi256ESt5arrayIPcLm2EE23TrivialOffsetCalculatorILi1EjESF_NS8_15LoadWithoutCastENS8_16StoreWithoutCastELi4ELi1EEEEEvT0_T1_.private_seg_size)
	.set _ZN2at6native29vectorized_elementwise_kernelILi16EZZZNS0_12_GLOBAL__N_130modified_bessel_k1_kernel_cudaERNS_18TensorIteratorBaseEENKUlvE_clEvENKUlvE0_clEvEUlfE_St5arrayIPcLm2EEEEviT0_T1_.uses_vcc, or(1, .L_ZN2at6native25elementwise_kernel_helperILb0EZZZNS0_12_GLOBAL__N_130modified_bessel_k1_kernel_cudaERNS_18TensorIteratorBaseEENKUlvE_clEvENKUlvE0_clEvEUlfE_NS0_6memory8policies10vectorizedILi4ESt5arrayIPcLm2EELi4EEEEEvT0_T1_.uses_vcc, .L_ZN2at6native25elementwise_kernel_helperILb0EZZZNS0_12_GLOBAL__N_130modified_bessel_k1_kernel_cudaERNS_18TensorIteratorBaseEENKUlvE_clEvENKUlvE0_clEvEUlfE_NS0_6memory8policies11unroll_baseILi256ESt5arrayIPcLm2EE23TrivialOffsetCalculatorILi1EjESF_NS8_15LoadWithoutCastENS8_16StoreWithoutCastELi4ELi1EEEEEvT0_T1_.uses_vcc)
	.set _ZN2at6native29vectorized_elementwise_kernelILi16EZZZNS0_12_GLOBAL__N_130modified_bessel_k1_kernel_cudaERNS_18TensorIteratorBaseEENKUlvE_clEvENKUlvE0_clEvEUlfE_St5arrayIPcLm2EEEEviT0_T1_.uses_flat_scratch, or(0, .L_ZN2at6native25elementwise_kernel_helperILb0EZZZNS0_12_GLOBAL__N_130modified_bessel_k1_kernel_cudaERNS_18TensorIteratorBaseEENKUlvE_clEvENKUlvE0_clEvEUlfE_NS0_6memory8policies10vectorizedILi4ESt5arrayIPcLm2EELi4EEEEEvT0_T1_.uses_flat_scratch, .L_ZN2at6native25elementwise_kernel_helperILb0EZZZNS0_12_GLOBAL__N_130modified_bessel_k1_kernel_cudaERNS_18TensorIteratorBaseEENKUlvE_clEvENKUlvE0_clEvEUlfE_NS0_6memory8policies11unroll_baseILi256ESt5arrayIPcLm2EE23TrivialOffsetCalculatorILi1EjESF_NS8_15LoadWithoutCastENS8_16StoreWithoutCastELi4ELi1EEEEEvT0_T1_.uses_flat_scratch)
	.set _ZN2at6native29vectorized_elementwise_kernelILi16EZZZNS0_12_GLOBAL__N_130modified_bessel_k1_kernel_cudaERNS_18TensorIteratorBaseEENKUlvE_clEvENKUlvE0_clEvEUlfE_St5arrayIPcLm2EEEEviT0_T1_.has_dyn_sized_stack, or(0, .L_ZN2at6native25elementwise_kernel_helperILb0EZZZNS0_12_GLOBAL__N_130modified_bessel_k1_kernel_cudaERNS_18TensorIteratorBaseEENKUlvE_clEvENKUlvE0_clEvEUlfE_NS0_6memory8policies10vectorizedILi4ESt5arrayIPcLm2EELi4EEEEEvT0_T1_.has_dyn_sized_stack, .L_ZN2at6native25elementwise_kernel_helperILb0EZZZNS0_12_GLOBAL__N_130modified_bessel_k1_kernel_cudaERNS_18TensorIteratorBaseEENKUlvE_clEvENKUlvE0_clEvEUlfE_NS0_6memory8policies11unroll_baseILi256ESt5arrayIPcLm2EE23TrivialOffsetCalculatorILi1EjESF_NS8_15LoadWithoutCastENS8_16StoreWithoutCastELi4ELi1EEEEEvT0_T1_.has_dyn_sized_stack)
	.set _ZN2at6native29vectorized_elementwise_kernelILi16EZZZNS0_12_GLOBAL__N_130modified_bessel_k1_kernel_cudaERNS_18TensorIteratorBaseEENKUlvE_clEvENKUlvE0_clEvEUlfE_St5arrayIPcLm2EEEEviT0_T1_.has_recursion, or(0, .L_ZN2at6native25elementwise_kernel_helperILb0EZZZNS0_12_GLOBAL__N_130modified_bessel_k1_kernel_cudaERNS_18TensorIteratorBaseEENKUlvE_clEvENKUlvE0_clEvEUlfE_NS0_6memory8policies10vectorizedILi4ESt5arrayIPcLm2EELi4EEEEEvT0_T1_.has_recursion, .L_ZN2at6native25elementwise_kernel_helperILb0EZZZNS0_12_GLOBAL__N_130modified_bessel_k1_kernel_cudaERNS_18TensorIteratorBaseEENKUlvE_clEvENKUlvE0_clEvEUlfE_NS0_6memory8policies11unroll_baseILi256ESt5arrayIPcLm2EE23TrivialOffsetCalculatorILi1EjESF_NS8_15LoadWithoutCastENS8_16StoreWithoutCastELi4ELi1EEEEEvT0_T1_.has_recursion)
	.set _ZN2at6native29vectorized_elementwise_kernelILi16EZZZNS0_12_GLOBAL__N_130modified_bessel_k1_kernel_cudaERNS_18TensorIteratorBaseEENKUlvE_clEvENKUlvE0_clEvEUlfE_St5arrayIPcLm2EEEEviT0_T1_.has_indirect_call, or(0, .L_ZN2at6native25elementwise_kernel_helperILb0EZZZNS0_12_GLOBAL__N_130modified_bessel_k1_kernel_cudaERNS_18TensorIteratorBaseEENKUlvE_clEvENKUlvE0_clEvEUlfE_NS0_6memory8policies10vectorizedILi4ESt5arrayIPcLm2EELi4EEEEEvT0_T1_.has_indirect_call, .L_ZN2at6native25elementwise_kernel_helperILb0EZZZNS0_12_GLOBAL__N_130modified_bessel_k1_kernel_cudaERNS_18TensorIteratorBaseEENKUlvE_clEvENKUlvE0_clEvEUlfE_NS0_6memory8policies11unroll_baseILi256ESt5arrayIPcLm2EE23TrivialOffsetCalculatorILi1EjESF_NS8_15LoadWithoutCastENS8_16StoreWithoutCastELi4ELi1EEEEEvT0_T1_.has_indirect_call)
	.section	.AMDGPU.csdata,"",@progbits
; Kernel info:
; codeLenInByte = 168
; TotalNumSgprs: 35
; NumVgprs: 32
; ScratchSize: 0
; MemoryBound: 0
; FloatMode: 240
; IeeeMode: 1
; LDSByteSize: 0 bytes/workgroup (compile time only)
; SGPRBlocks: 0
; VGPRBlocks: 3
; NumSGPRsForWavesPerEU: 35
; NumVGPRsForWavesPerEU: 32
; Occupancy: 16
; WaveLimiterHint : 0
; COMPUTE_PGM_RSRC2:SCRATCH_EN: 0
; COMPUTE_PGM_RSRC2:USER_SGPR: 6
; COMPUTE_PGM_RSRC2:TRAP_HANDLER: 0
; COMPUTE_PGM_RSRC2:TGID_X_EN: 1
; COMPUTE_PGM_RSRC2:TGID_Y_EN: 0
; COMPUTE_PGM_RSRC2:TGID_Z_EN: 0
; COMPUTE_PGM_RSRC2:TIDIG_COMP_CNT: 0
	.section	.text._ZN2at6native29vectorized_elementwise_kernelILi8EZZZNS0_12_GLOBAL__N_130modified_bessel_k1_kernel_cudaERNS_18TensorIteratorBaseEENKUlvE_clEvENKUlvE0_clEvEUlfE_St5arrayIPcLm2EEEEviT0_T1_,"axG",@progbits,_ZN2at6native29vectorized_elementwise_kernelILi8EZZZNS0_12_GLOBAL__N_130modified_bessel_k1_kernel_cudaERNS_18TensorIteratorBaseEENKUlvE_clEvENKUlvE0_clEvEUlfE_St5arrayIPcLm2EEEEviT0_T1_,comdat
	.globl	_ZN2at6native29vectorized_elementwise_kernelILi8EZZZNS0_12_GLOBAL__N_130modified_bessel_k1_kernel_cudaERNS_18TensorIteratorBaseEENKUlvE_clEvENKUlvE0_clEvEUlfE_St5arrayIPcLm2EEEEviT0_T1_ ; -- Begin function _ZN2at6native29vectorized_elementwise_kernelILi8EZZZNS0_12_GLOBAL__N_130modified_bessel_k1_kernel_cudaERNS_18TensorIteratorBaseEENKUlvE_clEvENKUlvE0_clEvEUlfE_St5arrayIPcLm2EEEEviT0_T1_
	.p2align	8
	.type	_ZN2at6native29vectorized_elementwise_kernelILi8EZZZNS0_12_GLOBAL__N_130modified_bessel_k1_kernel_cudaERNS_18TensorIteratorBaseEENKUlvE_clEvENKUlvE0_clEvEUlfE_St5arrayIPcLm2EEEEviT0_T1_,@function
_ZN2at6native29vectorized_elementwise_kernelILi8EZZZNS0_12_GLOBAL__N_130modified_bessel_k1_kernel_cudaERNS_18TensorIteratorBaseEENKUlvE_clEvENKUlvE0_clEvEUlfE_St5arrayIPcLm2EEEEviT0_T1_: ; @_ZN2at6native29vectorized_elementwise_kernelILi8EZZZNS0_12_GLOBAL__N_130modified_bessel_k1_kernel_cudaERNS_18TensorIteratorBaseEENKUlvE_clEvENKUlvE0_clEvEUlfE_St5arrayIPcLm2EEEEviT0_T1_
; %bb.0:
	s_mov_b32 s12, s6
	s_clause 0x1
	s_load_dword s6, s[4:5], 0x0
	s_load_dwordx4 s[16:19], s[4:5], 0x8
	s_add_u32 s0, s0, s7
	s_addc_u32 s1, s1, 0
	s_lshl_b32 s4, s12, 10
	v_mov_b32_e32 v31, v0
	s_mov_b32 s32, 0
	s_waitcnt lgkmcnt(0)
	s_sub_i32 s10, s6, s4
	s_mov_b32 s4, -1
	s_cmpk_gt_i32 s10, 0x3ff
	s_cbranch_scc1 .LBB13_3
; %bb.1:
	s_andn2_b32 vcc_lo, exec_lo, s4
	s_cbranch_vccz .LBB13_4
.LBB13_2:
	s_endpgm
.LBB13_3:
	v_mov_b32_e32 v0, s16
	v_mov_b32_e32 v1, s17
	;; [unrolled: 1-line block ×4, first 2 shown]
	s_getpc_b64 s[4:5]
	s_add_u32 s4, s4, _ZN2at6native25elementwise_kernel_helperILb0EZZZNS0_12_GLOBAL__N_130modified_bessel_k1_kernel_cudaERNS_18TensorIteratorBaseEENKUlvE_clEvENKUlvE0_clEvEUlfE_NS0_6memory8policies10vectorizedILi4ESt5arrayIPcLm2EELi4EEEEEvT0_T1_@rel32@lo+4
	s_addc_u32 s5, s5, _ZN2at6native25elementwise_kernel_helperILb0EZZZNS0_12_GLOBAL__N_130modified_bessel_k1_kernel_cudaERNS_18TensorIteratorBaseEENKUlvE_clEvENKUlvE0_clEvEUlfE_NS0_6memory8policies10vectorizedILi4ESt5arrayIPcLm2EELi4EEEEEvT0_T1_@rel32@hi+12
	s_swappc_b64 s[30:31], s[4:5]
	s_cbranch_execnz .LBB13_2
.LBB13_4:
	v_mov_b32_e32 v0, s16
	v_mov_b32_e32 v1, s17
	;; [unrolled: 1-line block ×5, first 2 shown]
	s_getpc_b64 s[4:5]
	s_add_u32 s4, s4, _ZN2at6native25elementwise_kernel_helperILb0EZZZNS0_12_GLOBAL__N_130modified_bessel_k1_kernel_cudaERNS_18TensorIteratorBaseEENKUlvE_clEvENKUlvE0_clEvEUlfE_NS0_6memory8policies11unroll_baseILi256ESt5arrayIPcLm2EE23TrivialOffsetCalculatorILi1EjESF_NS8_15LoadWithoutCastENS8_16StoreWithoutCastELi4ELi1EEEEEvT0_T1_@rel32@lo+4
	s_addc_u32 s5, s5, _ZN2at6native25elementwise_kernel_helperILb0EZZZNS0_12_GLOBAL__N_130modified_bessel_k1_kernel_cudaERNS_18TensorIteratorBaseEENKUlvE_clEvENKUlvE0_clEvEUlfE_NS0_6memory8policies11unroll_baseILi256ESt5arrayIPcLm2EE23TrivialOffsetCalculatorILi1EjESF_NS8_15LoadWithoutCastENS8_16StoreWithoutCastELi4ELi1EEEEEvT0_T1_@rel32@hi+12
	s_swappc_b64 s[30:31], s[4:5]
	s_endpgm
	.section	.rodata,"a",@progbits
	.p2align	6, 0x0
	.amdhsa_kernel _ZN2at6native29vectorized_elementwise_kernelILi8EZZZNS0_12_GLOBAL__N_130modified_bessel_k1_kernel_cudaERNS_18TensorIteratorBaseEENKUlvE_clEvENKUlvE0_clEvEUlfE_St5arrayIPcLm2EEEEviT0_T1_
		.amdhsa_group_segment_fixed_size 0
		.amdhsa_private_segment_fixed_size 0
		.amdhsa_kernarg_size 24
		.amdhsa_user_sgpr_count 6
		.amdhsa_user_sgpr_private_segment_buffer 1
		.amdhsa_user_sgpr_dispatch_ptr 0
		.amdhsa_user_sgpr_queue_ptr 0
		.amdhsa_user_sgpr_kernarg_segment_ptr 1
		.amdhsa_user_sgpr_dispatch_id 0
		.amdhsa_user_sgpr_flat_scratch_init 0
		.amdhsa_user_sgpr_private_segment_size 0
		.amdhsa_wavefront_size32 1
		.amdhsa_uses_dynamic_stack 0
		.amdhsa_system_sgpr_private_segment_wavefront_offset 0
		.amdhsa_system_sgpr_workgroup_id_x 1
		.amdhsa_system_sgpr_workgroup_id_y 0
		.amdhsa_system_sgpr_workgroup_id_z 0
		.amdhsa_system_sgpr_workgroup_info 0
		.amdhsa_system_vgpr_workitem_id 0
		.amdhsa_next_free_vgpr 32
		.amdhsa_next_free_sgpr 33
		.amdhsa_reserve_vcc 1
		.amdhsa_reserve_flat_scratch 0
		.amdhsa_float_round_mode_32 0
		.amdhsa_float_round_mode_16_64 0
		.amdhsa_float_denorm_mode_32 3
		.amdhsa_float_denorm_mode_16_64 3
		.amdhsa_dx10_clamp 1
		.amdhsa_ieee_mode 1
		.amdhsa_fp16_overflow 0
		.amdhsa_workgroup_processor_mode 1
		.amdhsa_memory_ordered 1
		.amdhsa_forward_progress 1
		.amdhsa_shared_vgpr_count 0
		.amdhsa_exception_fp_ieee_invalid_op 0
		.amdhsa_exception_fp_denorm_src 0
		.amdhsa_exception_fp_ieee_div_zero 0
		.amdhsa_exception_fp_ieee_overflow 0
		.amdhsa_exception_fp_ieee_underflow 0
		.amdhsa_exception_fp_ieee_inexact 0
		.amdhsa_exception_int_div_zero 0
	.end_amdhsa_kernel
	.section	.text._ZN2at6native29vectorized_elementwise_kernelILi8EZZZNS0_12_GLOBAL__N_130modified_bessel_k1_kernel_cudaERNS_18TensorIteratorBaseEENKUlvE_clEvENKUlvE0_clEvEUlfE_St5arrayIPcLm2EEEEviT0_T1_,"axG",@progbits,_ZN2at6native29vectorized_elementwise_kernelILi8EZZZNS0_12_GLOBAL__N_130modified_bessel_k1_kernel_cudaERNS_18TensorIteratorBaseEENKUlvE_clEvENKUlvE0_clEvEUlfE_St5arrayIPcLm2EEEEviT0_T1_,comdat
.Lfunc_end13:
	.size	_ZN2at6native29vectorized_elementwise_kernelILi8EZZZNS0_12_GLOBAL__N_130modified_bessel_k1_kernel_cudaERNS_18TensorIteratorBaseEENKUlvE_clEvENKUlvE0_clEvEUlfE_St5arrayIPcLm2EEEEviT0_T1_, .Lfunc_end13-_ZN2at6native29vectorized_elementwise_kernelILi8EZZZNS0_12_GLOBAL__N_130modified_bessel_k1_kernel_cudaERNS_18TensorIteratorBaseEENKUlvE_clEvENKUlvE0_clEvEUlfE_St5arrayIPcLm2EEEEviT0_T1_
                                        ; -- End function
	.set _ZN2at6native29vectorized_elementwise_kernelILi8EZZZNS0_12_GLOBAL__N_130modified_bessel_k1_kernel_cudaERNS_18TensorIteratorBaseEENKUlvE_clEvENKUlvE0_clEvEUlfE_St5arrayIPcLm2EEEEviT0_T1_.num_vgpr, max(32, .L_ZN2at6native25elementwise_kernel_helperILb0EZZZNS0_12_GLOBAL__N_130modified_bessel_k1_kernel_cudaERNS_18TensorIteratorBaseEENKUlvE_clEvENKUlvE0_clEvEUlfE_NS0_6memory8policies10vectorizedILi4ESt5arrayIPcLm2EELi4EEEEEvT0_T1_.num_vgpr, .L_ZN2at6native25elementwise_kernel_helperILb0EZZZNS0_12_GLOBAL__N_130modified_bessel_k1_kernel_cudaERNS_18TensorIteratorBaseEENKUlvE_clEvENKUlvE0_clEvEUlfE_NS0_6memory8policies11unroll_baseILi256ESt5arrayIPcLm2EE23TrivialOffsetCalculatorILi1EjESF_NS8_15LoadWithoutCastENS8_16StoreWithoutCastELi4ELi1EEEEEvT0_T1_.num_vgpr)
	.set _ZN2at6native29vectorized_elementwise_kernelILi8EZZZNS0_12_GLOBAL__N_130modified_bessel_k1_kernel_cudaERNS_18TensorIteratorBaseEENKUlvE_clEvENKUlvE0_clEvEUlfE_St5arrayIPcLm2EEEEviT0_T1_.num_agpr, max(0, .L_ZN2at6native25elementwise_kernel_helperILb0EZZZNS0_12_GLOBAL__N_130modified_bessel_k1_kernel_cudaERNS_18TensorIteratorBaseEENKUlvE_clEvENKUlvE0_clEvEUlfE_NS0_6memory8policies10vectorizedILi4ESt5arrayIPcLm2EELi4EEEEEvT0_T1_.num_agpr, .L_ZN2at6native25elementwise_kernel_helperILb0EZZZNS0_12_GLOBAL__N_130modified_bessel_k1_kernel_cudaERNS_18TensorIteratorBaseEENKUlvE_clEvENKUlvE0_clEvEUlfE_NS0_6memory8policies11unroll_baseILi256ESt5arrayIPcLm2EE23TrivialOffsetCalculatorILi1EjESF_NS8_15LoadWithoutCastENS8_16StoreWithoutCastELi4ELi1EEEEEvT0_T1_.num_agpr)
	.set _ZN2at6native29vectorized_elementwise_kernelILi8EZZZNS0_12_GLOBAL__N_130modified_bessel_k1_kernel_cudaERNS_18TensorIteratorBaseEENKUlvE_clEvENKUlvE0_clEvEUlfE_St5arrayIPcLm2EEEEviT0_T1_.numbered_sgpr, max(33, .L_ZN2at6native25elementwise_kernel_helperILb0EZZZNS0_12_GLOBAL__N_130modified_bessel_k1_kernel_cudaERNS_18TensorIteratorBaseEENKUlvE_clEvENKUlvE0_clEvEUlfE_NS0_6memory8policies10vectorizedILi4ESt5arrayIPcLm2EELi4EEEEEvT0_T1_.numbered_sgpr, .L_ZN2at6native25elementwise_kernel_helperILb0EZZZNS0_12_GLOBAL__N_130modified_bessel_k1_kernel_cudaERNS_18TensorIteratorBaseEENKUlvE_clEvENKUlvE0_clEvEUlfE_NS0_6memory8policies11unroll_baseILi256ESt5arrayIPcLm2EE23TrivialOffsetCalculatorILi1EjESF_NS8_15LoadWithoutCastENS8_16StoreWithoutCastELi4ELi1EEEEEvT0_T1_.numbered_sgpr)
	.set _ZN2at6native29vectorized_elementwise_kernelILi8EZZZNS0_12_GLOBAL__N_130modified_bessel_k1_kernel_cudaERNS_18TensorIteratorBaseEENKUlvE_clEvENKUlvE0_clEvEUlfE_St5arrayIPcLm2EEEEviT0_T1_.num_named_barrier, max(0, .L_ZN2at6native25elementwise_kernel_helperILb0EZZZNS0_12_GLOBAL__N_130modified_bessel_k1_kernel_cudaERNS_18TensorIteratorBaseEENKUlvE_clEvENKUlvE0_clEvEUlfE_NS0_6memory8policies10vectorizedILi4ESt5arrayIPcLm2EELi4EEEEEvT0_T1_.num_named_barrier, .L_ZN2at6native25elementwise_kernel_helperILb0EZZZNS0_12_GLOBAL__N_130modified_bessel_k1_kernel_cudaERNS_18TensorIteratorBaseEENKUlvE_clEvENKUlvE0_clEvEUlfE_NS0_6memory8policies11unroll_baseILi256ESt5arrayIPcLm2EE23TrivialOffsetCalculatorILi1EjESF_NS8_15LoadWithoutCastENS8_16StoreWithoutCastELi4ELi1EEEEEvT0_T1_.num_named_barrier)
	.set _ZN2at6native29vectorized_elementwise_kernelILi8EZZZNS0_12_GLOBAL__N_130modified_bessel_k1_kernel_cudaERNS_18TensorIteratorBaseEENKUlvE_clEvENKUlvE0_clEvEUlfE_St5arrayIPcLm2EEEEviT0_T1_.private_seg_size, 0+max(.L_ZN2at6native25elementwise_kernel_helperILb0EZZZNS0_12_GLOBAL__N_130modified_bessel_k1_kernel_cudaERNS_18TensorIteratorBaseEENKUlvE_clEvENKUlvE0_clEvEUlfE_NS0_6memory8policies10vectorizedILi4ESt5arrayIPcLm2EELi4EEEEEvT0_T1_.private_seg_size, .L_ZN2at6native25elementwise_kernel_helperILb0EZZZNS0_12_GLOBAL__N_130modified_bessel_k1_kernel_cudaERNS_18TensorIteratorBaseEENKUlvE_clEvENKUlvE0_clEvEUlfE_NS0_6memory8policies11unroll_baseILi256ESt5arrayIPcLm2EE23TrivialOffsetCalculatorILi1EjESF_NS8_15LoadWithoutCastENS8_16StoreWithoutCastELi4ELi1EEEEEvT0_T1_.private_seg_size)
	.set _ZN2at6native29vectorized_elementwise_kernelILi8EZZZNS0_12_GLOBAL__N_130modified_bessel_k1_kernel_cudaERNS_18TensorIteratorBaseEENKUlvE_clEvENKUlvE0_clEvEUlfE_St5arrayIPcLm2EEEEviT0_T1_.uses_vcc, or(1, .L_ZN2at6native25elementwise_kernel_helperILb0EZZZNS0_12_GLOBAL__N_130modified_bessel_k1_kernel_cudaERNS_18TensorIteratorBaseEENKUlvE_clEvENKUlvE0_clEvEUlfE_NS0_6memory8policies10vectorizedILi4ESt5arrayIPcLm2EELi4EEEEEvT0_T1_.uses_vcc, .L_ZN2at6native25elementwise_kernel_helperILb0EZZZNS0_12_GLOBAL__N_130modified_bessel_k1_kernel_cudaERNS_18TensorIteratorBaseEENKUlvE_clEvENKUlvE0_clEvEUlfE_NS0_6memory8policies11unroll_baseILi256ESt5arrayIPcLm2EE23TrivialOffsetCalculatorILi1EjESF_NS8_15LoadWithoutCastENS8_16StoreWithoutCastELi4ELi1EEEEEvT0_T1_.uses_vcc)
	.set _ZN2at6native29vectorized_elementwise_kernelILi8EZZZNS0_12_GLOBAL__N_130modified_bessel_k1_kernel_cudaERNS_18TensorIteratorBaseEENKUlvE_clEvENKUlvE0_clEvEUlfE_St5arrayIPcLm2EEEEviT0_T1_.uses_flat_scratch, or(0, .L_ZN2at6native25elementwise_kernel_helperILb0EZZZNS0_12_GLOBAL__N_130modified_bessel_k1_kernel_cudaERNS_18TensorIteratorBaseEENKUlvE_clEvENKUlvE0_clEvEUlfE_NS0_6memory8policies10vectorizedILi4ESt5arrayIPcLm2EELi4EEEEEvT0_T1_.uses_flat_scratch, .L_ZN2at6native25elementwise_kernel_helperILb0EZZZNS0_12_GLOBAL__N_130modified_bessel_k1_kernel_cudaERNS_18TensorIteratorBaseEENKUlvE_clEvENKUlvE0_clEvEUlfE_NS0_6memory8policies11unroll_baseILi256ESt5arrayIPcLm2EE23TrivialOffsetCalculatorILi1EjESF_NS8_15LoadWithoutCastENS8_16StoreWithoutCastELi4ELi1EEEEEvT0_T1_.uses_flat_scratch)
	.set _ZN2at6native29vectorized_elementwise_kernelILi8EZZZNS0_12_GLOBAL__N_130modified_bessel_k1_kernel_cudaERNS_18TensorIteratorBaseEENKUlvE_clEvENKUlvE0_clEvEUlfE_St5arrayIPcLm2EEEEviT0_T1_.has_dyn_sized_stack, or(0, .L_ZN2at6native25elementwise_kernel_helperILb0EZZZNS0_12_GLOBAL__N_130modified_bessel_k1_kernel_cudaERNS_18TensorIteratorBaseEENKUlvE_clEvENKUlvE0_clEvEUlfE_NS0_6memory8policies10vectorizedILi4ESt5arrayIPcLm2EELi4EEEEEvT0_T1_.has_dyn_sized_stack, .L_ZN2at6native25elementwise_kernel_helperILb0EZZZNS0_12_GLOBAL__N_130modified_bessel_k1_kernel_cudaERNS_18TensorIteratorBaseEENKUlvE_clEvENKUlvE0_clEvEUlfE_NS0_6memory8policies11unroll_baseILi256ESt5arrayIPcLm2EE23TrivialOffsetCalculatorILi1EjESF_NS8_15LoadWithoutCastENS8_16StoreWithoutCastELi4ELi1EEEEEvT0_T1_.has_dyn_sized_stack)
	.set _ZN2at6native29vectorized_elementwise_kernelILi8EZZZNS0_12_GLOBAL__N_130modified_bessel_k1_kernel_cudaERNS_18TensorIteratorBaseEENKUlvE_clEvENKUlvE0_clEvEUlfE_St5arrayIPcLm2EEEEviT0_T1_.has_recursion, or(0, .L_ZN2at6native25elementwise_kernel_helperILb0EZZZNS0_12_GLOBAL__N_130modified_bessel_k1_kernel_cudaERNS_18TensorIteratorBaseEENKUlvE_clEvENKUlvE0_clEvEUlfE_NS0_6memory8policies10vectorizedILi4ESt5arrayIPcLm2EELi4EEEEEvT0_T1_.has_recursion, .L_ZN2at6native25elementwise_kernel_helperILb0EZZZNS0_12_GLOBAL__N_130modified_bessel_k1_kernel_cudaERNS_18TensorIteratorBaseEENKUlvE_clEvENKUlvE0_clEvEUlfE_NS0_6memory8policies11unroll_baseILi256ESt5arrayIPcLm2EE23TrivialOffsetCalculatorILi1EjESF_NS8_15LoadWithoutCastENS8_16StoreWithoutCastELi4ELi1EEEEEvT0_T1_.has_recursion)
	.set _ZN2at6native29vectorized_elementwise_kernelILi8EZZZNS0_12_GLOBAL__N_130modified_bessel_k1_kernel_cudaERNS_18TensorIteratorBaseEENKUlvE_clEvENKUlvE0_clEvEUlfE_St5arrayIPcLm2EEEEviT0_T1_.has_indirect_call, or(0, .L_ZN2at6native25elementwise_kernel_helperILb0EZZZNS0_12_GLOBAL__N_130modified_bessel_k1_kernel_cudaERNS_18TensorIteratorBaseEENKUlvE_clEvENKUlvE0_clEvEUlfE_NS0_6memory8policies10vectorizedILi4ESt5arrayIPcLm2EELi4EEEEEvT0_T1_.has_indirect_call, .L_ZN2at6native25elementwise_kernel_helperILb0EZZZNS0_12_GLOBAL__N_130modified_bessel_k1_kernel_cudaERNS_18TensorIteratorBaseEENKUlvE_clEvENKUlvE0_clEvEUlfE_NS0_6memory8policies11unroll_baseILi256ESt5arrayIPcLm2EE23TrivialOffsetCalculatorILi1EjESF_NS8_15LoadWithoutCastENS8_16StoreWithoutCastELi4ELi1EEEEEvT0_T1_.has_indirect_call)
	.section	.AMDGPU.csdata,"",@progbits
; Kernel info:
; codeLenInByte = 168
; TotalNumSgprs: 35
; NumVgprs: 32
; ScratchSize: 0
; MemoryBound: 0
; FloatMode: 240
; IeeeMode: 1
; LDSByteSize: 0 bytes/workgroup (compile time only)
; SGPRBlocks: 0
; VGPRBlocks: 3
; NumSGPRsForWavesPerEU: 35
; NumVGPRsForWavesPerEU: 32
; Occupancy: 16
; WaveLimiterHint : 0
; COMPUTE_PGM_RSRC2:SCRATCH_EN: 0
; COMPUTE_PGM_RSRC2:USER_SGPR: 6
; COMPUTE_PGM_RSRC2:TRAP_HANDLER: 0
; COMPUTE_PGM_RSRC2:TGID_X_EN: 1
; COMPUTE_PGM_RSRC2:TGID_Y_EN: 0
; COMPUTE_PGM_RSRC2:TGID_Z_EN: 0
; COMPUTE_PGM_RSRC2:TIDIG_COMP_CNT: 0
	.section	.text._ZN2at6native29vectorized_elementwise_kernelILi4EZZZNS0_12_GLOBAL__N_130modified_bessel_k1_kernel_cudaERNS_18TensorIteratorBaseEENKUlvE_clEvENKUlvE0_clEvEUlfE_St5arrayIPcLm2EEEEviT0_T1_,"axG",@progbits,_ZN2at6native29vectorized_elementwise_kernelILi4EZZZNS0_12_GLOBAL__N_130modified_bessel_k1_kernel_cudaERNS_18TensorIteratorBaseEENKUlvE_clEvENKUlvE0_clEvEUlfE_St5arrayIPcLm2EEEEviT0_T1_,comdat
	.globl	_ZN2at6native29vectorized_elementwise_kernelILi4EZZZNS0_12_GLOBAL__N_130modified_bessel_k1_kernel_cudaERNS_18TensorIteratorBaseEENKUlvE_clEvENKUlvE0_clEvEUlfE_St5arrayIPcLm2EEEEviT0_T1_ ; -- Begin function _ZN2at6native29vectorized_elementwise_kernelILi4EZZZNS0_12_GLOBAL__N_130modified_bessel_k1_kernel_cudaERNS_18TensorIteratorBaseEENKUlvE_clEvENKUlvE0_clEvEUlfE_St5arrayIPcLm2EEEEviT0_T1_
	.p2align	8
	.type	_ZN2at6native29vectorized_elementwise_kernelILi4EZZZNS0_12_GLOBAL__N_130modified_bessel_k1_kernel_cudaERNS_18TensorIteratorBaseEENKUlvE_clEvENKUlvE0_clEvEUlfE_St5arrayIPcLm2EEEEviT0_T1_,@function
_ZN2at6native29vectorized_elementwise_kernelILi4EZZZNS0_12_GLOBAL__N_130modified_bessel_k1_kernel_cudaERNS_18TensorIteratorBaseEENKUlvE_clEvENKUlvE0_clEvEUlfE_St5arrayIPcLm2EEEEviT0_T1_: ; @_ZN2at6native29vectorized_elementwise_kernelILi4EZZZNS0_12_GLOBAL__N_130modified_bessel_k1_kernel_cudaERNS_18TensorIteratorBaseEENKUlvE_clEvENKUlvE0_clEvEUlfE_St5arrayIPcLm2EEEEviT0_T1_
; %bb.0:
	s_mov_b32 s12, s6
	s_clause 0x1
	s_load_dword s6, s[4:5], 0x0
	s_load_dwordx4 s[16:19], s[4:5], 0x8
	s_add_u32 s0, s0, s7
	s_addc_u32 s1, s1, 0
	s_lshl_b32 s4, s12, 10
	v_mov_b32_e32 v31, v0
	s_mov_b32 s32, 0
	s_waitcnt lgkmcnt(0)
	s_sub_i32 s10, s6, s4
	s_mov_b32 s4, -1
	s_cmpk_gt_i32 s10, 0x3ff
	s_cbranch_scc1 .LBB14_3
; %bb.1:
	s_andn2_b32 vcc_lo, exec_lo, s4
	s_cbranch_vccz .LBB14_4
.LBB14_2:
	s_endpgm
.LBB14_3:
	v_mov_b32_e32 v0, s16
	v_mov_b32_e32 v1, s17
	;; [unrolled: 1-line block ×4, first 2 shown]
	s_getpc_b64 s[4:5]
	s_add_u32 s4, s4, _ZN2at6native25elementwise_kernel_helperILb0EZZZNS0_12_GLOBAL__N_130modified_bessel_k1_kernel_cudaERNS_18TensorIteratorBaseEENKUlvE_clEvENKUlvE0_clEvEUlfE_NS0_6memory8policies10vectorizedILi4ESt5arrayIPcLm2EELi4EEEEEvT0_T1_@rel32@lo+4
	s_addc_u32 s5, s5, _ZN2at6native25elementwise_kernel_helperILb0EZZZNS0_12_GLOBAL__N_130modified_bessel_k1_kernel_cudaERNS_18TensorIteratorBaseEENKUlvE_clEvENKUlvE0_clEvEUlfE_NS0_6memory8policies10vectorizedILi4ESt5arrayIPcLm2EELi4EEEEEvT0_T1_@rel32@hi+12
	s_swappc_b64 s[30:31], s[4:5]
	s_cbranch_execnz .LBB14_2
.LBB14_4:
	v_mov_b32_e32 v0, s16
	v_mov_b32_e32 v1, s17
	;; [unrolled: 1-line block ×5, first 2 shown]
	s_getpc_b64 s[4:5]
	s_add_u32 s4, s4, _ZN2at6native25elementwise_kernel_helperILb0EZZZNS0_12_GLOBAL__N_130modified_bessel_k1_kernel_cudaERNS_18TensorIteratorBaseEENKUlvE_clEvENKUlvE0_clEvEUlfE_NS0_6memory8policies11unroll_baseILi256ESt5arrayIPcLm2EE23TrivialOffsetCalculatorILi1EjESF_NS8_15LoadWithoutCastENS8_16StoreWithoutCastELi4ELi1EEEEEvT0_T1_@rel32@lo+4
	s_addc_u32 s5, s5, _ZN2at6native25elementwise_kernel_helperILb0EZZZNS0_12_GLOBAL__N_130modified_bessel_k1_kernel_cudaERNS_18TensorIteratorBaseEENKUlvE_clEvENKUlvE0_clEvEUlfE_NS0_6memory8policies11unroll_baseILi256ESt5arrayIPcLm2EE23TrivialOffsetCalculatorILi1EjESF_NS8_15LoadWithoutCastENS8_16StoreWithoutCastELi4ELi1EEEEEvT0_T1_@rel32@hi+12
	s_swappc_b64 s[30:31], s[4:5]
	s_endpgm
	.section	.rodata,"a",@progbits
	.p2align	6, 0x0
	.amdhsa_kernel _ZN2at6native29vectorized_elementwise_kernelILi4EZZZNS0_12_GLOBAL__N_130modified_bessel_k1_kernel_cudaERNS_18TensorIteratorBaseEENKUlvE_clEvENKUlvE0_clEvEUlfE_St5arrayIPcLm2EEEEviT0_T1_
		.amdhsa_group_segment_fixed_size 0
		.amdhsa_private_segment_fixed_size 0
		.amdhsa_kernarg_size 24
		.amdhsa_user_sgpr_count 6
		.amdhsa_user_sgpr_private_segment_buffer 1
		.amdhsa_user_sgpr_dispatch_ptr 0
		.amdhsa_user_sgpr_queue_ptr 0
		.amdhsa_user_sgpr_kernarg_segment_ptr 1
		.amdhsa_user_sgpr_dispatch_id 0
		.amdhsa_user_sgpr_flat_scratch_init 0
		.amdhsa_user_sgpr_private_segment_size 0
		.amdhsa_wavefront_size32 1
		.amdhsa_uses_dynamic_stack 0
		.amdhsa_system_sgpr_private_segment_wavefront_offset 0
		.amdhsa_system_sgpr_workgroup_id_x 1
		.amdhsa_system_sgpr_workgroup_id_y 0
		.amdhsa_system_sgpr_workgroup_id_z 0
		.amdhsa_system_sgpr_workgroup_info 0
		.amdhsa_system_vgpr_workitem_id 0
		.amdhsa_next_free_vgpr 32
		.amdhsa_next_free_sgpr 33
		.amdhsa_reserve_vcc 1
		.amdhsa_reserve_flat_scratch 0
		.amdhsa_float_round_mode_32 0
		.amdhsa_float_round_mode_16_64 0
		.amdhsa_float_denorm_mode_32 3
		.amdhsa_float_denorm_mode_16_64 3
		.amdhsa_dx10_clamp 1
		.amdhsa_ieee_mode 1
		.amdhsa_fp16_overflow 0
		.amdhsa_workgroup_processor_mode 1
		.amdhsa_memory_ordered 1
		.amdhsa_forward_progress 1
		.amdhsa_shared_vgpr_count 0
		.amdhsa_exception_fp_ieee_invalid_op 0
		.amdhsa_exception_fp_denorm_src 0
		.amdhsa_exception_fp_ieee_div_zero 0
		.amdhsa_exception_fp_ieee_overflow 0
		.amdhsa_exception_fp_ieee_underflow 0
		.amdhsa_exception_fp_ieee_inexact 0
		.amdhsa_exception_int_div_zero 0
	.end_amdhsa_kernel
	.section	.text._ZN2at6native29vectorized_elementwise_kernelILi4EZZZNS0_12_GLOBAL__N_130modified_bessel_k1_kernel_cudaERNS_18TensorIteratorBaseEENKUlvE_clEvENKUlvE0_clEvEUlfE_St5arrayIPcLm2EEEEviT0_T1_,"axG",@progbits,_ZN2at6native29vectorized_elementwise_kernelILi4EZZZNS0_12_GLOBAL__N_130modified_bessel_k1_kernel_cudaERNS_18TensorIteratorBaseEENKUlvE_clEvENKUlvE0_clEvEUlfE_St5arrayIPcLm2EEEEviT0_T1_,comdat
.Lfunc_end14:
	.size	_ZN2at6native29vectorized_elementwise_kernelILi4EZZZNS0_12_GLOBAL__N_130modified_bessel_k1_kernel_cudaERNS_18TensorIteratorBaseEENKUlvE_clEvENKUlvE0_clEvEUlfE_St5arrayIPcLm2EEEEviT0_T1_, .Lfunc_end14-_ZN2at6native29vectorized_elementwise_kernelILi4EZZZNS0_12_GLOBAL__N_130modified_bessel_k1_kernel_cudaERNS_18TensorIteratorBaseEENKUlvE_clEvENKUlvE0_clEvEUlfE_St5arrayIPcLm2EEEEviT0_T1_
                                        ; -- End function
	.set _ZN2at6native29vectorized_elementwise_kernelILi4EZZZNS0_12_GLOBAL__N_130modified_bessel_k1_kernel_cudaERNS_18TensorIteratorBaseEENKUlvE_clEvENKUlvE0_clEvEUlfE_St5arrayIPcLm2EEEEviT0_T1_.num_vgpr, max(32, .L_ZN2at6native25elementwise_kernel_helperILb0EZZZNS0_12_GLOBAL__N_130modified_bessel_k1_kernel_cudaERNS_18TensorIteratorBaseEENKUlvE_clEvENKUlvE0_clEvEUlfE_NS0_6memory8policies10vectorizedILi4ESt5arrayIPcLm2EELi4EEEEEvT0_T1_.num_vgpr, .L_ZN2at6native25elementwise_kernel_helperILb0EZZZNS0_12_GLOBAL__N_130modified_bessel_k1_kernel_cudaERNS_18TensorIteratorBaseEENKUlvE_clEvENKUlvE0_clEvEUlfE_NS0_6memory8policies11unroll_baseILi256ESt5arrayIPcLm2EE23TrivialOffsetCalculatorILi1EjESF_NS8_15LoadWithoutCastENS8_16StoreWithoutCastELi4ELi1EEEEEvT0_T1_.num_vgpr)
	.set _ZN2at6native29vectorized_elementwise_kernelILi4EZZZNS0_12_GLOBAL__N_130modified_bessel_k1_kernel_cudaERNS_18TensorIteratorBaseEENKUlvE_clEvENKUlvE0_clEvEUlfE_St5arrayIPcLm2EEEEviT0_T1_.num_agpr, max(0, .L_ZN2at6native25elementwise_kernel_helperILb0EZZZNS0_12_GLOBAL__N_130modified_bessel_k1_kernel_cudaERNS_18TensorIteratorBaseEENKUlvE_clEvENKUlvE0_clEvEUlfE_NS0_6memory8policies10vectorizedILi4ESt5arrayIPcLm2EELi4EEEEEvT0_T1_.num_agpr, .L_ZN2at6native25elementwise_kernel_helperILb0EZZZNS0_12_GLOBAL__N_130modified_bessel_k1_kernel_cudaERNS_18TensorIteratorBaseEENKUlvE_clEvENKUlvE0_clEvEUlfE_NS0_6memory8policies11unroll_baseILi256ESt5arrayIPcLm2EE23TrivialOffsetCalculatorILi1EjESF_NS8_15LoadWithoutCastENS8_16StoreWithoutCastELi4ELi1EEEEEvT0_T1_.num_agpr)
	.set _ZN2at6native29vectorized_elementwise_kernelILi4EZZZNS0_12_GLOBAL__N_130modified_bessel_k1_kernel_cudaERNS_18TensorIteratorBaseEENKUlvE_clEvENKUlvE0_clEvEUlfE_St5arrayIPcLm2EEEEviT0_T1_.numbered_sgpr, max(33, .L_ZN2at6native25elementwise_kernel_helperILb0EZZZNS0_12_GLOBAL__N_130modified_bessel_k1_kernel_cudaERNS_18TensorIteratorBaseEENKUlvE_clEvENKUlvE0_clEvEUlfE_NS0_6memory8policies10vectorizedILi4ESt5arrayIPcLm2EELi4EEEEEvT0_T1_.numbered_sgpr, .L_ZN2at6native25elementwise_kernel_helperILb0EZZZNS0_12_GLOBAL__N_130modified_bessel_k1_kernel_cudaERNS_18TensorIteratorBaseEENKUlvE_clEvENKUlvE0_clEvEUlfE_NS0_6memory8policies11unroll_baseILi256ESt5arrayIPcLm2EE23TrivialOffsetCalculatorILi1EjESF_NS8_15LoadWithoutCastENS8_16StoreWithoutCastELi4ELi1EEEEEvT0_T1_.numbered_sgpr)
	.set _ZN2at6native29vectorized_elementwise_kernelILi4EZZZNS0_12_GLOBAL__N_130modified_bessel_k1_kernel_cudaERNS_18TensorIteratorBaseEENKUlvE_clEvENKUlvE0_clEvEUlfE_St5arrayIPcLm2EEEEviT0_T1_.num_named_barrier, max(0, .L_ZN2at6native25elementwise_kernel_helperILb0EZZZNS0_12_GLOBAL__N_130modified_bessel_k1_kernel_cudaERNS_18TensorIteratorBaseEENKUlvE_clEvENKUlvE0_clEvEUlfE_NS0_6memory8policies10vectorizedILi4ESt5arrayIPcLm2EELi4EEEEEvT0_T1_.num_named_barrier, .L_ZN2at6native25elementwise_kernel_helperILb0EZZZNS0_12_GLOBAL__N_130modified_bessel_k1_kernel_cudaERNS_18TensorIteratorBaseEENKUlvE_clEvENKUlvE0_clEvEUlfE_NS0_6memory8policies11unroll_baseILi256ESt5arrayIPcLm2EE23TrivialOffsetCalculatorILi1EjESF_NS8_15LoadWithoutCastENS8_16StoreWithoutCastELi4ELi1EEEEEvT0_T1_.num_named_barrier)
	.set _ZN2at6native29vectorized_elementwise_kernelILi4EZZZNS0_12_GLOBAL__N_130modified_bessel_k1_kernel_cudaERNS_18TensorIteratorBaseEENKUlvE_clEvENKUlvE0_clEvEUlfE_St5arrayIPcLm2EEEEviT0_T1_.private_seg_size, 0+max(.L_ZN2at6native25elementwise_kernel_helperILb0EZZZNS0_12_GLOBAL__N_130modified_bessel_k1_kernel_cudaERNS_18TensorIteratorBaseEENKUlvE_clEvENKUlvE0_clEvEUlfE_NS0_6memory8policies10vectorizedILi4ESt5arrayIPcLm2EELi4EEEEEvT0_T1_.private_seg_size, .L_ZN2at6native25elementwise_kernel_helperILb0EZZZNS0_12_GLOBAL__N_130modified_bessel_k1_kernel_cudaERNS_18TensorIteratorBaseEENKUlvE_clEvENKUlvE0_clEvEUlfE_NS0_6memory8policies11unroll_baseILi256ESt5arrayIPcLm2EE23TrivialOffsetCalculatorILi1EjESF_NS8_15LoadWithoutCastENS8_16StoreWithoutCastELi4ELi1EEEEEvT0_T1_.private_seg_size)
	.set _ZN2at6native29vectorized_elementwise_kernelILi4EZZZNS0_12_GLOBAL__N_130modified_bessel_k1_kernel_cudaERNS_18TensorIteratorBaseEENKUlvE_clEvENKUlvE0_clEvEUlfE_St5arrayIPcLm2EEEEviT0_T1_.uses_vcc, or(1, .L_ZN2at6native25elementwise_kernel_helperILb0EZZZNS0_12_GLOBAL__N_130modified_bessel_k1_kernel_cudaERNS_18TensorIteratorBaseEENKUlvE_clEvENKUlvE0_clEvEUlfE_NS0_6memory8policies10vectorizedILi4ESt5arrayIPcLm2EELi4EEEEEvT0_T1_.uses_vcc, .L_ZN2at6native25elementwise_kernel_helperILb0EZZZNS0_12_GLOBAL__N_130modified_bessel_k1_kernel_cudaERNS_18TensorIteratorBaseEENKUlvE_clEvENKUlvE0_clEvEUlfE_NS0_6memory8policies11unroll_baseILi256ESt5arrayIPcLm2EE23TrivialOffsetCalculatorILi1EjESF_NS8_15LoadWithoutCastENS8_16StoreWithoutCastELi4ELi1EEEEEvT0_T1_.uses_vcc)
	.set _ZN2at6native29vectorized_elementwise_kernelILi4EZZZNS0_12_GLOBAL__N_130modified_bessel_k1_kernel_cudaERNS_18TensorIteratorBaseEENKUlvE_clEvENKUlvE0_clEvEUlfE_St5arrayIPcLm2EEEEviT0_T1_.uses_flat_scratch, or(0, .L_ZN2at6native25elementwise_kernel_helperILb0EZZZNS0_12_GLOBAL__N_130modified_bessel_k1_kernel_cudaERNS_18TensorIteratorBaseEENKUlvE_clEvENKUlvE0_clEvEUlfE_NS0_6memory8policies10vectorizedILi4ESt5arrayIPcLm2EELi4EEEEEvT0_T1_.uses_flat_scratch, .L_ZN2at6native25elementwise_kernel_helperILb0EZZZNS0_12_GLOBAL__N_130modified_bessel_k1_kernel_cudaERNS_18TensorIteratorBaseEENKUlvE_clEvENKUlvE0_clEvEUlfE_NS0_6memory8policies11unroll_baseILi256ESt5arrayIPcLm2EE23TrivialOffsetCalculatorILi1EjESF_NS8_15LoadWithoutCastENS8_16StoreWithoutCastELi4ELi1EEEEEvT0_T1_.uses_flat_scratch)
	.set _ZN2at6native29vectorized_elementwise_kernelILi4EZZZNS0_12_GLOBAL__N_130modified_bessel_k1_kernel_cudaERNS_18TensorIteratorBaseEENKUlvE_clEvENKUlvE0_clEvEUlfE_St5arrayIPcLm2EEEEviT0_T1_.has_dyn_sized_stack, or(0, .L_ZN2at6native25elementwise_kernel_helperILb0EZZZNS0_12_GLOBAL__N_130modified_bessel_k1_kernel_cudaERNS_18TensorIteratorBaseEENKUlvE_clEvENKUlvE0_clEvEUlfE_NS0_6memory8policies10vectorizedILi4ESt5arrayIPcLm2EELi4EEEEEvT0_T1_.has_dyn_sized_stack, .L_ZN2at6native25elementwise_kernel_helperILb0EZZZNS0_12_GLOBAL__N_130modified_bessel_k1_kernel_cudaERNS_18TensorIteratorBaseEENKUlvE_clEvENKUlvE0_clEvEUlfE_NS0_6memory8policies11unroll_baseILi256ESt5arrayIPcLm2EE23TrivialOffsetCalculatorILi1EjESF_NS8_15LoadWithoutCastENS8_16StoreWithoutCastELi4ELi1EEEEEvT0_T1_.has_dyn_sized_stack)
	.set _ZN2at6native29vectorized_elementwise_kernelILi4EZZZNS0_12_GLOBAL__N_130modified_bessel_k1_kernel_cudaERNS_18TensorIteratorBaseEENKUlvE_clEvENKUlvE0_clEvEUlfE_St5arrayIPcLm2EEEEviT0_T1_.has_recursion, or(0, .L_ZN2at6native25elementwise_kernel_helperILb0EZZZNS0_12_GLOBAL__N_130modified_bessel_k1_kernel_cudaERNS_18TensorIteratorBaseEENKUlvE_clEvENKUlvE0_clEvEUlfE_NS0_6memory8policies10vectorizedILi4ESt5arrayIPcLm2EELi4EEEEEvT0_T1_.has_recursion, .L_ZN2at6native25elementwise_kernel_helperILb0EZZZNS0_12_GLOBAL__N_130modified_bessel_k1_kernel_cudaERNS_18TensorIteratorBaseEENKUlvE_clEvENKUlvE0_clEvEUlfE_NS0_6memory8policies11unroll_baseILi256ESt5arrayIPcLm2EE23TrivialOffsetCalculatorILi1EjESF_NS8_15LoadWithoutCastENS8_16StoreWithoutCastELi4ELi1EEEEEvT0_T1_.has_recursion)
	.set _ZN2at6native29vectorized_elementwise_kernelILi4EZZZNS0_12_GLOBAL__N_130modified_bessel_k1_kernel_cudaERNS_18TensorIteratorBaseEENKUlvE_clEvENKUlvE0_clEvEUlfE_St5arrayIPcLm2EEEEviT0_T1_.has_indirect_call, or(0, .L_ZN2at6native25elementwise_kernel_helperILb0EZZZNS0_12_GLOBAL__N_130modified_bessel_k1_kernel_cudaERNS_18TensorIteratorBaseEENKUlvE_clEvENKUlvE0_clEvEUlfE_NS0_6memory8policies10vectorizedILi4ESt5arrayIPcLm2EELi4EEEEEvT0_T1_.has_indirect_call, .L_ZN2at6native25elementwise_kernel_helperILb0EZZZNS0_12_GLOBAL__N_130modified_bessel_k1_kernel_cudaERNS_18TensorIteratorBaseEENKUlvE_clEvENKUlvE0_clEvEUlfE_NS0_6memory8policies11unroll_baseILi256ESt5arrayIPcLm2EE23TrivialOffsetCalculatorILi1EjESF_NS8_15LoadWithoutCastENS8_16StoreWithoutCastELi4ELi1EEEEEvT0_T1_.has_indirect_call)
	.section	.AMDGPU.csdata,"",@progbits
; Kernel info:
; codeLenInByte = 168
; TotalNumSgprs: 35
; NumVgprs: 32
; ScratchSize: 0
; MemoryBound: 0
; FloatMode: 240
; IeeeMode: 1
; LDSByteSize: 0 bytes/workgroup (compile time only)
; SGPRBlocks: 0
; VGPRBlocks: 3
; NumSGPRsForWavesPerEU: 35
; NumVGPRsForWavesPerEU: 32
; Occupancy: 16
; WaveLimiterHint : 0
; COMPUTE_PGM_RSRC2:SCRATCH_EN: 0
; COMPUTE_PGM_RSRC2:USER_SGPR: 6
; COMPUTE_PGM_RSRC2:TRAP_HANDLER: 0
; COMPUTE_PGM_RSRC2:TGID_X_EN: 1
; COMPUTE_PGM_RSRC2:TGID_Y_EN: 0
; COMPUTE_PGM_RSRC2:TGID_Z_EN: 0
; COMPUTE_PGM_RSRC2:TIDIG_COMP_CNT: 0
	.section	.text._ZN2at6native29vectorized_elementwise_kernelILi2EZZZNS0_12_GLOBAL__N_130modified_bessel_k1_kernel_cudaERNS_18TensorIteratorBaseEENKUlvE_clEvENKUlvE0_clEvEUlfE_St5arrayIPcLm2EEEEviT0_T1_,"axG",@progbits,_ZN2at6native29vectorized_elementwise_kernelILi2EZZZNS0_12_GLOBAL__N_130modified_bessel_k1_kernel_cudaERNS_18TensorIteratorBaseEENKUlvE_clEvENKUlvE0_clEvEUlfE_St5arrayIPcLm2EEEEviT0_T1_,comdat
	.globl	_ZN2at6native29vectorized_elementwise_kernelILi2EZZZNS0_12_GLOBAL__N_130modified_bessel_k1_kernel_cudaERNS_18TensorIteratorBaseEENKUlvE_clEvENKUlvE0_clEvEUlfE_St5arrayIPcLm2EEEEviT0_T1_ ; -- Begin function _ZN2at6native29vectorized_elementwise_kernelILi2EZZZNS0_12_GLOBAL__N_130modified_bessel_k1_kernel_cudaERNS_18TensorIteratorBaseEENKUlvE_clEvENKUlvE0_clEvEUlfE_St5arrayIPcLm2EEEEviT0_T1_
	.p2align	8
	.type	_ZN2at6native29vectorized_elementwise_kernelILi2EZZZNS0_12_GLOBAL__N_130modified_bessel_k1_kernel_cudaERNS_18TensorIteratorBaseEENKUlvE_clEvENKUlvE0_clEvEUlfE_St5arrayIPcLm2EEEEviT0_T1_,@function
_ZN2at6native29vectorized_elementwise_kernelILi2EZZZNS0_12_GLOBAL__N_130modified_bessel_k1_kernel_cudaERNS_18TensorIteratorBaseEENKUlvE_clEvENKUlvE0_clEvEUlfE_St5arrayIPcLm2EEEEviT0_T1_: ; @_ZN2at6native29vectorized_elementwise_kernelILi2EZZZNS0_12_GLOBAL__N_130modified_bessel_k1_kernel_cudaERNS_18TensorIteratorBaseEENKUlvE_clEvENKUlvE0_clEvEUlfE_St5arrayIPcLm2EEEEviT0_T1_
; %bb.0:
	s_add_u32 s0, s0, s7
	s_clause 0x1
	s_load_dword s7, s[4:5], 0x0
	s_load_dwordx4 s[8:11], s[4:5], 0x8
	s_addc_u32 s1, s1, 0
	s_lshl_b32 s4, s6, 10
	s_mov_b32 s5, -1
	s_mov_b32 s32, 0
	s_waitcnt lgkmcnt(0)
	s_sub_i32 s7, s7, s4
	s_cmpk_gt_i32 s7, 0x3ff
	s_cbranch_scc1 .LBB15_3
; %bb.1:
	s_and_b32 vcc_lo, exec_lo, s5
	s_cbranch_vccnz .LBB15_36
.LBB15_2:
	s_endpgm
.LBB15_3:
	s_ashr_i32 s5, s4, 31
	v_lshlrev_b32_e32 v7, 3, v0
	s_lshl_b64 s[12:13], s[4:5], 2
	s_add_u32 s4, s10, s12
	s_addc_u32 s5, s11, s13
	v_add_co_u32 v1, s14, s4, v7
	v_add_co_ci_u32_e64 v2, null, s5, 0, s14
	global_load_dwordx2 v[5:6], v7, s[4:5]
	v_add_co_u32 v1, vcc_lo, 0x800, v1
	v_add_co_ci_u32_e64 v2, null, 0, v2, vcc_lo
	global_load_dwordx2 v[3:4], v[1:2], off
	v_mov_b32_e32 v2, 0x7f800000
	v_mov_b32_e32 v1, 0x7f800000
	s_mov_b32 s5, exec_lo
	s_waitcnt vmcnt(1)
	v_cmpx_neq_f32_e32 0, v5
	s_cbranch_execz .LBB15_11
; %bb.4:
	v_mov_b32_e32 v1, 0x7fc00000
	s_mov_b32 s14, exec_lo
	v_cmpx_ngt_f32_e32 0, v5
	s_cbranch_execz .LBB15_10
; %bb.5:
	s_mov_b32 s4, exec_lo
	v_cmpx_ge_f32_e32 2.0, v5
	s_xor_b32 s15, exec_lo, s4
	s_cbranch_execz .LBB15_7
; %bb.6:
	v_fma_f32 v1, v5, 0.5, -2.0
	s_mov_b32 s4, 0x224cf950
	v_fma_f32 v10, v5, v5, -2.0
	v_fmaak_f32 v8, s4, v1, 0xa3c2be86
	s_mov_b32 s4, 0xa3019142
	v_fmaak_f32 v11, s4, v10, 0xa72eea8c
	v_fmaak_f32 v9, v1, v8, 0xa24cf950
	;; [unrolled: 1-line block ×3, first 2 shown]
	v_add_f32_e32 v9, 0x25331f1f, v9
	v_add_f32_e32 v12, 0xab3ba817, v12
	v_fma_f32 v8, v1, v9, -v8
	v_fma_f32 v11, v10, v12, -v11
	v_add_f32_e32 v8, 0xa69f5554, v8
	v_add_f32_e32 v11, 0xaf1b31de, v11
	v_fma_f32 v9, v1, v8, -v9
	v_fma_f32 v12, v10, v11, -v12
	;; [unrolled: 4-line block ×8, first 2 shown]
	v_mul_f32_e32 v11, 0.5, v5
	v_add_f32_e32 v9, 0x2fc751a6, v9
	v_add_f32_e32 v10, 0x3fc33d0a, v10
	v_cmp_gt_f32_e32 vcc_lo, 0x800000, v11
	v_fma_f32 v8, v1, v9, -v8
	v_sub_f32_e32 v10, v10, v12
	v_mul_f32_e32 v12, 0x3fb8aa3b, v5
	v_add_f32_e32 v8, 0xb101b0d9, v8
	v_cndmask_b32_e64 v13, 0, 32, vcc_lo
	v_cndmask_b32_e64 v18, 0, 0x41b17218, vcc_lo
	v_mul_f32_e32 v10, 0.5, v10
	v_rndne_f32_e32 v14, v12
	v_fma_f32 v9, v1, v8, -v9
	v_fma_f32 v16, 0x3fb8aa3b, v5, -v12
	v_ldexp_f32 v11, v11, v13
	v_div_scale_f32 v15, null, v5, v5, v10
	v_add_f32_e32 v9, 0x32212c70, v9
	v_sub_f32_e32 v12, v12, v14
	v_fmamk_f32 v16, v5, 0x32a5705f, v16
	v_rcp_f32_e32 v13, v15
	v_log_f32_e32 v11, v11
	v_fma_f32 v8, v1, v9, -v8
	v_div_scale_f32 v17, s4, v10, v5, v10
	v_add_f32_e32 v12, v12, v16
	v_cmp_ngt_f32_e32 vcc_lo, 0xc2ce8ed0, v5
	v_add_f32_e32 v8, 0xb33ee9f1, v8
	v_exp_f32_e32 v12, v12
	v_fma_f32 v16, -v15, v13, 1.0
	v_fma_f32 v9, v1, v8, -v9
	v_fmac_f32_e32 v13, v16, v13
	v_add_f32_e32 v9, 0x34571a26, v9
	v_mul_f32_e32 v16, 0x3f317217, v11
	v_fma_f32 v8, v1, v9, -v8
	v_fma_f32 v16, 0x3f317217, v11, -v16
	v_add_f32_e32 v8, 0xb56603cc, v8
	v_fmamk_f32 v16, v11, 0x3377d1cf, v16
	v_fma_f32 v9, v1, v8, -v9
	v_fmac_f32_e32 v16, 0x3f317217, v11
	v_add_f32_e32 v9, 0x3668e277, v9
	v_fma_f32 v8, v1, v9, -v8
	v_add_f32_e32 v8, 0xb75eafce, v8
	v_fma_f32 v9, v1, v8, -v9
	;; [unrolled: 2-line block ×12, first 2 shown]
	v_cvt_i32_f32_e32 v8, v14
	v_mul_f32_e32 v14, v17, v13
	v_add_f32_e32 v1, 0x3e81531c, v1
	v_ldexp_f32 v8, v12, v8
	v_fma_f32 v12, -v15, v14, v17
	v_sub_f32_e32 v1, v1, v9
	v_cndmask_b32_e32 v8, 0, v8, vcc_lo
	v_cmp_nlt_f32_e32 vcc_lo, 0x42b17218, v5
	v_fmac_f32_e32 v14, v12, v13
	v_mul_f32_e32 v1, 0.5, v1
	v_cndmask_b32_e32 v8, 0x7f800000, v8, vcc_lo
	v_cmp_gt_f32_e64 vcc_lo, 0x7f800000, |v11|
	v_fma_f32 v9, -v15, v14, v17
	v_mul_f32_e32 v1, v5, v1
	v_cndmask_b32_e32 v11, v11, v16, vcc_lo
	s_mov_b32 vcc_lo, s4
	v_mul_f32_e32 v8, v8, v1
	v_div_fmas_f32 v9, v9, v13, v14
	v_sub_f32_e32 v11, v11, v18
	v_div_fixup_f32 v1, v9, v5, v10
	v_fmac_f32_e32 v1, v11, v8
.LBB15_7:
	s_andn2_saveexec_b32 s15, s15
	s_cbranch_execz .LBB15_9
; %bb.8:
	v_div_scale_f32 v1, null, v5, v5, 0x41000000
	v_div_scale_f32 v10, vcc_lo, 0x41000000, v5, 0x41000000
	s_mov_b32 s4, 0xa2d462ea
	v_rcp_f32_e32 v8, v1
	v_fma_f32 v9, -v1, v8, 1.0
	v_fmac_f32_e32 v8, v9, v8
	v_mul_f32_e32 v9, v10, v8
	v_fma_f32 v11, -v1, v9, v10
	v_fmac_f32_e32 v9, v11, v8
	v_mul_f32_e32 v11, 0xbfb8aa3b, v5
	v_fma_f32 v1, -v1, v9, v10
	v_mul_f32_e32 v10, 0x4f800000, v5
	v_rndne_f32_e32 v12, v11
	v_fma_f32 v13, 0xbfb8aa3b, v5, -v11
	v_div_fmas_f32 v1, v1, v8, v9
	v_cmp_gt_f32_e32 vcc_lo, 0xf800000, v5
	v_sub_f32_e32 v11, v11, v12
	v_fmamk_f32 v13, v5, 0xb2a5705f, v13
	v_cvt_i32_f32_e32 v12, v12
	v_div_fixup_f32 v1, v1, v5, 0x41000000
	v_cndmask_b32_e32 v10, v5, v10, vcc_lo
	v_add_f32_e32 v11, v11, v13
	v_add_f32_e32 v1, -2.0, v1
	v_sqrt_f32_e32 v14, v10
	v_exp_f32_e32 v11, v11
	v_fmaak_f32 v8, s4, v1, 0x23a578d4
	v_fmaak_f32 v9, v1, v8, 0x22d462ea
	v_add_nc_u32_e32 v13, -1, v14
	v_add_nc_u32_e32 v15, 1, v14
	v_add_f32_e32 v9, 0xa48330a9, v9
	v_fma_f32 v16, -v13, v14, v10
	v_fma_f32 v17, -v15, v14, v10
	v_fma_f32 v8, v1, v9, -v8
	v_cmp_ge_f32_e64 s4, 0, v16
	v_add_f32_e32 v8, 0x2553eaf2, v8
	v_cndmask_b32_e64 v13, v14, v13, s4
	v_cmp_lt_f32_e64 s4, 0, v17
	v_fma_f32 v9, v1, v8, -v9
	v_add_f32_e32 v9, 0xa62e951f, v9
	v_fma_f32 v8, v1, v9, -v8
	v_add_f32_e32 v8, 0x2712e76f, v8
	v_fma_f32 v9, v1, v8, -v9
	v_add_f32_e32 v9, 0xa7fcea92, v9
	v_fma_f32 v8, v1, v9, -v8
	v_add_f32_e32 v8, 0x28df1f4b, v8
	v_fma_f32 v9, v1, v8, -v9
	v_add_f32_e32 v9, 0xa9ca232f, v9
	v_fma_f32 v8, v1, v9, -v8
	v_add_f32_e32 v8, 0x2abc7fd0, v8
	v_fma_f32 v9, v1, v8, -v9
	v_add_f32_e32 v9, 0xabb56f63, v9
	v_fma_f32 v8, v1, v9, -v8
	v_add_f32_e32 v8, 0x2cb4d5c2, v8
	v_fma_f32 v9, v1, v8, -v9
	v_add_f32_e32 v9, 0xadbb5a9d, v9
	v_fma_f32 v8, v1, v9, -v8
	v_add_f32_e32 v8, 0x2ecab680, v8
	v_fma_f32 v9, v1, v8, -v9
	v_add_f32_e32 v9, 0xafe65e00, v9
	v_fma_f32 v8, v1, v9, -v8
	v_add_f32_e32 v8, 0x310a7921, v8
	v_fma_f32 v9, v1, v8, -v9
	v_add_f32_e32 v9, 0xb231bd25, v9
	v_fma_f32 v8, v1, v9, -v8
	v_add_f32_e32 v8, 0x337693e3, v8
	v_fma_f32 v9, v1, v8, -v9
	v_add_f32_e32 v9, 0xb4bc0294, v9
	v_fma_f32 v8, v1, v9, -v8
	v_add_f32_e32 v8, 0x36217f19, v8
	v_fma_f32 v9, v1, v8, -v9
	v_add_f32_e32 v9, 0xb7a26b89, v9
	v_fma_f32 v8, v1, v9, -v8
	v_add_f32_e32 v8, 0x394cb2c4, v8
	v_fma_f32 v9, v1, v8, -v9
	v_add_f32_e32 v9, 0xbb3b4a36, v9
	v_fma_f32 v8, v1, v9, -v8
	v_add_f32_e32 v8, 0x3dd4d5f8, v8
	v_fma_f32 v1, v1, v8, -v9
	v_ldexp_f32 v8, v11, v12
	v_cndmask_b32_e64 v11, v13, v15, s4
	v_cmp_nlt_f32_e64 s4, 0x42ce8ed0, v5
	v_add_f32_e32 v1, 0x402e1ebd, v1
	v_mul_f32_e32 v12, 0x37800000, v11
	v_cndmask_b32_e64 v8, 0, v8, s4
	v_cmp_ngt_f32_e64 s4, 0xc2b17218, v5
	v_sub_f32_e32 v1, v1, v9
	v_cndmask_b32_e64 v5, 0x7f800000, v8, s4
	v_cndmask_b32_e32 v8, v11, v12, vcc_lo
	v_mul_f32_e32 v1, 0.5, v1
	v_cmp_class_f32_e64 vcc_lo, v10, 0x260
	v_mul_f32_e32 v1, v5, v1
	v_cndmask_b32_e32 v8, v8, v10, vcc_lo
	v_div_scale_f32 v5, null, v8, v8, v1
	v_rcp_f32_e32 v9, v5
	v_fma_f32 v10, -v5, v9, 1.0
	v_fmac_f32_e32 v9, v10, v9
	v_div_scale_f32 v10, vcc_lo, v1, v8, v1
	v_mul_f32_e32 v11, v10, v9
	v_fma_f32 v12, -v5, v11, v10
	v_fmac_f32_e32 v11, v12, v9
	v_fma_f32 v5, -v5, v11, v10
	v_div_fmas_f32 v5, v5, v9, v11
	v_div_fixup_f32 v1, v5, v8, v1
.LBB15_9:
	s_or_b32 exec_lo, exec_lo, s15
.LBB15_10:
	s_or_b32 exec_lo, exec_lo, s14
.LBB15_11:
	s_or_b32 exec_lo, exec_lo, s5
	s_mov_b32 s5, exec_lo
	v_cmpx_neq_f32_e32 0, v6
	s_cbranch_execz .LBB15_19
; %bb.12:
	v_mov_b32_e32 v2, 0x7fc00000
	s_mov_b32 s14, exec_lo
	v_cmpx_ngt_f32_e32 0, v6
	s_cbranch_execz .LBB15_18
; %bb.13:
	s_mov_b32 s4, exec_lo
	v_cmpx_ge_f32_e32 2.0, v6
	s_xor_b32 s15, exec_lo, s4
	s_cbranch_execz .LBB15_15
; %bb.14:
	v_fma_f32 v2, v6, 0.5, -2.0
	s_mov_b32 s4, 0x224cf950
	v_fma_f32 v9, v6, v6, -2.0
	v_fmaak_f32 v5, s4, v2, 0xa3c2be86
	s_mov_b32 s4, 0xa3019142
	v_fmaak_f32 v10, s4, v9, 0xa72eea8c
	v_fmaak_f32 v8, v2, v5, 0xa24cf950
	;; [unrolled: 1-line block ×3, first 2 shown]
	v_add_f32_e32 v8, 0x25331f1f, v8
	v_add_f32_e32 v11, 0xab3ba817, v11
	v_fma_f32 v5, v2, v8, -v5
	v_fma_f32 v10, v9, v11, -v10
	v_add_f32_e32 v5, 0xa69f5554, v5
	v_add_f32_e32 v10, 0xaf1b31de, v10
	v_fma_f32 v8, v2, v5, -v8
	v_fma_f32 v11, v9, v10, -v11
	;; [unrolled: 4-line block ×8, first 2 shown]
	v_mul_f32_e32 v10, 0.5, v6
	v_add_f32_e32 v8, 0x2fc751a6, v8
	v_add_f32_e32 v9, 0x3fc33d0a, v9
	v_cmp_gt_f32_e32 vcc_lo, 0x800000, v10
	v_fma_f32 v5, v2, v8, -v5
	v_sub_f32_e32 v9, v9, v11
	v_mul_f32_e32 v11, 0x3fb8aa3b, v6
	v_add_f32_e32 v5, 0xb101b0d9, v5
	v_cndmask_b32_e64 v12, 0, 32, vcc_lo
	v_cndmask_b32_e64 v17, 0, 0x41b17218, vcc_lo
	v_mul_f32_e32 v9, 0.5, v9
	v_rndne_f32_e32 v13, v11
	v_fma_f32 v8, v2, v5, -v8
	v_fma_f32 v15, 0x3fb8aa3b, v6, -v11
	v_ldexp_f32 v10, v10, v12
	v_div_scale_f32 v14, null, v6, v6, v9
	v_add_f32_e32 v8, 0x32212c70, v8
	v_sub_f32_e32 v11, v11, v13
	v_fmamk_f32 v15, v6, 0x32a5705f, v15
	v_rcp_f32_e32 v12, v14
	v_log_f32_e32 v10, v10
	v_fma_f32 v5, v2, v8, -v5
	v_div_scale_f32 v16, s4, v9, v6, v9
	v_add_f32_e32 v11, v11, v15
	v_cmp_ngt_f32_e32 vcc_lo, 0xc2ce8ed0, v6
	v_add_f32_e32 v5, 0xb33ee9f1, v5
	v_exp_f32_e32 v11, v11
	v_fma_f32 v15, -v14, v12, 1.0
	v_fma_f32 v8, v2, v5, -v8
	v_fmac_f32_e32 v12, v15, v12
	v_add_f32_e32 v8, 0x34571a26, v8
	v_mul_f32_e32 v15, 0x3f317217, v10
	v_fma_f32 v5, v2, v8, -v5
	v_fma_f32 v15, 0x3f317217, v10, -v15
	v_add_f32_e32 v5, 0xb56603cc, v5
	v_fmamk_f32 v15, v10, 0x3377d1cf, v15
	v_fma_f32 v8, v2, v5, -v8
	v_fmac_f32_e32 v15, 0x3f317217, v10
	v_add_f32_e32 v8, 0x3668e277, v8
	v_fma_f32 v5, v2, v8, -v5
	v_add_f32_e32 v5, 0xb75eafce, v5
	v_fma_f32 v8, v2, v5, -v8
	;; [unrolled: 2-line block ×12, first 2 shown]
	v_cvt_i32_f32_e32 v5, v13
	v_mul_f32_e32 v13, v16, v12
	v_add_f32_e32 v2, 0x3e81531c, v2
	v_ldexp_f32 v5, v11, v5
	v_fma_f32 v11, -v14, v13, v16
	v_sub_f32_e32 v2, v2, v8
	v_cndmask_b32_e32 v5, 0, v5, vcc_lo
	v_cmp_nlt_f32_e32 vcc_lo, 0x42b17218, v6
	v_fmac_f32_e32 v13, v11, v12
	v_mul_f32_e32 v2, 0.5, v2
	v_cndmask_b32_e32 v5, 0x7f800000, v5, vcc_lo
	v_cmp_gt_f32_e64 vcc_lo, 0x7f800000, |v10|
	v_fma_f32 v8, -v14, v13, v16
	v_mul_f32_e32 v2, v6, v2
	v_cndmask_b32_e32 v10, v10, v15, vcc_lo
	s_mov_b32 vcc_lo, s4
	v_mul_f32_e32 v5, v5, v2
	v_div_fmas_f32 v8, v8, v12, v13
	v_sub_f32_e32 v10, v10, v17
	v_div_fixup_f32 v2, v8, v6, v9
	v_fmac_f32_e32 v2, v10, v5
                                        ; implicit-def: $vgpr5_vgpr6
.LBB15_15:
	s_andn2_saveexec_b32 s15, s15
	s_cbranch_execz .LBB15_17
; %bb.16:
	v_div_scale_f32 v2, null, v6, v6, 0x41000000
	v_div_scale_f32 v9, vcc_lo, 0x41000000, v6, 0x41000000
	s_mov_b32 s4, 0xa2d462ea
	v_rcp_f32_e32 v5, v2
	v_fma_f32 v8, -v2, v5, 1.0
	v_fmac_f32_e32 v5, v8, v5
	v_mul_f32_e32 v8, v9, v5
	v_fma_f32 v10, -v2, v8, v9
	v_fmac_f32_e32 v8, v10, v5
	v_mul_f32_e32 v10, 0xbfb8aa3b, v6
	v_fma_f32 v2, -v2, v8, v9
	v_mul_f32_e32 v9, 0x4f800000, v6
	v_rndne_f32_e32 v11, v10
	v_fma_f32 v12, 0xbfb8aa3b, v6, -v10
	v_div_fmas_f32 v2, v2, v5, v8
	v_cmp_gt_f32_e32 vcc_lo, 0xf800000, v6
	v_sub_f32_e32 v10, v10, v11
	v_fmamk_f32 v12, v6, 0xb2a5705f, v12
	v_cvt_i32_f32_e32 v11, v11
	v_div_fixup_f32 v2, v2, v6, 0x41000000
	v_cndmask_b32_e32 v9, v6, v9, vcc_lo
	v_add_f32_e32 v10, v10, v12
	v_add_f32_e32 v2, -2.0, v2
	v_sqrt_f32_e32 v13, v9
	v_exp_f32_e32 v10, v10
	v_fmaak_f32 v5, s4, v2, 0x23a578d4
	v_fmaak_f32 v8, v2, v5, 0x22d462ea
	v_add_nc_u32_e32 v12, -1, v13
	v_add_nc_u32_e32 v14, 1, v13
	v_add_f32_e32 v8, 0xa48330a9, v8
	v_fma_f32 v15, -v12, v13, v9
	v_fma_f32 v16, -v14, v13, v9
	v_fma_f32 v5, v2, v8, -v5
	v_cmp_ge_f32_e64 s4, 0, v15
	v_add_f32_e32 v5, 0x2553eaf2, v5
	v_cndmask_b32_e64 v12, v13, v12, s4
	v_cmp_lt_f32_e64 s4, 0, v16
	v_fma_f32 v8, v2, v5, -v8
	v_add_f32_e32 v8, 0xa62e951f, v8
	v_fma_f32 v5, v2, v8, -v5
	v_add_f32_e32 v5, 0x2712e76f, v5
	;; [unrolled: 2-line block ×20, first 2 shown]
	v_fma_f32 v2, v2, v5, -v8
	v_ldexp_f32 v5, v10, v11
	v_cndmask_b32_e64 v10, v12, v14, s4
	v_cmp_nlt_f32_e64 s4, 0x42ce8ed0, v6
	v_add_f32_e32 v2, 0x402e1ebd, v2
	v_mul_f32_e32 v11, 0x37800000, v10
	v_cndmask_b32_e64 v5, 0, v5, s4
	v_cmp_ngt_f32_e64 s4, 0xc2b17218, v6
	v_sub_f32_e32 v2, v2, v8
	v_cndmask_b32_e32 v6, v10, v11, vcc_lo
	v_cmp_class_f32_e64 vcc_lo, v9, 0x260
	v_cndmask_b32_e64 v5, 0x7f800000, v5, s4
	v_mul_f32_e32 v2, 0.5, v2
	v_cndmask_b32_e32 v6, v6, v9, vcc_lo
	v_mul_f32_e32 v2, v5, v2
	v_div_scale_f32 v5, null, v6, v6, v2
	v_rcp_f32_e32 v8, v5
	v_fma_f32 v9, -v5, v8, 1.0
	v_fmac_f32_e32 v8, v9, v8
	v_div_scale_f32 v9, vcc_lo, v2, v6, v2
	v_mul_f32_e32 v10, v9, v8
	v_fma_f32 v11, -v5, v10, v9
	v_fmac_f32_e32 v10, v11, v8
	v_fma_f32 v5, -v5, v10, v9
	v_div_fmas_f32 v5, v5, v8, v10
	v_div_fixup_f32 v2, v5, v6, v2
.LBB15_17:
	s_or_b32 exec_lo, exec_lo, s15
.LBB15_18:
	s_or_b32 exec_lo, exec_lo, s14
.LBB15_19:
	s_or_b32 exec_lo, exec_lo, s5
	v_mov_b32_e32 v6, 0x7f800000
	v_mov_b32_e32 v5, 0x7f800000
	s_mov_b32 s5, exec_lo
	s_waitcnt vmcnt(0)
	v_cmpx_neq_f32_e32 0, v3
	s_cbranch_execz .LBB15_27
; %bb.20:
	v_mov_b32_e32 v5, 0x7fc00000
	s_mov_b32 s14, exec_lo
	v_cmpx_ngt_f32_e32 0, v3
	s_cbranch_execz .LBB15_26
; %bb.21:
	s_mov_b32 s4, exec_lo
	v_cmpx_ge_f32_e32 2.0, v3
	s_xor_b32 s15, exec_lo, s4
	s_cbranch_execz .LBB15_23
; %bb.22:
	v_fma_f32 v5, v3, 0.5, -2.0
	s_mov_b32 s4, 0x224cf950
	v_fma_f32 v10, v3, v3, -2.0
	v_fmaak_f32 v8, s4, v5, 0xa3c2be86
	s_mov_b32 s4, 0xa3019142
	v_fmaak_f32 v11, s4, v10, 0xa72eea8c
	v_fmaak_f32 v9, v5, v8, 0xa24cf950
	;; [unrolled: 1-line block ×3, first 2 shown]
	v_add_f32_e32 v9, 0x25331f1f, v9
	v_add_f32_e32 v12, 0xab3ba817, v12
	v_fma_f32 v8, v5, v9, -v8
	v_fma_f32 v11, v10, v12, -v11
	v_add_f32_e32 v8, 0xa69f5554, v8
	v_add_f32_e32 v11, 0xaf1b31de, v11
	v_fma_f32 v9, v5, v8, -v9
	v_fma_f32 v12, v10, v11, -v12
	;; [unrolled: 4-line block ×8, first 2 shown]
	v_mul_f32_e32 v11, 0.5, v3
	v_add_f32_e32 v9, 0x2fc751a6, v9
	v_add_f32_e32 v10, 0x3fc33d0a, v10
	v_cmp_gt_f32_e32 vcc_lo, 0x800000, v11
	v_fma_f32 v8, v5, v9, -v8
	v_sub_f32_e32 v10, v10, v12
	v_mul_f32_e32 v12, 0x3fb8aa3b, v3
	v_add_f32_e32 v8, 0xb101b0d9, v8
	v_cndmask_b32_e64 v13, 0, 32, vcc_lo
	v_cndmask_b32_e64 v18, 0, 0x41b17218, vcc_lo
	v_mul_f32_e32 v10, 0.5, v10
	v_rndne_f32_e32 v14, v12
	v_fma_f32 v9, v5, v8, -v9
	v_fma_f32 v16, 0x3fb8aa3b, v3, -v12
	v_ldexp_f32 v11, v11, v13
	v_div_scale_f32 v15, null, v3, v3, v10
	v_add_f32_e32 v9, 0x32212c70, v9
	v_sub_f32_e32 v12, v12, v14
	v_fmamk_f32 v16, v3, 0x32a5705f, v16
	v_rcp_f32_e32 v13, v15
	v_log_f32_e32 v11, v11
	v_fma_f32 v8, v5, v9, -v8
	v_div_scale_f32 v17, s4, v10, v3, v10
	v_add_f32_e32 v12, v12, v16
	v_cmp_ngt_f32_e32 vcc_lo, 0xc2ce8ed0, v3
	v_add_f32_e32 v8, 0xb33ee9f1, v8
	v_exp_f32_e32 v12, v12
	v_fma_f32 v16, -v15, v13, 1.0
	v_fma_f32 v9, v5, v8, -v9
	v_fmac_f32_e32 v13, v16, v13
	v_add_f32_e32 v9, 0x34571a26, v9
	v_mul_f32_e32 v16, 0x3f317217, v11
	v_fma_f32 v8, v5, v9, -v8
	v_fma_f32 v16, 0x3f317217, v11, -v16
	v_add_f32_e32 v8, 0xb56603cc, v8
	v_fmamk_f32 v16, v11, 0x3377d1cf, v16
	v_fma_f32 v9, v5, v8, -v9
	v_fmac_f32_e32 v16, 0x3f317217, v11
	v_add_f32_e32 v9, 0x3668e277, v9
	v_fma_f32 v8, v5, v9, -v8
	v_add_f32_e32 v8, 0xb75eafce, v8
	v_fma_f32 v9, v5, v8, -v9
	;; [unrolled: 2-line block ×12, first 2 shown]
	v_cvt_i32_f32_e32 v8, v14
	v_mul_f32_e32 v14, v17, v13
	v_add_f32_e32 v5, 0x3e81531c, v5
	v_ldexp_f32 v8, v12, v8
	v_fma_f32 v12, -v15, v14, v17
	v_sub_f32_e32 v5, v5, v9
	v_cndmask_b32_e32 v8, 0, v8, vcc_lo
	v_cmp_nlt_f32_e32 vcc_lo, 0x42b17218, v3
	v_fmac_f32_e32 v14, v12, v13
	v_mul_f32_e32 v5, 0.5, v5
	v_cndmask_b32_e32 v8, 0x7f800000, v8, vcc_lo
	v_cmp_gt_f32_e64 vcc_lo, 0x7f800000, |v11|
	v_fma_f32 v9, -v15, v14, v17
	v_mul_f32_e32 v5, v3, v5
	v_cndmask_b32_e32 v11, v11, v16, vcc_lo
	s_mov_b32 vcc_lo, s4
	v_mul_f32_e32 v8, v8, v5
	v_div_fmas_f32 v9, v9, v13, v14
	v_sub_f32_e32 v11, v11, v18
	v_div_fixup_f32 v5, v9, v3, v10
	v_fmac_f32_e32 v5, v11, v8
.LBB15_23:
	s_andn2_saveexec_b32 s15, s15
	s_cbranch_execz .LBB15_25
; %bb.24:
	v_div_scale_f32 v5, null, v3, v3, 0x41000000
	v_div_scale_f32 v10, vcc_lo, 0x41000000, v3, 0x41000000
	s_mov_b32 s4, 0xa2d462ea
	v_rcp_f32_e32 v8, v5
	v_fma_f32 v9, -v5, v8, 1.0
	v_fmac_f32_e32 v8, v9, v8
	v_mul_f32_e32 v9, v10, v8
	v_fma_f32 v11, -v5, v9, v10
	v_fmac_f32_e32 v9, v11, v8
	v_mul_f32_e32 v11, 0xbfb8aa3b, v3
	v_fma_f32 v5, -v5, v9, v10
	v_mul_f32_e32 v10, 0x4f800000, v3
	v_rndne_f32_e32 v12, v11
	v_fma_f32 v13, 0xbfb8aa3b, v3, -v11
	v_div_fmas_f32 v5, v5, v8, v9
	v_cmp_gt_f32_e32 vcc_lo, 0xf800000, v3
	v_sub_f32_e32 v11, v11, v12
	v_fmamk_f32 v13, v3, 0xb2a5705f, v13
	v_cvt_i32_f32_e32 v12, v12
	v_div_fixup_f32 v5, v5, v3, 0x41000000
	v_cndmask_b32_e32 v10, v3, v10, vcc_lo
	v_add_f32_e32 v11, v11, v13
	v_add_f32_e32 v5, -2.0, v5
	v_sqrt_f32_e32 v14, v10
	v_exp_f32_e32 v11, v11
	v_fmaak_f32 v8, s4, v5, 0x23a578d4
	v_fmaak_f32 v9, v5, v8, 0x22d462ea
	v_add_nc_u32_e32 v13, -1, v14
	v_add_nc_u32_e32 v15, 1, v14
	v_add_f32_e32 v9, 0xa48330a9, v9
	v_fma_f32 v16, -v13, v14, v10
	v_fma_f32 v17, -v15, v14, v10
	v_fma_f32 v8, v5, v9, -v8
	v_cmp_ge_f32_e64 s4, 0, v16
	v_add_f32_e32 v8, 0x2553eaf2, v8
	v_cndmask_b32_e64 v13, v14, v13, s4
	v_cmp_lt_f32_e64 s4, 0, v17
	v_fma_f32 v9, v5, v8, -v9
	v_add_f32_e32 v9, 0xa62e951f, v9
	v_fma_f32 v8, v5, v9, -v8
	v_add_f32_e32 v8, 0x2712e76f, v8
	;; [unrolled: 2-line block ×20, first 2 shown]
	v_fma_f32 v5, v5, v8, -v9
	v_ldexp_f32 v8, v11, v12
	v_cndmask_b32_e64 v11, v13, v15, s4
	v_cmp_nlt_f32_e64 s4, 0x42ce8ed0, v3
	v_add_f32_e32 v5, 0x402e1ebd, v5
	v_mul_f32_e32 v12, 0x37800000, v11
	v_cndmask_b32_e64 v8, 0, v8, s4
	v_cmp_ngt_f32_e64 s4, 0xc2b17218, v3
	v_sub_f32_e32 v5, v5, v9
	v_cndmask_b32_e64 v3, 0x7f800000, v8, s4
	v_cndmask_b32_e32 v8, v11, v12, vcc_lo
	v_mul_f32_e32 v5, 0.5, v5
	v_cmp_class_f32_e64 vcc_lo, v10, 0x260
	v_mul_f32_e32 v3, v3, v5
	v_cndmask_b32_e32 v8, v8, v10, vcc_lo
	v_div_scale_f32 v5, null, v8, v8, v3
	v_rcp_f32_e32 v9, v5
	v_fma_f32 v10, -v5, v9, 1.0
	v_fmac_f32_e32 v9, v10, v9
	v_div_scale_f32 v10, vcc_lo, v3, v8, v3
	v_mul_f32_e32 v11, v10, v9
	v_fma_f32 v12, -v5, v11, v10
	v_fmac_f32_e32 v11, v12, v9
	v_fma_f32 v5, -v5, v11, v10
	v_div_fmas_f32 v5, v5, v9, v11
	v_div_fixup_f32 v5, v5, v8, v3
.LBB15_25:
	s_or_b32 exec_lo, exec_lo, s15
.LBB15_26:
	s_or_b32 exec_lo, exec_lo, s14
.LBB15_27:
	s_or_b32 exec_lo, exec_lo, s5
	s_mov_b32 s5, exec_lo
	v_cmpx_neq_f32_e32 0, v4
	s_cbranch_execz .LBB15_35
; %bb.28:
	v_mov_b32_e32 v6, 0x7fc00000
	s_mov_b32 s14, exec_lo
	v_cmpx_ngt_f32_e32 0, v4
	s_cbranch_execz .LBB15_34
; %bb.29:
	s_mov_b32 s4, exec_lo
	v_cmpx_ge_f32_e32 2.0, v4
	s_xor_b32 s15, exec_lo, s4
	s_cbranch_execz .LBB15_31
; %bb.30:
	v_fma_f32 v3, v4, 0.5, -2.0
	s_mov_b32 s4, 0x224cf950
	v_fma_f32 v9, v4, v4, -2.0
	v_fmaak_f32 v6, s4, v3, 0xa3c2be86
	s_mov_b32 s4, 0xa3019142
	v_fmaak_f32 v10, s4, v9, 0xa72eea8c
	v_fmaak_f32 v8, v3, v6, 0xa24cf950
	;; [unrolled: 1-line block ×3, first 2 shown]
	v_add_f32_e32 v8, 0x25331f1f, v8
	v_add_f32_e32 v11, 0xab3ba817, v11
	v_fma_f32 v6, v3, v8, -v6
	v_fma_f32 v10, v9, v11, -v10
	v_add_f32_e32 v6, 0xa69f5554, v6
	v_add_f32_e32 v10, 0xaf1b31de, v10
	v_fma_f32 v8, v3, v6, -v8
	v_fma_f32 v11, v9, v10, -v11
	v_add_f32_e32 v8, 0x2808ebf8, v8
	v_add_f32_e32 v11, 0xb2be20e9, v11
	v_fma_f32 v6, v3, v8, -v6
	v_fma_f32 v10, v9, v11, -v10
	v_add_f32_e32 v6, 0xa9631471, v6
	v_add_f32_e32 v10, 0xb6234d99, v10
	v_fma_f32 v8, v3, v6, -v8
	v_fma_f32 v11, v9, v10, -v11
	v_add_f32_e32 v8, 0x2ab57bc2, v8
	v_add_f32_e32 v11, 0xb9356f17, v11
	v_fma_f32 v6, v3, v8, -v6
	v_fma_f32 v10, v9, v11, -v10
	v_add_f32_e32 v6, 0xac0b9c1b, v6
	v_add_f32_e32 v10, 0xbbe4949d, v10
	v_fma_f32 v8, v3, v6, -v8
	v_fma_f32 v11, v9, v10, -v11
	v_add_f32_e32 v8, 0x2d4e7716, v8
	v_add_f32_e32 v11, 0xbdfb1b92, v11
	v_fma_f32 v6, v3, v8, -v6
	v_fma_f32 v10, v9, v11, -v10
	v_add_f32_e32 v6, 0xae92881d, v6
	v_add_f32_e32 v10, 0xbeb4d0dc, v10
	v_fma_f32 v8, v3, v6, -v8
	v_fma_f32 v9, v9, v10, -v11
	v_mul_f32_e32 v10, 0.5, v4
	v_add_f32_e32 v8, 0x2fc751a6, v8
	v_add_f32_e32 v9, 0x3fc33d0a, v9
	v_cmp_gt_f32_e32 vcc_lo, 0x800000, v10
	v_fma_f32 v6, v3, v8, -v6
	v_sub_f32_e32 v9, v9, v11
	v_mul_f32_e32 v11, 0x3fb8aa3b, v4
	v_add_f32_e32 v6, 0xb101b0d9, v6
	v_cndmask_b32_e64 v12, 0, 32, vcc_lo
	v_cndmask_b32_e64 v17, 0, 0x41b17218, vcc_lo
	v_mul_f32_e32 v9, 0.5, v9
	v_rndne_f32_e32 v13, v11
	v_fma_f32 v8, v3, v6, -v8
	v_fma_f32 v15, 0x3fb8aa3b, v4, -v11
	v_ldexp_f32 v10, v10, v12
	v_div_scale_f32 v14, null, v4, v4, v9
	v_add_f32_e32 v8, 0x32212c70, v8
	v_sub_f32_e32 v11, v11, v13
	v_fmamk_f32 v15, v4, 0x32a5705f, v15
	v_rcp_f32_e32 v12, v14
	v_log_f32_e32 v10, v10
	v_fma_f32 v6, v3, v8, -v6
	v_div_scale_f32 v16, s4, v9, v4, v9
	v_add_f32_e32 v11, v11, v15
	v_cmp_ngt_f32_e32 vcc_lo, 0xc2ce8ed0, v4
	v_add_f32_e32 v6, 0xb33ee9f1, v6
	v_exp_f32_e32 v11, v11
	v_fma_f32 v15, -v14, v12, 1.0
	v_fma_f32 v8, v3, v6, -v8
	v_fmac_f32_e32 v12, v15, v12
	v_add_f32_e32 v8, 0x34571a26, v8
	v_mul_f32_e32 v15, 0x3f317217, v10
	v_fma_f32 v6, v3, v8, -v6
	v_fma_f32 v15, 0x3f317217, v10, -v15
	v_add_f32_e32 v6, 0xb56603cc, v6
	v_fmamk_f32 v15, v10, 0x3377d1cf, v15
	v_fma_f32 v8, v3, v6, -v8
	v_fmac_f32_e32 v15, 0x3f317217, v10
	v_add_f32_e32 v8, 0x3668e277, v8
	v_fma_f32 v6, v3, v8, -v6
	v_add_f32_e32 v6, 0xb75eafce, v6
	v_fma_f32 v8, v3, v6, -v8
	;; [unrolled: 2-line block ×12, first 2 shown]
	v_cvt_i32_f32_e32 v6, v13
	v_mul_f32_e32 v13, v16, v12
	v_add_f32_e32 v3, 0x3e81531c, v3
	v_ldexp_f32 v6, v11, v6
	v_fma_f32 v11, -v14, v13, v16
	v_sub_f32_e32 v3, v3, v8
	v_cndmask_b32_e32 v6, 0, v6, vcc_lo
	v_cmp_nlt_f32_e32 vcc_lo, 0x42b17218, v4
	v_fmac_f32_e32 v13, v11, v12
	v_mul_f32_e32 v3, 0.5, v3
	v_cndmask_b32_e32 v6, 0x7f800000, v6, vcc_lo
	v_cmp_gt_f32_e64 vcc_lo, 0x7f800000, |v10|
	v_fma_f32 v8, -v14, v13, v16
	v_mul_f32_e32 v3, v4, v3
	v_cndmask_b32_e32 v10, v10, v15, vcc_lo
	s_mov_b32 vcc_lo, s4
	v_mul_f32_e32 v3, v6, v3
	v_div_fmas_f32 v8, v8, v12, v13
	v_sub_f32_e32 v10, v10, v17
	v_div_fixup_f32 v6, v8, v4, v9
	v_fmac_f32_e32 v6, v10, v3
                                        ; implicit-def: $vgpr3_vgpr4
.LBB15_31:
	s_andn2_saveexec_b32 s15, s15
	s_cbranch_execz .LBB15_33
; %bb.32:
	v_div_scale_f32 v3, null, v4, v4, 0x41000000
	v_div_scale_f32 v9, vcc_lo, 0x41000000, v4, 0x41000000
	s_mov_b32 s4, 0xa2d462ea
	v_rcp_f32_e32 v6, v3
	v_fma_f32 v8, -v3, v6, 1.0
	v_fmac_f32_e32 v6, v8, v6
	v_mul_f32_e32 v8, v9, v6
	v_fma_f32 v10, -v3, v8, v9
	v_fmac_f32_e32 v8, v10, v6
	v_mul_f32_e32 v10, 0xbfb8aa3b, v4
	v_fma_f32 v3, -v3, v8, v9
	v_mul_f32_e32 v9, 0x4f800000, v4
	v_rndne_f32_e32 v11, v10
	v_fma_f32 v12, 0xbfb8aa3b, v4, -v10
	v_div_fmas_f32 v3, v3, v6, v8
	v_cmp_gt_f32_e32 vcc_lo, 0xf800000, v4
	v_sub_f32_e32 v10, v10, v11
	v_fmamk_f32 v12, v4, 0xb2a5705f, v12
	v_cvt_i32_f32_e32 v11, v11
	v_div_fixup_f32 v3, v3, v4, 0x41000000
	v_cndmask_b32_e32 v9, v4, v9, vcc_lo
	v_add_f32_e32 v10, v10, v12
	v_add_f32_e32 v3, -2.0, v3
	v_sqrt_f32_e32 v13, v9
	v_exp_f32_e32 v10, v10
	v_fmaak_f32 v6, s4, v3, 0x23a578d4
	v_fmaak_f32 v8, v3, v6, 0x22d462ea
	v_add_nc_u32_e32 v12, -1, v13
	v_add_nc_u32_e32 v14, 1, v13
	v_add_f32_e32 v8, 0xa48330a9, v8
	v_fma_f32 v15, -v12, v13, v9
	v_fma_f32 v16, -v14, v13, v9
	v_fma_f32 v6, v3, v8, -v6
	v_cmp_ge_f32_e64 s4, 0, v15
	v_add_f32_e32 v6, 0x2553eaf2, v6
	v_cndmask_b32_e64 v12, v13, v12, s4
	v_cmp_lt_f32_e64 s4, 0, v16
	v_fma_f32 v8, v3, v6, -v8
	v_add_f32_e32 v8, 0xa62e951f, v8
	v_fma_f32 v6, v3, v8, -v6
	v_add_f32_e32 v6, 0x2712e76f, v6
	;; [unrolled: 2-line block ×20, first 2 shown]
	v_fma_f32 v3, v3, v6, -v8
	v_ldexp_f32 v6, v10, v11
	v_cndmask_b32_e64 v10, v12, v14, s4
	v_cmp_nlt_f32_e64 s4, 0x42ce8ed0, v4
	v_add_f32_e32 v3, 0x402e1ebd, v3
	v_mul_f32_e32 v11, 0x37800000, v10
	v_cndmask_b32_e64 v6, 0, v6, s4
	v_cmp_ngt_f32_e64 s4, 0xc2b17218, v4
	v_sub_f32_e32 v3, v3, v8
	v_cndmask_b32_e64 v4, 0x7f800000, v6, s4
	v_cndmask_b32_e32 v6, v10, v11, vcc_lo
	v_mul_f32_e32 v3, 0.5, v3
	v_cmp_class_f32_e64 vcc_lo, v9, 0x260
	v_mul_f32_e32 v3, v4, v3
	v_cndmask_b32_e32 v6, v6, v9, vcc_lo
	v_div_scale_f32 v4, null, v6, v6, v3
	v_rcp_f32_e32 v8, v4
	v_fma_f32 v9, -v4, v8, 1.0
	v_fmac_f32_e32 v8, v9, v8
	v_div_scale_f32 v9, vcc_lo, v3, v6, v3
	v_mul_f32_e32 v10, v9, v8
	v_fma_f32 v11, -v4, v10, v9
	v_fmac_f32_e32 v10, v11, v8
	v_fma_f32 v4, -v4, v10, v9
	v_div_fmas_f32 v4, v4, v8, v10
	v_div_fixup_f32 v6, v4, v6, v3
.LBB15_33:
	s_or_b32 exec_lo, exec_lo, s15
.LBB15_34:
	s_or_b32 exec_lo, exec_lo, s14
.LBB15_35:
	s_or_b32 exec_lo, exec_lo, s5
	s_add_u32 s4, s8, s12
	s_addc_u32 s5, s9, s13
	v_add_co_u32 v3, s12, s4, v7
	v_add_co_ci_u32_e64 v4, null, s5, 0, s12
	global_store_dwordx2 v7, v[1:2], s[4:5]
	v_add_co_u32 v3, vcc_lo, 0x800, v3
	v_add_co_ci_u32_e64 v4, null, 0, v4, vcc_lo
	global_store_dwordx2 v[3:4], v[5:6], off
	s_branch .LBB15_2
.LBB15_36:
	v_mov_b32_e32 v31, v0
	v_mov_b32_e32 v0, s8
	;; [unrolled: 1-line block ×6, first 2 shown]
	s_getpc_b64 s[4:5]
	s_add_u32 s4, s4, _ZN2at6native25elementwise_kernel_helperILb0EZZZNS0_12_GLOBAL__N_130modified_bessel_k1_kernel_cudaERNS_18TensorIteratorBaseEENKUlvE_clEvENKUlvE0_clEvEUlfE_NS0_6memory8policies11unroll_baseILi256ESt5arrayIPcLm2EE23TrivialOffsetCalculatorILi1EjESF_NS8_15LoadWithoutCastENS8_16StoreWithoutCastELi4ELi1EEEEEvT0_T1_@rel32@lo+4
	s_addc_u32 s5, s5, _ZN2at6native25elementwise_kernel_helperILb0EZZZNS0_12_GLOBAL__N_130modified_bessel_k1_kernel_cudaERNS_18TensorIteratorBaseEENKUlvE_clEvENKUlvE0_clEvEUlfE_NS0_6memory8policies11unroll_baseILi256ESt5arrayIPcLm2EE23TrivialOffsetCalculatorILi1EjESF_NS8_15LoadWithoutCastENS8_16StoreWithoutCastELi4ELi1EEEEEvT0_T1_@rel32@hi+12
	s_mov_b32 s12, s6
	s_swappc_b64 s[30:31], s[4:5]
	s_endpgm
	.section	.rodata,"a",@progbits
	.p2align	6, 0x0
	.amdhsa_kernel _ZN2at6native29vectorized_elementwise_kernelILi2EZZZNS0_12_GLOBAL__N_130modified_bessel_k1_kernel_cudaERNS_18TensorIteratorBaseEENKUlvE_clEvENKUlvE0_clEvEUlfE_St5arrayIPcLm2EEEEviT0_T1_
		.amdhsa_group_segment_fixed_size 0
		.amdhsa_private_segment_fixed_size 0
		.amdhsa_kernarg_size 24
		.amdhsa_user_sgpr_count 6
		.amdhsa_user_sgpr_private_segment_buffer 1
		.amdhsa_user_sgpr_dispatch_ptr 0
		.amdhsa_user_sgpr_queue_ptr 0
		.amdhsa_user_sgpr_kernarg_segment_ptr 1
		.amdhsa_user_sgpr_dispatch_id 0
		.amdhsa_user_sgpr_flat_scratch_init 0
		.amdhsa_user_sgpr_private_segment_size 0
		.amdhsa_wavefront_size32 1
		.amdhsa_uses_dynamic_stack 0
		.amdhsa_system_sgpr_private_segment_wavefront_offset 0
		.amdhsa_system_sgpr_workgroup_id_x 1
		.amdhsa_system_sgpr_workgroup_id_y 0
		.amdhsa_system_sgpr_workgroup_id_z 0
		.amdhsa_system_sgpr_workgroup_info 0
		.amdhsa_system_vgpr_workitem_id 0
		.amdhsa_next_free_vgpr 32
		.amdhsa_next_free_sgpr 33
		.amdhsa_reserve_vcc 1
		.amdhsa_reserve_flat_scratch 0
		.amdhsa_float_round_mode_32 0
		.amdhsa_float_round_mode_16_64 0
		.amdhsa_float_denorm_mode_32 3
		.amdhsa_float_denorm_mode_16_64 3
		.amdhsa_dx10_clamp 1
		.amdhsa_ieee_mode 1
		.amdhsa_fp16_overflow 0
		.amdhsa_workgroup_processor_mode 1
		.amdhsa_memory_ordered 1
		.amdhsa_forward_progress 1
		.amdhsa_shared_vgpr_count 0
		.amdhsa_exception_fp_ieee_invalid_op 0
		.amdhsa_exception_fp_denorm_src 0
		.amdhsa_exception_fp_ieee_div_zero 0
		.amdhsa_exception_fp_ieee_overflow 0
		.amdhsa_exception_fp_ieee_underflow 0
		.amdhsa_exception_fp_ieee_inexact 0
		.amdhsa_exception_int_div_zero 0
	.end_amdhsa_kernel
	.section	.text._ZN2at6native29vectorized_elementwise_kernelILi2EZZZNS0_12_GLOBAL__N_130modified_bessel_k1_kernel_cudaERNS_18TensorIteratorBaseEENKUlvE_clEvENKUlvE0_clEvEUlfE_St5arrayIPcLm2EEEEviT0_T1_,"axG",@progbits,_ZN2at6native29vectorized_elementwise_kernelILi2EZZZNS0_12_GLOBAL__N_130modified_bessel_k1_kernel_cudaERNS_18TensorIteratorBaseEENKUlvE_clEvENKUlvE0_clEvEUlfE_St5arrayIPcLm2EEEEviT0_T1_,comdat
.Lfunc_end15:
	.size	_ZN2at6native29vectorized_elementwise_kernelILi2EZZZNS0_12_GLOBAL__N_130modified_bessel_k1_kernel_cudaERNS_18TensorIteratorBaseEENKUlvE_clEvENKUlvE0_clEvEUlfE_St5arrayIPcLm2EEEEviT0_T1_, .Lfunc_end15-_ZN2at6native29vectorized_elementwise_kernelILi2EZZZNS0_12_GLOBAL__N_130modified_bessel_k1_kernel_cudaERNS_18TensorIteratorBaseEENKUlvE_clEvENKUlvE0_clEvEUlfE_St5arrayIPcLm2EEEEviT0_T1_
                                        ; -- End function
	.set _ZN2at6native29vectorized_elementwise_kernelILi2EZZZNS0_12_GLOBAL__N_130modified_bessel_k1_kernel_cudaERNS_18TensorIteratorBaseEENKUlvE_clEvENKUlvE0_clEvEUlfE_St5arrayIPcLm2EEEEviT0_T1_.num_vgpr, max(32, .L_ZN2at6native25elementwise_kernel_helperILb0EZZZNS0_12_GLOBAL__N_130modified_bessel_k1_kernel_cudaERNS_18TensorIteratorBaseEENKUlvE_clEvENKUlvE0_clEvEUlfE_NS0_6memory8policies11unroll_baseILi256ESt5arrayIPcLm2EE23TrivialOffsetCalculatorILi1EjESF_NS8_15LoadWithoutCastENS8_16StoreWithoutCastELi4ELi1EEEEEvT0_T1_.num_vgpr)
	.set _ZN2at6native29vectorized_elementwise_kernelILi2EZZZNS0_12_GLOBAL__N_130modified_bessel_k1_kernel_cudaERNS_18TensorIteratorBaseEENKUlvE_clEvENKUlvE0_clEvEUlfE_St5arrayIPcLm2EEEEviT0_T1_.num_agpr, max(0, .L_ZN2at6native25elementwise_kernel_helperILb0EZZZNS0_12_GLOBAL__N_130modified_bessel_k1_kernel_cudaERNS_18TensorIteratorBaseEENKUlvE_clEvENKUlvE0_clEvEUlfE_NS0_6memory8policies11unroll_baseILi256ESt5arrayIPcLm2EE23TrivialOffsetCalculatorILi1EjESF_NS8_15LoadWithoutCastENS8_16StoreWithoutCastELi4ELi1EEEEEvT0_T1_.num_agpr)
	.set _ZN2at6native29vectorized_elementwise_kernelILi2EZZZNS0_12_GLOBAL__N_130modified_bessel_k1_kernel_cudaERNS_18TensorIteratorBaseEENKUlvE_clEvENKUlvE0_clEvEUlfE_St5arrayIPcLm2EEEEviT0_T1_.numbered_sgpr, max(33, .L_ZN2at6native25elementwise_kernel_helperILb0EZZZNS0_12_GLOBAL__N_130modified_bessel_k1_kernel_cudaERNS_18TensorIteratorBaseEENKUlvE_clEvENKUlvE0_clEvEUlfE_NS0_6memory8policies11unroll_baseILi256ESt5arrayIPcLm2EE23TrivialOffsetCalculatorILi1EjESF_NS8_15LoadWithoutCastENS8_16StoreWithoutCastELi4ELi1EEEEEvT0_T1_.numbered_sgpr)
	.set _ZN2at6native29vectorized_elementwise_kernelILi2EZZZNS0_12_GLOBAL__N_130modified_bessel_k1_kernel_cudaERNS_18TensorIteratorBaseEENKUlvE_clEvENKUlvE0_clEvEUlfE_St5arrayIPcLm2EEEEviT0_T1_.num_named_barrier, max(0, .L_ZN2at6native25elementwise_kernel_helperILb0EZZZNS0_12_GLOBAL__N_130modified_bessel_k1_kernel_cudaERNS_18TensorIteratorBaseEENKUlvE_clEvENKUlvE0_clEvEUlfE_NS0_6memory8policies11unroll_baseILi256ESt5arrayIPcLm2EE23TrivialOffsetCalculatorILi1EjESF_NS8_15LoadWithoutCastENS8_16StoreWithoutCastELi4ELi1EEEEEvT0_T1_.num_named_barrier)
	.set _ZN2at6native29vectorized_elementwise_kernelILi2EZZZNS0_12_GLOBAL__N_130modified_bessel_k1_kernel_cudaERNS_18TensorIteratorBaseEENKUlvE_clEvENKUlvE0_clEvEUlfE_St5arrayIPcLm2EEEEviT0_T1_.private_seg_size, 0+max(.L_ZN2at6native25elementwise_kernel_helperILb0EZZZNS0_12_GLOBAL__N_130modified_bessel_k1_kernel_cudaERNS_18TensorIteratorBaseEENKUlvE_clEvENKUlvE0_clEvEUlfE_NS0_6memory8policies11unroll_baseILi256ESt5arrayIPcLm2EE23TrivialOffsetCalculatorILi1EjESF_NS8_15LoadWithoutCastENS8_16StoreWithoutCastELi4ELi1EEEEEvT0_T1_.private_seg_size)
	.set _ZN2at6native29vectorized_elementwise_kernelILi2EZZZNS0_12_GLOBAL__N_130modified_bessel_k1_kernel_cudaERNS_18TensorIteratorBaseEENKUlvE_clEvENKUlvE0_clEvEUlfE_St5arrayIPcLm2EEEEviT0_T1_.uses_vcc, or(1, .L_ZN2at6native25elementwise_kernel_helperILb0EZZZNS0_12_GLOBAL__N_130modified_bessel_k1_kernel_cudaERNS_18TensorIteratorBaseEENKUlvE_clEvENKUlvE0_clEvEUlfE_NS0_6memory8policies11unroll_baseILi256ESt5arrayIPcLm2EE23TrivialOffsetCalculatorILi1EjESF_NS8_15LoadWithoutCastENS8_16StoreWithoutCastELi4ELi1EEEEEvT0_T1_.uses_vcc)
	.set _ZN2at6native29vectorized_elementwise_kernelILi2EZZZNS0_12_GLOBAL__N_130modified_bessel_k1_kernel_cudaERNS_18TensorIteratorBaseEENKUlvE_clEvENKUlvE0_clEvEUlfE_St5arrayIPcLm2EEEEviT0_T1_.uses_flat_scratch, or(0, .L_ZN2at6native25elementwise_kernel_helperILb0EZZZNS0_12_GLOBAL__N_130modified_bessel_k1_kernel_cudaERNS_18TensorIteratorBaseEENKUlvE_clEvENKUlvE0_clEvEUlfE_NS0_6memory8policies11unroll_baseILi256ESt5arrayIPcLm2EE23TrivialOffsetCalculatorILi1EjESF_NS8_15LoadWithoutCastENS8_16StoreWithoutCastELi4ELi1EEEEEvT0_T1_.uses_flat_scratch)
	.set _ZN2at6native29vectorized_elementwise_kernelILi2EZZZNS0_12_GLOBAL__N_130modified_bessel_k1_kernel_cudaERNS_18TensorIteratorBaseEENKUlvE_clEvENKUlvE0_clEvEUlfE_St5arrayIPcLm2EEEEviT0_T1_.has_dyn_sized_stack, or(0, .L_ZN2at6native25elementwise_kernel_helperILb0EZZZNS0_12_GLOBAL__N_130modified_bessel_k1_kernel_cudaERNS_18TensorIteratorBaseEENKUlvE_clEvENKUlvE0_clEvEUlfE_NS0_6memory8policies11unroll_baseILi256ESt5arrayIPcLm2EE23TrivialOffsetCalculatorILi1EjESF_NS8_15LoadWithoutCastENS8_16StoreWithoutCastELi4ELi1EEEEEvT0_T1_.has_dyn_sized_stack)
	.set _ZN2at6native29vectorized_elementwise_kernelILi2EZZZNS0_12_GLOBAL__N_130modified_bessel_k1_kernel_cudaERNS_18TensorIteratorBaseEENKUlvE_clEvENKUlvE0_clEvEUlfE_St5arrayIPcLm2EEEEviT0_T1_.has_recursion, or(0, .L_ZN2at6native25elementwise_kernel_helperILb0EZZZNS0_12_GLOBAL__N_130modified_bessel_k1_kernel_cudaERNS_18TensorIteratorBaseEENKUlvE_clEvENKUlvE0_clEvEUlfE_NS0_6memory8policies11unroll_baseILi256ESt5arrayIPcLm2EE23TrivialOffsetCalculatorILi1EjESF_NS8_15LoadWithoutCastENS8_16StoreWithoutCastELi4ELi1EEEEEvT0_T1_.has_recursion)
	.set _ZN2at6native29vectorized_elementwise_kernelILi2EZZZNS0_12_GLOBAL__N_130modified_bessel_k1_kernel_cudaERNS_18TensorIteratorBaseEENKUlvE_clEvENKUlvE0_clEvEUlfE_St5arrayIPcLm2EEEEviT0_T1_.has_indirect_call, or(0, .L_ZN2at6native25elementwise_kernel_helperILb0EZZZNS0_12_GLOBAL__N_130modified_bessel_k1_kernel_cudaERNS_18TensorIteratorBaseEENKUlvE_clEvENKUlvE0_clEvEUlfE_NS0_6memory8policies11unroll_baseILi256ESt5arrayIPcLm2EE23TrivialOffsetCalculatorILi1EjESF_NS8_15LoadWithoutCastENS8_16StoreWithoutCastELi4ELi1EEEEEvT0_T1_.has_indirect_call)
	.section	.AMDGPU.csdata,"",@progbits
; Kernel info:
; codeLenInByte = 7276
; TotalNumSgprs: 35
; NumVgprs: 32
; ScratchSize: 0
; MemoryBound: 0
; FloatMode: 240
; IeeeMode: 1
; LDSByteSize: 0 bytes/workgroup (compile time only)
; SGPRBlocks: 0
; VGPRBlocks: 3
; NumSGPRsForWavesPerEU: 35
; NumVGPRsForWavesPerEU: 32
; Occupancy: 16
; WaveLimiterHint : 1
; COMPUTE_PGM_RSRC2:SCRATCH_EN: 0
; COMPUTE_PGM_RSRC2:USER_SGPR: 6
; COMPUTE_PGM_RSRC2:TRAP_HANDLER: 0
; COMPUTE_PGM_RSRC2:TGID_X_EN: 1
; COMPUTE_PGM_RSRC2:TGID_Y_EN: 0
; COMPUTE_PGM_RSRC2:TGID_Z_EN: 0
; COMPUTE_PGM_RSRC2:TIDIG_COMP_CNT: 0
	.section	.text._ZN2at6native27unrolled_elementwise_kernelIZZZNS0_12_GLOBAL__N_130modified_bessel_k1_kernel_cudaERNS_18TensorIteratorBaseEENKUlvE_clEvENKUlvE0_clEvEUlfE_St5arrayIPcLm2EELi4E23TrivialOffsetCalculatorILi1EjESC_NS0_6memory15LoadWithoutCastENSD_16StoreWithoutCastEEEviT_T0_T2_T3_T4_T5_,"axG",@progbits,_ZN2at6native27unrolled_elementwise_kernelIZZZNS0_12_GLOBAL__N_130modified_bessel_k1_kernel_cudaERNS_18TensorIteratorBaseEENKUlvE_clEvENKUlvE0_clEvEUlfE_St5arrayIPcLm2EELi4E23TrivialOffsetCalculatorILi1EjESC_NS0_6memory15LoadWithoutCastENSD_16StoreWithoutCastEEEviT_T0_T2_T3_T4_T5_,comdat
	.globl	_ZN2at6native27unrolled_elementwise_kernelIZZZNS0_12_GLOBAL__N_130modified_bessel_k1_kernel_cudaERNS_18TensorIteratorBaseEENKUlvE_clEvENKUlvE0_clEvEUlfE_St5arrayIPcLm2EELi4E23TrivialOffsetCalculatorILi1EjESC_NS0_6memory15LoadWithoutCastENSD_16StoreWithoutCastEEEviT_T0_T2_T3_T4_T5_ ; -- Begin function _ZN2at6native27unrolled_elementwise_kernelIZZZNS0_12_GLOBAL__N_130modified_bessel_k1_kernel_cudaERNS_18TensorIteratorBaseEENKUlvE_clEvENKUlvE0_clEvEUlfE_St5arrayIPcLm2EELi4E23TrivialOffsetCalculatorILi1EjESC_NS0_6memory15LoadWithoutCastENSD_16StoreWithoutCastEEEviT_T0_T2_T3_T4_T5_
	.p2align	8
	.type	_ZN2at6native27unrolled_elementwise_kernelIZZZNS0_12_GLOBAL__N_130modified_bessel_k1_kernel_cudaERNS_18TensorIteratorBaseEENKUlvE_clEvENKUlvE0_clEvEUlfE_St5arrayIPcLm2EELi4E23TrivialOffsetCalculatorILi1EjESC_NS0_6memory15LoadWithoutCastENSD_16StoreWithoutCastEEEviT_T0_T2_T3_T4_T5_,@function
_ZN2at6native27unrolled_elementwise_kernelIZZZNS0_12_GLOBAL__N_130modified_bessel_k1_kernel_cudaERNS_18TensorIteratorBaseEENKUlvE_clEvENKUlvE0_clEvEUlfE_St5arrayIPcLm2EELi4E23TrivialOffsetCalculatorILi1EjESC_NS0_6memory15LoadWithoutCastENSD_16StoreWithoutCastEEEviT_T0_T2_T3_T4_T5_: ; @_ZN2at6native27unrolled_elementwise_kernelIZZZNS0_12_GLOBAL__N_130modified_bessel_k1_kernel_cudaERNS_18TensorIteratorBaseEENKUlvE_clEvENKUlvE0_clEvEUlfE_St5arrayIPcLm2EELi4E23TrivialOffsetCalculatorILi1EjESC_NS0_6memory15LoadWithoutCastENSD_16StoreWithoutCastEEEviT_T0_T2_T3_T4_T5_
; %bb.0:
	s_add_u32 s0, s0, s7
	s_clause 0x1
	s_load_dword s7, s[4:5], 0x0
	s_load_dwordx4 s[8:11], s[4:5], 0x8
	s_addc_u32 s1, s1, 0
	s_lshl_b32 s12, s6, 10
	s_getpc_b64 s[4:5]
	s_add_u32 s4, s4, _ZN2at6native25elementwise_kernel_helperILb0EZZZNS0_12_GLOBAL__N_130modified_bessel_k1_kernel_cudaERNS_18TensorIteratorBaseEENKUlvE_clEvENKUlvE0_clEvEUlfE_NS0_6memory8policies11unroll_baseILi256ESt5arrayIPcLm2EE23TrivialOffsetCalculatorILi1EjESF_NS8_15LoadWithoutCastENS8_16StoreWithoutCastELi4ELi1EEEEEvT0_T1_@rel32@lo+4
	s_addc_u32 s5, s5, _ZN2at6native25elementwise_kernel_helperILb0EZZZNS0_12_GLOBAL__N_130modified_bessel_k1_kernel_cudaERNS_18TensorIteratorBaseEENKUlvE_clEvENKUlvE0_clEvEUlfE_NS0_6memory8policies11unroll_baseILi256ESt5arrayIPcLm2EE23TrivialOffsetCalculatorILi1EjESF_NS8_15LoadWithoutCastENS8_16StoreWithoutCastELi4ELi1EEEEEvT0_T1_@rel32@hi+12
	v_mov_b32_e32 v31, v0
	s_mov_b32 s32, 0
	s_waitcnt lgkmcnt(0)
	s_sub_i32 s7, s7, s12
	v_mov_b32_e32 v0, s8
	v_mov_b32_e32 v1, s9
	;; [unrolled: 1-line block ×5, first 2 shown]
	s_mov_b32 s12, s6
	s_swappc_b64 s[30:31], s[4:5]
	s_endpgm
	.section	.rodata,"a",@progbits
	.p2align	6, 0x0
	.amdhsa_kernel _ZN2at6native27unrolled_elementwise_kernelIZZZNS0_12_GLOBAL__N_130modified_bessel_k1_kernel_cudaERNS_18TensorIteratorBaseEENKUlvE_clEvENKUlvE0_clEvEUlfE_St5arrayIPcLm2EELi4E23TrivialOffsetCalculatorILi1EjESC_NS0_6memory15LoadWithoutCastENSD_16StoreWithoutCastEEEviT_T0_T2_T3_T4_T5_
		.amdhsa_group_segment_fixed_size 0
		.amdhsa_private_segment_fixed_size 0
		.amdhsa_kernarg_size 28
		.amdhsa_user_sgpr_count 6
		.amdhsa_user_sgpr_private_segment_buffer 1
		.amdhsa_user_sgpr_dispatch_ptr 0
		.amdhsa_user_sgpr_queue_ptr 0
		.amdhsa_user_sgpr_kernarg_segment_ptr 1
		.amdhsa_user_sgpr_dispatch_id 0
		.amdhsa_user_sgpr_flat_scratch_init 0
		.amdhsa_user_sgpr_private_segment_size 0
		.amdhsa_wavefront_size32 1
		.amdhsa_uses_dynamic_stack 0
		.amdhsa_system_sgpr_private_segment_wavefront_offset 0
		.amdhsa_system_sgpr_workgroup_id_x 1
		.amdhsa_system_sgpr_workgroup_id_y 0
		.amdhsa_system_sgpr_workgroup_id_z 0
		.amdhsa_system_sgpr_workgroup_info 0
		.amdhsa_system_vgpr_workitem_id 0
		.amdhsa_next_free_vgpr 32
		.amdhsa_next_free_sgpr 33
		.amdhsa_reserve_vcc 1
		.amdhsa_reserve_flat_scratch 0
		.amdhsa_float_round_mode_32 0
		.amdhsa_float_round_mode_16_64 0
		.amdhsa_float_denorm_mode_32 3
		.amdhsa_float_denorm_mode_16_64 3
		.amdhsa_dx10_clamp 1
		.amdhsa_ieee_mode 1
		.amdhsa_fp16_overflow 0
		.amdhsa_workgroup_processor_mode 1
		.amdhsa_memory_ordered 1
		.amdhsa_forward_progress 1
		.amdhsa_shared_vgpr_count 0
		.amdhsa_exception_fp_ieee_invalid_op 0
		.amdhsa_exception_fp_denorm_src 0
		.amdhsa_exception_fp_ieee_div_zero 0
		.amdhsa_exception_fp_ieee_overflow 0
		.amdhsa_exception_fp_ieee_underflow 0
		.amdhsa_exception_fp_ieee_inexact 0
		.amdhsa_exception_int_div_zero 0
	.end_amdhsa_kernel
	.section	.text._ZN2at6native27unrolled_elementwise_kernelIZZZNS0_12_GLOBAL__N_130modified_bessel_k1_kernel_cudaERNS_18TensorIteratorBaseEENKUlvE_clEvENKUlvE0_clEvEUlfE_St5arrayIPcLm2EELi4E23TrivialOffsetCalculatorILi1EjESC_NS0_6memory15LoadWithoutCastENSD_16StoreWithoutCastEEEviT_T0_T2_T3_T4_T5_,"axG",@progbits,_ZN2at6native27unrolled_elementwise_kernelIZZZNS0_12_GLOBAL__N_130modified_bessel_k1_kernel_cudaERNS_18TensorIteratorBaseEENKUlvE_clEvENKUlvE0_clEvEUlfE_St5arrayIPcLm2EELi4E23TrivialOffsetCalculatorILi1EjESC_NS0_6memory15LoadWithoutCastENSD_16StoreWithoutCastEEEviT_T0_T2_T3_T4_T5_,comdat
.Lfunc_end16:
	.size	_ZN2at6native27unrolled_elementwise_kernelIZZZNS0_12_GLOBAL__N_130modified_bessel_k1_kernel_cudaERNS_18TensorIteratorBaseEENKUlvE_clEvENKUlvE0_clEvEUlfE_St5arrayIPcLm2EELi4E23TrivialOffsetCalculatorILi1EjESC_NS0_6memory15LoadWithoutCastENSD_16StoreWithoutCastEEEviT_T0_T2_T3_T4_T5_, .Lfunc_end16-_ZN2at6native27unrolled_elementwise_kernelIZZZNS0_12_GLOBAL__N_130modified_bessel_k1_kernel_cudaERNS_18TensorIteratorBaseEENKUlvE_clEvENKUlvE0_clEvEUlfE_St5arrayIPcLm2EELi4E23TrivialOffsetCalculatorILi1EjESC_NS0_6memory15LoadWithoutCastENSD_16StoreWithoutCastEEEviT_T0_T2_T3_T4_T5_
                                        ; -- End function
	.set _ZN2at6native27unrolled_elementwise_kernelIZZZNS0_12_GLOBAL__N_130modified_bessel_k1_kernel_cudaERNS_18TensorIteratorBaseEENKUlvE_clEvENKUlvE0_clEvEUlfE_St5arrayIPcLm2EELi4E23TrivialOffsetCalculatorILi1EjESC_NS0_6memory15LoadWithoutCastENSD_16StoreWithoutCastEEEviT_T0_T2_T3_T4_T5_.num_vgpr, max(32, .L_ZN2at6native25elementwise_kernel_helperILb0EZZZNS0_12_GLOBAL__N_130modified_bessel_k1_kernel_cudaERNS_18TensorIteratorBaseEENKUlvE_clEvENKUlvE0_clEvEUlfE_NS0_6memory8policies11unroll_baseILi256ESt5arrayIPcLm2EE23TrivialOffsetCalculatorILi1EjESF_NS8_15LoadWithoutCastENS8_16StoreWithoutCastELi4ELi1EEEEEvT0_T1_.num_vgpr)
	.set _ZN2at6native27unrolled_elementwise_kernelIZZZNS0_12_GLOBAL__N_130modified_bessel_k1_kernel_cudaERNS_18TensorIteratorBaseEENKUlvE_clEvENKUlvE0_clEvEUlfE_St5arrayIPcLm2EELi4E23TrivialOffsetCalculatorILi1EjESC_NS0_6memory15LoadWithoutCastENSD_16StoreWithoutCastEEEviT_T0_T2_T3_T4_T5_.num_agpr, max(0, .L_ZN2at6native25elementwise_kernel_helperILb0EZZZNS0_12_GLOBAL__N_130modified_bessel_k1_kernel_cudaERNS_18TensorIteratorBaseEENKUlvE_clEvENKUlvE0_clEvEUlfE_NS0_6memory8policies11unroll_baseILi256ESt5arrayIPcLm2EE23TrivialOffsetCalculatorILi1EjESF_NS8_15LoadWithoutCastENS8_16StoreWithoutCastELi4ELi1EEEEEvT0_T1_.num_agpr)
	.set _ZN2at6native27unrolled_elementwise_kernelIZZZNS0_12_GLOBAL__N_130modified_bessel_k1_kernel_cudaERNS_18TensorIteratorBaseEENKUlvE_clEvENKUlvE0_clEvEUlfE_St5arrayIPcLm2EELi4E23TrivialOffsetCalculatorILi1EjESC_NS0_6memory15LoadWithoutCastENSD_16StoreWithoutCastEEEviT_T0_T2_T3_T4_T5_.numbered_sgpr, max(33, .L_ZN2at6native25elementwise_kernel_helperILb0EZZZNS0_12_GLOBAL__N_130modified_bessel_k1_kernel_cudaERNS_18TensorIteratorBaseEENKUlvE_clEvENKUlvE0_clEvEUlfE_NS0_6memory8policies11unroll_baseILi256ESt5arrayIPcLm2EE23TrivialOffsetCalculatorILi1EjESF_NS8_15LoadWithoutCastENS8_16StoreWithoutCastELi4ELi1EEEEEvT0_T1_.numbered_sgpr)
	.set _ZN2at6native27unrolled_elementwise_kernelIZZZNS0_12_GLOBAL__N_130modified_bessel_k1_kernel_cudaERNS_18TensorIteratorBaseEENKUlvE_clEvENKUlvE0_clEvEUlfE_St5arrayIPcLm2EELi4E23TrivialOffsetCalculatorILi1EjESC_NS0_6memory15LoadWithoutCastENSD_16StoreWithoutCastEEEviT_T0_T2_T3_T4_T5_.num_named_barrier, max(0, .L_ZN2at6native25elementwise_kernel_helperILb0EZZZNS0_12_GLOBAL__N_130modified_bessel_k1_kernel_cudaERNS_18TensorIteratorBaseEENKUlvE_clEvENKUlvE0_clEvEUlfE_NS0_6memory8policies11unroll_baseILi256ESt5arrayIPcLm2EE23TrivialOffsetCalculatorILi1EjESF_NS8_15LoadWithoutCastENS8_16StoreWithoutCastELi4ELi1EEEEEvT0_T1_.num_named_barrier)
	.set _ZN2at6native27unrolled_elementwise_kernelIZZZNS0_12_GLOBAL__N_130modified_bessel_k1_kernel_cudaERNS_18TensorIteratorBaseEENKUlvE_clEvENKUlvE0_clEvEUlfE_St5arrayIPcLm2EELi4E23TrivialOffsetCalculatorILi1EjESC_NS0_6memory15LoadWithoutCastENSD_16StoreWithoutCastEEEviT_T0_T2_T3_T4_T5_.private_seg_size, 0+max(.L_ZN2at6native25elementwise_kernel_helperILb0EZZZNS0_12_GLOBAL__N_130modified_bessel_k1_kernel_cudaERNS_18TensorIteratorBaseEENKUlvE_clEvENKUlvE0_clEvEUlfE_NS0_6memory8policies11unroll_baseILi256ESt5arrayIPcLm2EE23TrivialOffsetCalculatorILi1EjESF_NS8_15LoadWithoutCastENS8_16StoreWithoutCastELi4ELi1EEEEEvT0_T1_.private_seg_size)
	.set _ZN2at6native27unrolled_elementwise_kernelIZZZNS0_12_GLOBAL__N_130modified_bessel_k1_kernel_cudaERNS_18TensorIteratorBaseEENKUlvE_clEvENKUlvE0_clEvEUlfE_St5arrayIPcLm2EELi4E23TrivialOffsetCalculatorILi1EjESC_NS0_6memory15LoadWithoutCastENSD_16StoreWithoutCastEEEviT_T0_T2_T3_T4_T5_.uses_vcc, or(1, .L_ZN2at6native25elementwise_kernel_helperILb0EZZZNS0_12_GLOBAL__N_130modified_bessel_k1_kernel_cudaERNS_18TensorIteratorBaseEENKUlvE_clEvENKUlvE0_clEvEUlfE_NS0_6memory8policies11unroll_baseILi256ESt5arrayIPcLm2EE23TrivialOffsetCalculatorILi1EjESF_NS8_15LoadWithoutCastENS8_16StoreWithoutCastELi4ELi1EEEEEvT0_T1_.uses_vcc)
	.set _ZN2at6native27unrolled_elementwise_kernelIZZZNS0_12_GLOBAL__N_130modified_bessel_k1_kernel_cudaERNS_18TensorIteratorBaseEENKUlvE_clEvENKUlvE0_clEvEUlfE_St5arrayIPcLm2EELi4E23TrivialOffsetCalculatorILi1EjESC_NS0_6memory15LoadWithoutCastENSD_16StoreWithoutCastEEEviT_T0_T2_T3_T4_T5_.uses_flat_scratch, or(0, .L_ZN2at6native25elementwise_kernel_helperILb0EZZZNS0_12_GLOBAL__N_130modified_bessel_k1_kernel_cudaERNS_18TensorIteratorBaseEENKUlvE_clEvENKUlvE0_clEvEUlfE_NS0_6memory8policies11unroll_baseILi256ESt5arrayIPcLm2EE23TrivialOffsetCalculatorILi1EjESF_NS8_15LoadWithoutCastENS8_16StoreWithoutCastELi4ELi1EEEEEvT0_T1_.uses_flat_scratch)
	.set _ZN2at6native27unrolled_elementwise_kernelIZZZNS0_12_GLOBAL__N_130modified_bessel_k1_kernel_cudaERNS_18TensorIteratorBaseEENKUlvE_clEvENKUlvE0_clEvEUlfE_St5arrayIPcLm2EELi4E23TrivialOffsetCalculatorILi1EjESC_NS0_6memory15LoadWithoutCastENSD_16StoreWithoutCastEEEviT_T0_T2_T3_T4_T5_.has_dyn_sized_stack, or(0, .L_ZN2at6native25elementwise_kernel_helperILb0EZZZNS0_12_GLOBAL__N_130modified_bessel_k1_kernel_cudaERNS_18TensorIteratorBaseEENKUlvE_clEvENKUlvE0_clEvEUlfE_NS0_6memory8policies11unroll_baseILi256ESt5arrayIPcLm2EE23TrivialOffsetCalculatorILi1EjESF_NS8_15LoadWithoutCastENS8_16StoreWithoutCastELi4ELi1EEEEEvT0_T1_.has_dyn_sized_stack)
	.set _ZN2at6native27unrolled_elementwise_kernelIZZZNS0_12_GLOBAL__N_130modified_bessel_k1_kernel_cudaERNS_18TensorIteratorBaseEENKUlvE_clEvENKUlvE0_clEvEUlfE_St5arrayIPcLm2EELi4E23TrivialOffsetCalculatorILi1EjESC_NS0_6memory15LoadWithoutCastENSD_16StoreWithoutCastEEEviT_T0_T2_T3_T4_T5_.has_recursion, or(0, .L_ZN2at6native25elementwise_kernel_helperILb0EZZZNS0_12_GLOBAL__N_130modified_bessel_k1_kernel_cudaERNS_18TensorIteratorBaseEENKUlvE_clEvENKUlvE0_clEvEUlfE_NS0_6memory8policies11unroll_baseILi256ESt5arrayIPcLm2EE23TrivialOffsetCalculatorILi1EjESF_NS8_15LoadWithoutCastENS8_16StoreWithoutCastELi4ELi1EEEEEvT0_T1_.has_recursion)
	.set _ZN2at6native27unrolled_elementwise_kernelIZZZNS0_12_GLOBAL__N_130modified_bessel_k1_kernel_cudaERNS_18TensorIteratorBaseEENKUlvE_clEvENKUlvE0_clEvEUlfE_St5arrayIPcLm2EELi4E23TrivialOffsetCalculatorILi1EjESC_NS0_6memory15LoadWithoutCastENSD_16StoreWithoutCastEEEviT_T0_T2_T3_T4_T5_.has_indirect_call, or(0, .L_ZN2at6native25elementwise_kernel_helperILb0EZZZNS0_12_GLOBAL__N_130modified_bessel_k1_kernel_cudaERNS_18TensorIteratorBaseEENKUlvE_clEvENKUlvE0_clEvEUlfE_NS0_6memory8policies11unroll_baseILi256ESt5arrayIPcLm2EE23TrivialOffsetCalculatorILi1EjESF_NS8_15LoadWithoutCastENS8_16StoreWithoutCastELi4ELi1EEEEEvT0_T1_.has_indirect_call)
	.section	.AMDGPU.csdata,"",@progbits
; Kernel info:
; codeLenInByte = 100
; TotalNumSgprs: 35
; NumVgprs: 32
; ScratchSize: 0
; MemoryBound: 0
; FloatMode: 240
; IeeeMode: 1
; LDSByteSize: 0 bytes/workgroup (compile time only)
; SGPRBlocks: 0
; VGPRBlocks: 3
; NumSGPRsForWavesPerEU: 35
; NumVGPRsForWavesPerEU: 32
; Occupancy: 16
; WaveLimiterHint : 0
; COMPUTE_PGM_RSRC2:SCRATCH_EN: 0
; COMPUTE_PGM_RSRC2:USER_SGPR: 6
; COMPUTE_PGM_RSRC2:TRAP_HANDLER: 0
; COMPUTE_PGM_RSRC2:TGID_X_EN: 1
; COMPUTE_PGM_RSRC2:TGID_Y_EN: 0
; COMPUTE_PGM_RSRC2:TGID_Z_EN: 0
; COMPUTE_PGM_RSRC2:TIDIG_COMP_CNT: 0
	.section	.text._ZN2at6native32elementwise_kernel_manual_unrollILi128ELi4EZNS0_22gpu_kernel_impl_nocastIZZZNS0_12_GLOBAL__N_130modified_bessel_k1_kernel_cudaERNS_18TensorIteratorBaseEENKUlvE_clEvENKUlvE0_clEvEUlfE_EEvS5_RKT_EUlibE_EEviT1_,"axG",@progbits,_ZN2at6native32elementwise_kernel_manual_unrollILi128ELi4EZNS0_22gpu_kernel_impl_nocastIZZZNS0_12_GLOBAL__N_130modified_bessel_k1_kernel_cudaERNS_18TensorIteratorBaseEENKUlvE_clEvENKUlvE0_clEvEUlfE_EEvS5_RKT_EUlibE_EEviT1_,comdat
	.globl	_ZN2at6native32elementwise_kernel_manual_unrollILi128ELi4EZNS0_22gpu_kernel_impl_nocastIZZZNS0_12_GLOBAL__N_130modified_bessel_k1_kernel_cudaERNS_18TensorIteratorBaseEENKUlvE_clEvENKUlvE0_clEvEUlfE_EEvS5_RKT_EUlibE_EEviT1_ ; -- Begin function _ZN2at6native32elementwise_kernel_manual_unrollILi128ELi4EZNS0_22gpu_kernel_impl_nocastIZZZNS0_12_GLOBAL__N_130modified_bessel_k1_kernel_cudaERNS_18TensorIteratorBaseEENKUlvE_clEvENKUlvE0_clEvEUlfE_EEvS5_RKT_EUlibE_EEviT1_
	.p2align	8
	.type	_ZN2at6native32elementwise_kernel_manual_unrollILi128ELi4EZNS0_22gpu_kernel_impl_nocastIZZZNS0_12_GLOBAL__N_130modified_bessel_k1_kernel_cudaERNS_18TensorIteratorBaseEENKUlvE_clEvENKUlvE0_clEvEUlfE_EEvS5_RKT_EUlibE_EEviT1_,@function
_ZN2at6native32elementwise_kernel_manual_unrollILi128ELi4EZNS0_22gpu_kernel_impl_nocastIZZZNS0_12_GLOBAL__N_130modified_bessel_k1_kernel_cudaERNS_18TensorIteratorBaseEENKUlvE_clEvENKUlvE0_clEvEUlfE_EEvS5_RKT_EUlibE_EEviT1_: ; @_ZN2at6native32elementwise_kernel_manual_unrollILi128ELi4EZNS0_22gpu_kernel_impl_nocastIZZZNS0_12_GLOBAL__N_130modified_bessel_k1_kernel_cudaERNS_18TensorIteratorBaseEENKUlvE_clEvENKUlvE0_clEvEUlfE_EEvS5_RKT_EUlibE_EEviT1_
; %bb.0:
	s_clause 0x1
	s_load_dword s22, s[4:5], 0x8
	s_load_dword s27, s[4:5], 0x0
	v_lshl_or_b32 v4, s6, 9, v0
	s_add_u32 s2, s4, 8
	s_addc_u32 s3, s5, 0
	s_mov_b32 s0, exec_lo
	v_or_b32_e32 v13, 0x180, v4
	s_waitcnt lgkmcnt(0)
	s_add_i32 s23, s22, -1
	s_cmp_gt_u32 s23, 1
	s_cselect_b32 s24, -1, 0
	v_cmpx_le_i32_e64 s27, v13
	s_xor_b32 s25, exec_lo, s0
	s_cbranch_execz .LBB17_7
; %bb.1:
	s_clause 0x3
	s_load_dwordx4 s[12:15], s[2:3], 0x4
	s_load_dwordx2 s[16:17], s[2:3], 0x14
	s_load_dwordx4 s[8:11], s[2:3], 0xc4
	s_load_dwordx4 s[4:7], s[2:3], 0x148
	s_cmp_lg_u32 s22, 0
	s_mov_b32 s30, exec_lo
	s_cselect_b32 s29, -1, 0
	s_add_u32 s18, s2, 0xc4
	s_addc_u32 s19, s3, 0
	s_min_u32 s28, s23, 15
	s_cmp_gt_u32 s22, 1
	s_cselect_b32 s26, -1, 0
	v_cmpx_gt_i32_e64 s27, v4
	s_cbranch_execz .LBB17_14
; %bb.2:
	s_andn2_b32 vcc_lo, exec_lo, s24
	s_cbranch_vccnz .LBB17_21
; %bb.3:
	s_andn2_b32 vcc_lo, exec_lo, s29
	s_cbranch_vccnz .LBB17_105
; %bb.4:
	s_add_i32 s33, s28, 1
	s_cmp_eq_u32 s23, 2
	s_cbranch_scc1 .LBB17_107
; %bb.5:
	v_mov_b32_e32 v2, 0
	v_mov_b32_e32 v0, 0
	;; [unrolled: 1-line block ×3, first 2 shown]
	s_and_b32 s31, s33, 28
	s_mov_b32 s34, 0
	s_mov_b64 s[0:1], s[2:3]
	s_mov_b64 s[20:21], s[18:19]
.LBB17_6:                               ; =>This Inner Loop Header: Depth=1
	s_clause 0x1
	s_load_dwordx8 s[36:43], s[0:1], 0x4
	s_load_dwordx4 s[52:55], s[0:1], 0x24
	s_load_dwordx8 s[44:51], s[20:21], 0x0
	s_add_u32 s0, s0, 48
	s_addc_u32 s1, s1, 0
	s_add_i32 s34, s34, 4
	s_add_u32 s20, s20, 32
	s_addc_u32 s21, s21, 0
	s_cmp_lg_u32 s31, s34
	s_waitcnt lgkmcnt(0)
	v_mul_hi_u32 v3, s37, v1
	v_add_nc_u32_e32 v3, v1, v3
	v_lshrrev_b32_e32 v3, s38, v3
	v_mul_hi_u32 v5, s40, v3
	v_mul_lo_u32 v7, v3, s36
	v_add_nc_u32_e32 v5, v3, v5
	v_sub_nc_u32_e32 v1, v1, v7
	v_lshrrev_b32_e32 v5, s41, v5
	v_mul_lo_u32 v7, v1, s44
	v_mul_lo_u32 v9, v1, s45
	v_mul_hi_u32 v6, s43, v5
	v_add_nc_u32_e32 v6, v5, v6
	v_lshrrev_b32_e32 v6, s52, v6
	v_mul_hi_u32 v8, s54, v6
	v_mul_lo_u32 v10, v6, s42
	v_add_nc_u32_e32 v1, v6, v8
	v_mul_lo_u32 v8, v5, s39
	v_sub_nc_u32_e32 v5, v5, v10
	v_lshrrev_b32_e32 v1, s55, v1
	v_mul_lo_u32 v10, v5, s48
	v_mul_lo_u32 v5, v5, s49
	v_sub_nc_u32_e32 v3, v3, v8
	v_mul_lo_u32 v11, v1, s53
	v_mul_lo_u32 v8, v3, s46
	;; [unrolled: 1-line block ×3, first 2 shown]
	v_sub_nc_u32_e32 v6, v6, v11
	v_add3_u32 v0, v7, v0, v8
	v_mul_lo_u32 v11, v6, s50
	v_mul_lo_u32 v6, v6, s51
	v_add3_u32 v2, v9, v2, v3
	v_add3_u32 v0, v10, v0, v11
	;; [unrolled: 1-line block ×3, first 2 shown]
	s_cbranch_scc1 .LBB17_6
	s_branch .LBB17_108
.LBB17_7:
	s_andn2_saveexec_b32 s0, s25
	s_cbranch_execz .LBB17_149
.LBB17_8:
	v_cndmask_b32_e64 v5, 0, 1, s24
	s_andn2_b32 vcc_lo, exec_lo, s24
	s_cbranch_vccnz .LBB17_20
; %bb.9:
	s_cmp_lg_u32 s22, 0
	s_waitcnt lgkmcnt(0)
	s_mov_b32 s6, 0
	s_cbranch_scc0 .LBB17_23
; %bb.10:
	s_min_u32 s8, s23, 15
	s_add_i32 s8, s8, 1
	s_cmp_eq_u32 s23, 2
	s_cbranch_scc1 .LBB17_24
; %bb.11:
	v_mov_b32_e32 v11, 0
	v_mov_b32_e32 v0, 0
	;; [unrolled: 1-line block ×3, first 2 shown]
	s_and_b32 s7, s8, 28
	s_add_u32 s0, s2, 0xc4
	s_addc_u32 s1, s3, 0
	s_mov_b32 s9, 0
	s_mov_b64 s[4:5], s[2:3]
.LBB17_12:                              ; =>This Inner Loop Header: Depth=1
	s_clause 0x1
	s_load_dwordx8 s[12:19], s[4:5], 0x4
	s_load_dwordx4 s[36:39], s[4:5], 0x24
	s_load_dwordx8 s[24:31], s[0:1], 0x0
	s_add_u32 s4, s4, 48
	s_addc_u32 s5, s5, 0
	s_add_i32 s9, s9, 4
	s_add_u32 s0, s0, 32
	s_addc_u32 s1, s1, 0
	s_cmp_lg_u32 s7, s9
	s_waitcnt lgkmcnt(0)
	v_mul_hi_u32 v2, s13, v1
	v_add_nc_u32_e32 v2, v1, v2
	v_lshrrev_b32_e32 v2, s14, v2
	v_mul_hi_u32 v3, s16, v2
	v_mul_lo_u32 v7, v2, s12
	v_add_nc_u32_e32 v3, v2, v3
	v_sub_nc_u32_e32 v1, v1, v7
	v_lshrrev_b32_e32 v3, s17, v3
	v_mul_lo_u32 v7, v1, s24
	v_mul_lo_u32 v9, v1, s25
	v_mul_hi_u32 v6, s19, v3
	v_add_nc_u32_e32 v6, v3, v6
	v_lshrrev_b32_e32 v6, s36, v6
	v_mul_hi_u32 v8, s38, v6
	v_mul_lo_u32 v10, v6, s18
	v_add_nc_u32_e32 v1, v6, v8
	v_mul_lo_u32 v8, v3, s15
	v_sub_nc_u32_e32 v3, v3, v10
	v_lshrrev_b32_e32 v1, s39, v1
	v_mul_lo_u32 v10, v3, s28
	v_mul_lo_u32 v3, v3, s29
	v_sub_nc_u32_e32 v2, v2, v8
	v_mul_lo_u32 v12, v1, s37
	v_mul_lo_u32 v8, v2, s26
	;; [unrolled: 1-line block ×3, first 2 shown]
	v_sub_nc_u32_e32 v6, v6, v12
	v_add3_u32 v0, v7, v0, v8
	v_mul_lo_u32 v12, v6, s30
	v_mul_lo_u32 v6, v6, s31
	v_add3_u32 v2, v9, v11, v2
	v_add3_u32 v0, v10, v0, v12
	;; [unrolled: 1-line block ×3, first 2 shown]
	s_cbranch_scc1 .LBB17_12
; %bb.13:
	s_and_b32 s8, s8, 3
	s_cmp_eq_u32 s8, 0
	s_cbranch_scc0 .LBB17_25
	s_branch .LBB17_27
.LBB17_14:
	s_or_b32 exec_lo, exec_lo, s30
	s_mov_b32 s30, exec_lo
	v_cmpx_gt_i32_e64 s27, v4
	s_cbranch_execz .LBB17_123
.LBB17_15:
	s_andn2_b32 vcc_lo, exec_lo, s24
	s_cbranch_vccnz .LBB17_22
; %bb.16:
	s_andn2_b32 vcc_lo, exec_lo, s29
	s_cbranch_vccnz .LBB17_106
; %bb.17:
	s_add_i32 s33, s28, 1
	s_cmp_eq_u32 s23, 2
	s_cbranch_scc1 .LBB17_131
; %bb.18:
	v_mov_b32_e32 v2, 0
	v_mov_b32_e32 v0, 0
	;; [unrolled: 1-line block ×3, first 2 shown]
	s_and_b32 s31, s33, 28
	s_mov_b32 s34, 0
	s_mov_b64 s[0:1], s[2:3]
	s_mov_b64 s[20:21], s[18:19]
.LBB17_19:                              ; =>This Inner Loop Header: Depth=1
	s_clause 0x1
	s_load_dwordx8 s[36:43], s[0:1], 0x4
	s_load_dwordx4 s[52:55], s[0:1], 0x24
	s_load_dwordx8 s[44:51], s[20:21], 0x0
	s_add_u32 s0, s0, 48
	s_addc_u32 s1, s1, 0
	s_add_i32 s34, s34, 4
	s_add_u32 s20, s20, 32
	s_addc_u32 s21, s21, 0
	s_cmp_eq_u32 s31, s34
	s_waitcnt lgkmcnt(0)
	v_mul_hi_u32 v3, s37, v1
	v_add_nc_u32_e32 v3, v1, v3
	v_lshrrev_b32_e32 v3, s38, v3
	v_mul_hi_u32 v5, s40, v3
	v_mul_lo_u32 v7, v3, s36
	v_add_nc_u32_e32 v5, v3, v5
	v_sub_nc_u32_e32 v1, v1, v7
	v_lshrrev_b32_e32 v5, s41, v5
	v_mul_lo_u32 v7, v1, s44
	v_mul_lo_u32 v9, v1, s45
	v_mul_hi_u32 v6, s43, v5
	v_add_nc_u32_e32 v6, v5, v6
	v_lshrrev_b32_e32 v6, s52, v6
	v_mul_hi_u32 v8, s54, v6
	v_mul_lo_u32 v10, v6, s42
	v_add_nc_u32_e32 v1, v6, v8
	v_mul_lo_u32 v8, v5, s39
	v_sub_nc_u32_e32 v5, v5, v10
	v_lshrrev_b32_e32 v1, s55, v1
	v_mul_lo_u32 v10, v5, s48
	v_mul_lo_u32 v5, v5, s49
	v_sub_nc_u32_e32 v3, v3, v8
	v_mul_lo_u32 v11, v1, s53
	v_mul_lo_u32 v8, v3, s46
	;; [unrolled: 1-line block ×3, first 2 shown]
	v_sub_nc_u32_e32 v6, v6, v11
	v_add3_u32 v0, v7, v0, v8
	v_mul_lo_u32 v11, v6, s50
	v_mul_lo_u32 v6, v6, s51
	v_add3_u32 v2, v9, v2, v3
	v_add3_u32 v0, v10, v0, v11
	v_add3_u32 v2, v5, v2, v6
	s_cbranch_scc0 .LBB17_19
	s_branch .LBB17_132
.LBB17_20:
	s_waitcnt lgkmcnt(0)
	s_mov_b32 s6, -1
                                        ; implicit-def: $vgpr0
                                        ; implicit-def: $vgpr11
	s_branch .LBB17_27
.LBB17_21:
                                        ; implicit-def: $vgpr0
                                        ; implicit-def: $vgpr2
	s_branch .LBB17_112
.LBB17_22:
                                        ; implicit-def: $vgpr0
                                        ; implicit-def: $vgpr2
	s_branch .LBB17_136
.LBB17_23:
	v_mov_b32_e32 v0, 0
	v_mov_b32_e32 v11, 0
	s_branch .LBB17_27
.LBB17_24:
	v_mov_b32_e32 v0, 0
	v_mov_b32_e32 v11, 0
	;; [unrolled: 1-line block ×3, first 2 shown]
	s_mov_b32 s7, 0
	s_and_b32 s8, s8, 3
	s_cmp_eq_u32 s8, 0
	s_cbranch_scc1 .LBB17_27
.LBB17_25:
	s_lshl_b32 s0, s7, 3
	s_mul_i32 s4, s7, 12
	s_add_u32 s0, s2, s0
	s_addc_u32 s1, s3, 0
	s_add_u32 s0, s0, 0xc4
	s_addc_u32 s1, s1, 0
	s_add_u32 s4, s2, s4
	s_addc_u32 s5, s3, 0
	.p2align	6
.LBB17_26:                              ; =>This Inner Loop Header: Depth=1
	s_clause 0x1
	s_load_dwordx2 s[10:11], s[4:5], 0x4
	s_load_dword s7, s[4:5], 0xc
	s_load_dwordx2 s[12:13], s[0:1], 0x0
	s_add_u32 s4, s4, 12
	s_addc_u32 s5, s5, 0
	s_add_u32 s0, s0, 8
	s_addc_u32 s1, s1, 0
	s_add_i32 s8, s8, -1
	s_cmp_lg_u32 s8, 0
	s_waitcnt lgkmcnt(0)
	v_mul_hi_u32 v2, s11, v1
	v_add_nc_u32_e32 v2, v1, v2
	v_lshrrev_b32_e32 v2, s7, v2
	v_mul_lo_u32 v3, v2, s10
	v_sub_nc_u32_e32 v3, v1, v3
	v_mad_u64_u32 v[0:1], null, v3, s12, v[0:1]
	v_mad_u64_u32 v[11:12], null, v3, s13, v[11:12]
	v_mov_b32_e32 v1, v2
	s_cbranch_scc1 .LBB17_26
.LBB17_27:
	s_andn2_b32 vcc_lo, exec_lo, s6
	s_cbranch_vccnz .LBB17_30
; %bb.28:
	s_clause 0x1
	s_load_dwordx4 s[4:7], s[2:3], 0x4
	s_load_dwordx2 s[0:1], s[2:3], 0xc4
	s_cmp_lt_u32 s22, 2
	s_waitcnt lgkmcnt(0)
	v_mul_hi_u32 v0, s5, v4
	v_add_nc_u32_e32 v0, v4, v0
	v_lshrrev_b32_e32 v1, s6, v0
	v_mul_lo_u32 v0, v1, s4
	v_sub_nc_u32_e32 v2, v4, v0
	v_mul_lo_u32 v0, v2, s0
	v_mul_lo_u32 v11, v2, s1
	s_cbranch_scc1 .LBB17_30
; %bb.29:
	s_clause 0x1
	s_load_dwordx4 s[4:7], s[2:3], 0x10
	s_load_dwordx2 s[0:1], s[2:3], 0xcc
	s_waitcnt lgkmcnt(0)
	v_mul_hi_u32 v2, s5, v1
	v_add_nc_u32_e32 v2, v1, v2
	v_lshrrev_b32_e32 v2, s6, v2
	v_mul_lo_u32 v2, v2, s4
	v_sub_nc_u32_e32 v2, v1, v2
	v_mad_u64_u32 v[0:1], null, v2, s0, v[0:1]
	v_mad_u64_u32 v[11:12], null, v2, s1, v[11:12]
.LBB17_30:
	v_cmp_ne_u32_e32 vcc_lo, 1, v5
	v_add_nc_u32_e32 v3, 0x80, v4
	s_cbranch_vccnz .LBB17_36
; %bb.31:
	s_cmp_lg_u32 s22, 0
	s_mov_b32 s6, 0
	s_cbranch_scc0 .LBB17_37
; %bb.32:
	s_min_u32 s8, s23, 15
	s_add_i32 s8, s8, 1
	s_cmp_eq_u32 s23, 2
	s_cbranch_scc1 .LBB17_38
; %bb.33:
	v_mov_b32_e32 v9, 0
	v_mov_b32_e32 v1, 0
	;; [unrolled: 1-line block ×3, first 2 shown]
	s_and_b32 s7, s8, 28
	s_add_u32 s0, s2, 0xc4
	s_addc_u32 s1, s3, 0
	s_mov_b32 s9, 0
	s_mov_b64 s[4:5], s[2:3]
.LBB17_34:                              ; =>This Inner Loop Header: Depth=1
	s_clause 0x1
	s_load_dwordx8 s[12:19], s[4:5], 0x4
	s_load_dwordx4 s[36:39], s[4:5], 0x24
	s_load_dwordx8 s[24:31], s[0:1], 0x0
	s_add_u32 s4, s4, 48
	s_addc_u32 s5, s5, 0
	s_add_i32 s9, s9, 4
	s_add_u32 s0, s0, 32
	s_addc_u32 s1, s1, 0
	s_cmp_lg_u32 s7, s9
	s_waitcnt lgkmcnt(0)
	v_mul_hi_u32 v6, s13, v2
	v_add_nc_u32_e32 v6, v2, v6
	v_lshrrev_b32_e32 v6, s14, v6
	v_mul_hi_u32 v7, s16, v6
	v_mul_lo_u32 v10, v6, s12
	v_add_nc_u32_e32 v7, v6, v7
	v_sub_nc_u32_e32 v2, v2, v10
	v_lshrrev_b32_e32 v7, s17, v7
	v_mul_lo_u32 v10, v2, s24
	v_mul_lo_u32 v14, v2, s25
	v_mul_hi_u32 v8, s19, v7
	v_add_nc_u32_e32 v8, v7, v8
	v_lshrrev_b32_e32 v8, s36, v8
	v_mul_hi_u32 v12, s38, v8
	v_mul_lo_u32 v15, v8, s18
	v_add_nc_u32_e32 v2, v8, v12
	v_mul_lo_u32 v12, v7, s15
	v_sub_nc_u32_e32 v7, v7, v15
	v_lshrrev_b32_e32 v2, s39, v2
	v_mul_lo_u32 v15, v7, s28
	v_mul_lo_u32 v7, v7, s29
	v_sub_nc_u32_e32 v6, v6, v12
	v_mul_lo_u32 v16, v2, s37
	v_mul_lo_u32 v12, v6, s26
	;; [unrolled: 1-line block ×3, first 2 shown]
	v_sub_nc_u32_e32 v8, v8, v16
	v_add3_u32 v1, v10, v1, v12
	v_mul_lo_u32 v16, v8, s30
	v_mul_lo_u32 v8, v8, s31
	v_add3_u32 v6, v14, v9, v6
	v_add3_u32 v1, v15, v1, v16
	v_add3_u32 v9, v7, v6, v8
	s_cbranch_scc1 .LBB17_34
; %bb.35:
	s_and_b32 s8, s8, 3
	s_cmp_eq_u32 s8, 0
	s_cbranch_scc0 .LBB17_39
	s_branch .LBB17_41
.LBB17_36:
	s_mov_b32 s6, -1
                                        ; implicit-def: $vgpr1
                                        ; implicit-def: $vgpr9
	s_branch .LBB17_41
.LBB17_37:
	v_mov_b32_e32 v1, 0
	v_mov_b32_e32 v9, 0
	s_branch .LBB17_41
.LBB17_38:
	v_mov_b32_e32 v1, 0
	v_mov_b32_e32 v9, 0
	;; [unrolled: 1-line block ×3, first 2 shown]
	s_mov_b32 s7, 0
	s_and_b32 s8, s8, 3
	s_cmp_eq_u32 s8, 0
	s_cbranch_scc1 .LBB17_41
.LBB17_39:
	s_lshl_b32 s0, s7, 3
	s_mul_i32 s4, s7, 12
	s_add_u32 s0, s2, s0
	s_addc_u32 s1, s3, 0
	s_add_u32 s0, s0, 0xc4
	s_addc_u32 s1, s1, 0
	;; [unrolled: 2-line block ×3, first 2 shown]
	.p2align	6
.LBB17_40:                              ; =>This Inner Loop Header: Depth=1
	s_clause 0x1
	s_load_dwordx2 s[10:11], s[4:5], 0x4
	s_load_dword s7, s[4:5], 0xc
	s_load_dwordx2 s[12:13], s[0:1], 0x0
	s_add_u32 s4, s4, 12
	s_addc_u32 s5, s5, 0
	s_add_u32 s0, s0, 8
	s_addc_u32 s1, s1, 0
	s_add_i32 s8, s8, -1
	s_cmp_lg_u32 s8, 0
	s_waitcnt lgkmcnt(0)
	v_mul_hi_u32 v6, s11, v2
	v_add_nc_u32_e32 v6, v2, v6
	v_lshrrev_b32_e32 v6, s7, v6
	v_mul_lo_u32 v7, v6, s10
	v_sub_nc_u32_e32 v7, v2, v7
	v_mad_u64_u32 v[1:2], null, v7, s12, v[1:2]
	v_mad_u64_u32 v[9:10], null, v7, s13, v[9:10]
	v_mov_b32_e32 v2, v6
	s_cbranch_scc1 .LBB17_40
.LBB17_41:
	s_andn2_b32 vcc_lo, exec_lo, s6
	s_cbranch_vccnz .LBB17_44
; %bb.42:
	s_clause 0x1
	s_load_dwordx4 s[4:7], s[2:3], 0x4
	s_load_dwordx2 s[0:1], s[2:3], 0xc4
	s_cmp_lt_u32 s22, 2
	s_waitcnt lgkmcnt(0)
	v_mul_hi_u32 v1, s5, v3
	v_add_nc_u32_e32 v1, v3, v1
	v_lshrrev_b32_e32 v2, s6, v1
	v_mul_lo_u32 v1, v2, s4
	v_sub_nc_u32_e32 v3, v3, v1
	v_mul_lo_u32 v1, v3, s0
	v_mul_lo_u32 v9, v3, s1
	s_cbranch_scc1 .LBB17_44
; %bb.43:
	s_clause 0x1
	s_load_dwordx4 s[4:7], s[2:3], 0x10
	s_load_dwordx2 s[0:1], s[2:3], 0xcc
	s_waitcnt lgkmcnt(0)
	v_mul_hi_u32 v3, s5, v2
	v_add_nc_u32_e32 v3, v2, v3
	v_lshrrev_b32_e32 v3, s6, v3
	v_mul_lo_u32 v3, v3, s4
	v_sub_nc_u32_e32 v3, v2, v3
	v_mad_u64_u32 v[1:2], null, v3, s0, v[1:2]
	v_mad_u64_u32 v[9:10], null, v3, s1, v[9:10]
.LBB17_44:
	v_cmp_ne_u32_e32 vcc_lo, 1, v5
	v_add_nc_u32_e32 v4, 0x100, v4
	s_cbranch_vccnz .LBB17_50
; %bb.45:
	s_cmp_lg_u32 s22, 0
	s_mov_b32 s6, 0
	s_cbranch_scc0 .LBB17_51
; %bb.46:
	s_min_u32 s8, s23, 15
	s_add_i32 s8, s8, 1
	s_cmp_eq_u32 s23, 2
	s_cbranch_scc1 .LBB17_52
; %bb.47:
	v_mov_b32_e32 v7, 0
	v_mov_b32_e32 v2, 0
	;; [unrolled: 1-line block ×3, first 2 shown]
	s_and_b32 s7, s8, 28
	s_add_u32 s0, s2, 0xc4
	s_addc_u32 s1, s3, 0
	s_mov_b32 s9, 0
	s_mov_b64 s[4:5], s[2:3]
.LBB17_48:                              ; =>This Inner Loop Header: Depth=1
	s_clause 0x1
	s_load_dwordx8 s[12:19], s[4:5], 0x4
	s_load_dwordx4 s[36:39], s[4:5], 0x24
	s_load_dwordx8 s[24:31], s[0:1], 0x0
	s_add_u32 s4, s4, 48
	s_addc_u32 s5, s5, 0
	s_add_i32 s9, s9, 4
	s_add_u32 s0, s0, 32
	s_addc_u32 s1, s1, 0
	s_cmp_lg_u32 s7, s9
	s_waitcnt lgkmcnt(0)
	v_mul_hi_u32 v6, s13, v3
	v_add_nc_u32_e32 v6, v3, v6
	v_lshrrev_b32_e32 v6, s14, v6
	v_mul_hi_u32 v8, s16, v6
	v_mul_lo_u32 v12, v6, s12
	v_add_nc_u32_e32 v8, v6, v8
	v_sub_nc_u32_e32 v3, v3, v12
	v_lshrrev_b32_e32 v8, s17, v8
	v_mul_lo_u32 v12, v3, s24
	v_mul_lo_u32 v15, v3, s25
	v_mul_hi_u32 v10, s19, v8
	v_add_nc_u32_e32 v10, v8, v10
	v_lshrrev_b32_e32 v10, s36, v10
	v_mul_hi_u32 v14, s38, v10
	v_mul_lo_u32 v16, v10, s18
	v_add_nc_u32_e32 v3, v10, v14
	v_mul_lo_u32 v14, v8, s15
	v_sub_nc_u32_e32 v8, v8, v16
	v_lshrrev_b32_e32 v3, s39, v3
	v_mul_lo_u32 v16, v8, s28
	v_mul_lo_u32 v8, v8, s29
	v_sub_nc_u32_e32 v6, v6, v14
	v_mul_lo_u32 v17, v3, s37
	v_mul_lo_u32 v14, v6, s26
	;; [unrolled: 1-line block ×3, first 2 shown]
	v_sub_nc_u32_e32 v10, v10, v17
	v_add3_u32 v2, v12, v2, v14
	v_mul_lo_u32 v17, v10, s30
	v_mul_lo_u32 v10, v10, s31
	v_add3_u32 v6, v15, v7, v6
	v_add3_u32 v2, v16, v2, v17
	;; [unrolled: 1-line block ×3, first 2 shown]
	s_cbranch_scc1 .LBB17_48
; %bb.49:
	s_and_b32 s8, s8, 3
	s_cmp_eq_u32 s8, 0
	s_cbranch_scc0 .LBB17_53
	s_branch .LBB17_55
.LBB17_50:
	s_mov_b32 s6, -1
                                        ; implicit-def: $vgpr2
                                        ; implicit-def: $vgpr7
	s_branch .LBB17_55
.LBB17_51:
	v_mov_b32_e32 v2, 0
	v_mov_b32_e32 v7, 0
	s_branch .LBB17_55
.LBB17_52:
	v_mov_b32_e32 v2, 0
	v_mov_b32_e32 v7, 0
	;; [unrolled: 1-line block ×3, first 2 shown]
	s_mov_b32 s7, 0
	s_and_b32 s8, s8, 3
	s_cmp_eq_u32 s8, 0
	s_cbranch_scc1 .LBB17_55
.LBB17_53:
	s_lshl_b32 s0, s7, 3
	s_mul_i32 s4, s7, 12
	s_add_u32 s0, s2, s0
	s_addc_u32 s1, s3, 0
	s_add_u32 s0, s0, 0xc4
	s_addc_u32 s1, s1, 0
	;; [unrolled: 2-line block ×3, first 2 shown]
	.p2align	6
.LBB17_54:                              ; =>This Inner Loop Header: Depth=1
	s_clause 0x1
	s_load_dwordx2 s[10:11], s[4:5], 0x4
	s_load_dword s7, s[4:5], 0xc
	s_load_dwordx2 s[12:13], s[0:1], 0x0
	s_add_u32 s4, s4, 12
	s_addc_u32 s5, s5, 0
	s_add_u32 s0, s0, 8
	s_addc_u32 s1, s1, 0
	s_add_i32 s8, s8, -1
	s_cmp_lg_u32 s8, 0
	s_waitcnt lgkmcnt(0)
	v_mul_hi_u32 v6, s11, v3
	v_add_nc_u32_e32 v6, v3, v6
	v_lshrrev_b32_e32 v6, s7, v6
	v_mul_lo_u32 v8, v6, s10
	v_sub_nc_u32_e32 v8, v3, v8
	v_mad_u64_u32 v[2:3], null, v8, s12, v[2:3]
	v_mad_u64_u32 v[7:8], null, v8, s13, v[7:8]
	v_mov_b32_e32 v3, v6
	s_cbranch_scc1 .LBB17_54
.LBB17_55:
	s_andn2_b32 vcc_lo, exec_lo, s6
	s_cbranch_vccnz .LBB17_58
; %bb.56:
	s_clause 0x1
	s_load_dwordx4 s[4:7], s[2:3], 0x4
	s_load_dwordx2 s[0:1], s[2:3], 0xc4
	s_cmp_lt_u32 s22, 2
	s_waitcnt lgkmcnt(0)
	v_mul_hi_u32 v2, s5, v4
	v_add_nc_u32_e32 v2, v4, v2
	v_lshrrev_b32_e32 v3, s6, v2
	v_mul_lo_u32 v2, v3, s4
	v_sub_nc_u32_e32 v4, v4, v2
	v_mul_lo_u32 v2, v4, s0
	v_mul_lo_u32 v7, v4, s1
	s_cbranch_scc1 .LBB17_58
; %bb.57:
	s_clause 0x1
	s_load_dwordx4 s[4:7], s[2:3], 0x10
	s_load_dwordx2 s[0:1], s[2:3], 0xcc
	s_waitcnt lgkmcnt(0)
	v_mul_hi_u32 v4, s5, v3
	v_add_nc_u32_e32 v4, v3, v4
	v_lshrrev_b32_e32 v4, s6, v4
	v_mul_lo_u32 v4, v4, s4
	v_sub_nc_u32_e32 v4, v3, v4
	v_mad_u64_u32 v[2:3], null, v4, s0, v[2:3]
	v_mad_u64_u32 v[7:8], null, v4, s1, v[7:8]
.LBB17_58:
	v_cmp_ne_u32_e32 vcc_lo, 1, v5
	s_cbranch_vccnz .LBB17_64
; %bb.59:
	s_cmp_lg_u32 s22, 0
	s_mov_b32 s6, 0
	s_cbranch_scc0 .LBB17_65
; %bb.60:
	s_min_u32 s8, s23, 15
	s_add_i32 s8, s8, 1
	s_cmp_eq_u32 s23, 2
	s_cbranch_scc1 .LBB17_66
; %bb.61:
	v_mov_b32_e32 v5, 0
	v_mov_b32_e32 v3, 0
	;; [unrolled: 1-line block ×3, first 2 shown]
	s_and_b32 s7, s8, 28
	s_add_u32 s0, s2, 0xc4
	s_addc_u32 s1, s3, 0
	s_mov_b32 s9, 0
	s_mov_b64 s[4:5], s[2:3]
.LBB17_62:                              ; =>This Inner Loop Header: Depth=1
	s_clause 0x1
	s_load_dwordx8 s[12:19], s[4:5], 0x4
	s_load_dwordx4 s[36:39], s[4:5], 0x24
	s_load_dwordx8 s[24:31], s[0:1], 0x0
	s_add_u32 s4, s4, 48
	s_addc_u32 s5, s5, 0
	s_add_i32 s9, s9, 4
	s_add_u32 s0, s0, 32
	s_addc_u32 s1, s1, 0
	s_cmp_lg_u32 s7, s9
	s_waitcnt lgkmcnt(0)
	v_mul_hi_u32 v6, s13, v4
	v_add_nc_u32_e32 v6, v4, v6
	v_lshrrev_b32_e32 v6, s14, v6
	v_mul_hi_u32 v8, s16, v6
	v_mul_lo_u32 v12, v6, s12
	v_add_nc_u32_e32 v8, v6, v8
	v_sub_nc_u32_e32 v4, v4, v12
	v_lshrrev_b32_e32 v8, s17, v8
	v_mul_lo_u32 v12, v4, s24
	v_mul_lo_u32 v15, v4, s25
	v_mul_hi_u32 v10, s19, v8
	v_add_nc_u32_e32 v10, v8, v10
	v_lshrrev_b32_e32 v10, s36, v10
	v_mul_hi_u32 v14, s38, v10
	v_mul_lo_u32 v16, v10, s18
	v_add_nc_u32_e32 v4, v10, v14
	v_mul_lo_u32 v14, v8, s15
	v_sub_nc_u32_e32 v8, v8, v16
	v_lshrrev_b32_e32 v4, s39, v4
	v_mul_lo_u32 v16, v8, s28
	v_mul_lo_u32 v8, v8, s29
	v_sub_nc_u32_e32 v6, v6, v14
	v_mul_lo_u32 v17, v4, s37
	v_mul_lo_u32 v14, v6, s26
	;; [unrolled: 1-line block ×3, first 2 shown]
	v_sub_nc_u32_e32 v10, v10, v17
	v_add3_u32 v3, v12, v3, v14
	v_mul_lo_u32 v17, v10, s30
	v_mul_lo_u32 v10, v10, s31
	v_add3_u32 v5, v15, v5, v6
	v_add3_u32 v3, v16, v3, v17
	;; [unrolled: 1-line block ×3, first 2 shown]
	s_cbranch_scc1 .LBB17_62
; %bb.63:
	s_and_b32 s8, s8, 3
	s_cmp_eq_u32 s8, 0
	s_cbranch_scc0 .LBB17_67
	s_branch .LBB17_69
.LBB17_64:
	s_mov_b32 s6, -1
                                        ; implicit-def: $vgpr3
                                        ; implicit-def: $vgpr5
	s_branch .LBB17_69
.LBB17_65:
	v_mov_b32_e32 v3, 0
	v_mov_b32_e32 v5, 0
	s_branch .LBB17_69
.LBB17_66:
	v_mov_b32_e32 v3, 0
	v_mov_b32_e32 v5, 0
	;; [unrolled: 1-line block ×3, first 2 shown]
	s_mov_b32 s7, 0
	s_and_b32 s8, s8, 3
	s_cmp_eq_u32 s8, 0
	s_cbranch_scc1 .LBB17_69
.LBB17_67:
	s_lshl_b32 s0, s7, 3
	s_mul_i32 s4, s7, 12
	s_add_u32 s0, s2, s0
	s_addc_u32 s1, s3, 0
	s_add_u32 s0, s0, 0xc4
	s_addc_u32 s1, s1, 0
	s_add_u32 s4, s2, s4
	s_addc_u32 s5, s3, 0
	.p2align	6
.LBB17_68:                              ; =>This Inner Loop Header: Depth=1
	s_clause 0x1
	s_load_dwordx2 s[10:11], s[4:5], 0x4
	s_load_dword s7, s[4:5], 0xc
	s_load_dwordx2 s[12:13], s[0:1], 0x0
	s_add_u32 s4, s4, 12
	s_addc_u32 s5, s5, 0
	s_add_u32 s0, s0, 8
	s_addc_u32 s1, s1, 0
	s_add_i32 s8, s8, -1
	s_cmp_lg_u32 s8, 0
	s_waitcnt lgkmcnt(0)
	v_mul_hi_u32 v6, s11, v4
	v_add_nc_u32_e32 v6, v4, v6
	v_lshrrev_b32_e32 v8, s7, v6
	v_mul_lo_u32 v6, v8, s10
	v_sub_nc_u32_e32 v6, v4, v6
	v_mad_u64_u32 v[3:4], null, v6, s12, v[3:4]
	v_mad_u64_u32 v[5:6], null, v6, s13, v[5:6]
	v_mov_b32_e32 v4, v8
	s_cbranch_scc1 .LBB17_68
.LBB17_69:
	s_andn2_b32 vcc_lo, exec_lo, s6
	s_cbranch_vccnz .LBB17_72
; %bb.70:
	s_clause 0x1
	s_load_dwordx4 s[4:7], s[2:3], 0x4
	s_load_dwordx2 s[0:1], s[2:3], 0xc4
	s_cmp_lt_u32 s22, 2
	s_waitcnt lgkmcnt(0)
	v_mul_hi_u32 v3, s5, v13
	v_add_nc_u32_e32 v3, v13, v3
	v_lshrrev_b32_e32 v4, s6, v3
	v_mul_lo_u32 v3, v4, s4
	v_sub_nc_u32_e32 v5, v13, v3
	v_mul_lo_u32 v3, v5, s0
	v_mul_lo_u32 v5, v5, s1
	s_cbranch_scc1 .LBB17_72
; %bb.71:
	s_clause 0x1
	s_load_dwordx4 s[4:7], s[2:3], 0x10
	s_load_dwordx2 s[0:1], s[2:3], 0xcc
	s_waitcnt lgkmcnt(0)
	v_mul_hi_u32 v6, s5, v4
	v_add_nc_u32_e32 v6, v4, v6
	v_lshrrev_b32_e32 v6, s6, v6
	v_mul_lo_u32 v6, v6, s4
	v_sub_nc_u32_e32 v6, v4, v6
	v_mad_u64_u32 v[3:4], null, v6, s0, v[3:4]
	v_mad_u64_u32 v[5:6], null, v6, s1, v[5:6]
.LBB17_72:
	s_load_dwordx4 s[4:7], s[2:3], 0x148
	v_mov_b32_e32 v4, 0x7f800000
	v_mov_b32_e32 v6, 0x7f800000
	s_mov_b32 s1, exec_lo
	s_waitcnt lgkmcnt(0)
	global_load_dword v8, v11, s[6:7]
	s_waitcnt vmcnt(0)
	v_cmpx_neq_f32_e32 0, v8
	s_cbranch_execz .LBB17_80
; %bb.73:
	v_mov_b32_e32 v6, 0x7fc00000
	s_mov_b32 s2, exec_lo
	v_cmpx_ngt_f32_e32 0, v8
	s_cbranch_execz .LBB17_79
; %bb.74:
                                        ; implicit-def: $vgpr6
	s_mov_b32 s0, exec_lo
	v_cmpx_ge_f32_e32 2.0, v8
	s_xor_b32 s3, exec_lo, s0
	s_cbranch_execz .LBB17_76
; %bb.75:
	v_fma_f32 v6, v8, 0.5, -2.0
	s_mov_b32 s0, 0x224cf950
	v_fma_f32 v12, v8, v8, -2.0
	v_fmaak_f32 v10, s0, v6, 0xa3c2be86
	s_mov_b32 s0, 0xa3019142
	v_fmaak_f32 v13, s0, v12, 0xa72eea8c
	v_fmaak_f32 v11, v6, v10, 0xa24cf950
	;; [unrolled: 1-line block ×3, first 2 shown]
	v_add_f32_e32 v11, 0x25331f1f, v11
	v_add_f32_e32 v14, 0xab3ba817, v14
	v_fma_f32 v10, v6, v11, -v10
	v_fma_f32 v13, v12, v14, -v13
	v_add_f32_e32 v10, 0xa69f5554, v10
	v_add_f32_e32 v13, 0xaf1b31de, v13
	v_fma_f32 v11, v6, v10, -v11
	v_fma_f32 v14, v12, v13, -v14
	;; [unrolled: 4-line block ×8, first 2 shown]
	v_mul_f32_e32 v13, 0.5, v8
	v_add_f32_e32 v11, 0x2fc751a6, v11
	v_add_f32_e32 v12, 0x3fc33d0a, v12
	v_cmp_gt_f32_e32 vcc_lo, 0x800000, v13
	v_fma_f32 v10, v6, v11, -v10
	v_sub_f32_e32 v12, v12, v14
	v_mul_f32_e32 v14, 0x3fb8aa3b, v8
	v_add_f32_e32 v10, 0xb101b0d9, v10
	v_cndmask_b32_e64 v15, 0, 32, vcc_lo
	v_cndmask_b32_e64 v20, 0, 0x41b17218, vcc_lo
	v_mul_f32_e32 v12, 0.5, v12
	v_rndne_f32_e32 v16, v14
	v_fma_f32 v11, v6, v10, -v11
	v_fma_f32 v18, 0x3fb8aa3b, v8, -v14
	v_ldexp_f32 v13, v13, v15
	v_div_scale_f32 v17, null, v8, v8, v12
	v_add_f32_e32 v11, 0x32212c70, v11
	v_sub_f32_e32 v14, v14, v16
	v_fmamk_f32 v18, v8, 0x32a5705f, v18
	v_rcp_f32_e32 v15, v17
	v_log_f32_e32 v13, v13
	v_fma_f32 v10, v6, v11, -v10
	v_div_scale_f32 v19, s0, v12, v8, v12
	v_add_f32_e32 v14, v14, v18
	v_cmp_ngt_f32_e32 vcc_lo, 0xc2ce8ed0, v8
	v_add_f32_e32 v10, 0xb33ee9f1, v10
	v_exp_f32_e32 v14, v14
	v_fma_f32 v18, -v17, v15, 1.0
	v_fma_f32 v11, v6, v10, -v11
	v_fmac_f32_e32 v15, v18, v15
	v_add_f32_e32 v11, 0x34571a26, v11
	v_mul_f32_e32 v18, 0x3f317217, v13
	v_fma_f32 v10, v6, v11, -v10
	v_fma_f32 v18, 0x3f317217, v13, -v18
	v_add_f32_e32 v10, 0xb56603cc, v10
	v_fmamk_f32 v18, v13, 0x3377d1cf, v18
	v_fma_f32 v11, v6, v10, -v11
	v_fmac_f32_e32 v18, 0x3f317217, v13
	v_add_f32_e32 v11, 0x3668e277, v11
	v_fma_f32 v10, v6, v11, -v10
	v_add_f32_e32 v10, 0xb75eafce, v10
	v_fma_f32 v11, v6, v10, -v11
	;; [unrolled: 2-line block ×12, first 2 shown]
	v_cvt_i32_f32_e32 v10, v16
	v_mul_f32_e32 v16, v19, v15
	v_add_f32_e32 v6, 0x3e81531c, v6
	v_ldexp_f32 v10, v14, v10
	v_fma_f32 v14, -v17, v16, v19
	v_sub_f32_e32 v6, v6, v11
	v_cndmask_b32_e32 v10, 0, v10, vcc_lo
	v_cmp_nlt_f32_e32 vcc_lo, 0x42b17218, v8
	v_fmac_f32_e32 v16, v14, v15
	v_mul_f32_e32 v6, 0.5, v6
	v_cndmask_b32_e32 v10, 0x7f800000, v10, vcc_lo
	v_cmp_gt_f32_e64 vcc_lo, 0x7f800000, |v13|
	v_fma_f32 v11, -v17, v16, v19
	v_mul_f32_e32 v6, v8, v6
	v_cndmask_b32_e32 v13, v13, v18, vcc_lo
	s_mov_b32 vcc_lo, s0
	v_mul_f32_e32 v10, v10, v6
	v_div_fmas_f32 v11, v11, v15, v16
	v_sub_f32_e32 v13, v13, v20
	v_div_fixup_f32 v6, v11, v8, v12
                                        ; implicit-def: $vgpr8
	v_fmac_f32_e32 v6, v13, v10
.LBB17_76:
	s_andn2_saveexec_b32 s3, s3
	s_cbranch_execz .LBB17_78
; %bb.77:
	v_div_scale_f32 v6, null, v8, v8, 0x41000000
	v_div_scale_f32 v12, vcc_lo, 0x41000000, v8, 0x41000000
	s_mov_b32 s0, 0xa2d462ea
	v_rcp_f32_e32 v10, v6
	v_fma_f32 v11, -v6, v10, 1.0
	v_fmac_f32_e32 v10, v11, v10
	v_mul_f32_e32 v11, v12, v10
	v_fma_f32 v13, -v6, v11, v12
	v_fmac_f32_e32 v11, v13, v10
	v_mul_f32_e32 v13, 0xbfb8aa3b, v8
	v_fma_f32 v6, -v6, v11, v12
	v_mul_f32_e32 v12, 0x4f800000, v8
	v_rndne_f32_e32 v14, v13
	v_fma_f32 v15, 0xbfb8aa3b, v8, -v13
	v_div_fmas_f32 v6, v6, v10, v11
	v_cmp_gt_f32_e32 vcc_lo, 0xf800000, v8
	v_sub_f32_e32 v13, v13, v14
	v_fmamk_f32 v15, v8, 0xb2a5705f, v15
	v_cvt_i32_f32_e32 v14, v14
	v_div_fixup_f32 v6, v6, v8, 0x41000000
	v_cndmask_b32_e32 v12, v8, v12, vcc_lo
	v_add_f32_e32 v13, v13, v15
	v_add_f32_e32 v6, -2.0, v6
	v_sqrt_f32_e32 v16, v12
	v_exp_f32_e32 v13, v13
	v_fmaak_f32 v10, s0, v6, 0x23a578d4
	v_fmaak_f32 v11, v6, v10, 0x22d462ea
	v_add_nc_u32_e32 v15, -1, v16
	v_add_nc_u32_e32 v17, 1, v16
	v_add_f32_e32 v11, 0xa48330a9, v11
	v_fma_f32 v18, -v15, v16, v12
	v_fma_f32 v19, -v17, v16, v12
	v_fma_f32 v10, v6, v11, -v10
	v_cmp_ge_f32_e64 s0, 0, v18
	v_add_f32_e32 v10, 0x2553eaf2, v10
	v_cndmask_b32_e64 v15, v16, v15, s0
	v_cmp_lt_f32_e64 s0, 0, v19
	v_fma_f32 v11, v6, v10, -v11
	v_add_f32_e32 v11, 0xa62e951f, v11
	v_fma_f32 v10, v6, v11, -v10
	v_add_f32_e32 v10, 0x2712e76f, v10
	;; [unrolled: 2-line block ×20, first 2 shown]
	v_fma_f32 v6, v6, v10, -v11
	v_ldexp_f32 v10, v13, v14
	v_cndmask_b32_e64 v13, v15, v17, s0
	v_cmp_nlt_f32_e64 s0, 0x42ce8ed0, v8
	v_add_f32_e32 v6, 0x402e1ebd, v6
	v_mul_f32_e32 v14, 0x37800000, v13
	v_cndmask_b32_e64 v10, 0, v10, s0
	v_cmp_ngt_f32_e64 s0, 0xc2b17218, v8
	v_sub_f32_e32 v6, v6, v11
	v_cndmask_b32_e64 v8, 0x7f800000, v10, s0
	v_cndmask_b32_e32 v10, v13, v14, vcc_lo
	v_mul_f32_e32 v6, 0.5, v6
	v_cmp_class_f32_e64 vcc_lo, v12, 0x260
	v_mul_f32_e32 v6, v8, v6
	v_cndmask_b32_e32 v10, v10, v12, vcc_lo
	v_div_scale_f32 v8, null, v10, v10, v6
	v_rcp_f32_e32 v11, v8
	v_fma_f32 v12, -v8, v11, 1.0
	v_fmac_f32_e32 v11, v12, v11
	v_div_scale_f32 v12, vcc_lo, v6, v10, v6
	v_mul_f32_e32 v13, v12, v11
	v_fma_f32 v14, -v8, v13, v12
	v_fmac_f32_e32 v13, v14, v11
	v_fma_f32 v8, -v8, v13, v12
	v_div_fmas_f32 v8, v8, v11, v13
	v_div_fixup_f32 v6, v8, v10, v6
.LBB17_78:
	s_or_b32 exec_lo, exec_lo, s3
.LBB17_79:
	s_or_b32 exec_lo, exec_lo, s2
.LBB17_80:
	s_or_b32 exec_lo, exec_lo, s1
	global_load_dword v8, v9, s[6:7]
	s_mov_b32 s1, exec_lo
	s_waitcnt vmcnt(0)
	v_cmpx_neq_f32_e32 0, v8
	s_cbranch_execz .LBB17_88
; %bb.81:
	v_mov_b32_e32 v4, 0x7fc00000
	s_mov_b32 s2, exec_lo
	v_cmpx_ngt_f32_e32 0, v8
	s_cbranch_execz .LBB17_87
; %bb.82:
                                        ; implicit-def: $vgpr4
	s_mov_b32 s0, exec_lo
	v_cmpx_ge_f32_e32 2.0, v8
	s_xor_b32 s3, exec_lo, s0
	s_cbranch_execz .LBB17_84
; %bb.83:
	v_fma_f32 v4, v8, 0.5, -2.0
	s_mov_b32 s0, 0x224cf950
	v_fma_f32 v11, v8, v8, -2.0
	v_fmaak_f32 v9, s0, v4, 0xa3c2be86
	s_mov_b32 s0, 0xa3019142
	v_fmaak_f32 v12, s0, v11, 0xa72eea8c
	v_fmaak_f32 v10, v4, v9, 0xa24cf950
	v_fmaak_f32 v13, v11, v12, 0x23019142
	v_add_f32_e32 v10, 0x25331f1f, v10
	v_add_f32_e32 v13, 0xab3ba817, v13
	v_fma_f32 v9, v4, v10, -v9
	v_fma_f32 v12, v11, v13, -v12
	v_add_f32_e32 v9, 0xa69f5554, v9
	v_add_f32_e32 v12, 0xaf1b31de, v12
	v_fma_f32 v10, v4, v9, -v10
	v_fma_f32 v13, v11, v12, -v13
	;; [unrolled: 4-line block ×8, first 2 shown]
	v_mul_f32_e32 v12, 0.5, v8
	v_add_f32_e32 v10, 0x2fc751a6, v10
	v_add_f32_e32 v11, 0x3fc33d0a, v11
	v_cmp_gt_f32_e32 vcc_lo, 0x800000, v12
	v_fma_f32 v9, v4, v10, -v9
	v_sub_f32_e32 v11, v11, v13
	v_mul_f32_e32 v13, 0x3fb8aa3b, v8
	v_add_f32_e32 v9, 0xb101b0d9, v9
	v_cndmask_b32_e64 v14, 0, 32, vcc_lo
	v_cndmask_b32_e64 v19, 0, 0x41b17218, vcc_lo
	v_mul_f32_e32 v11, 0.5, v11
	v_rndne_f32_e32 v15, v13
	v_fma_f32 v10, v4, v9, -v10
	v_fma_f32 v17, 0x3fb8aa3b, v8, -v13
	v_ldexp_f32 v12, v12, v14
	v_div_scale_f32 v16, null, v8, v8, v11
	v_add_f32_e32 v10, 0x32212c70, v10
	v_sub_f32_e32 v13, v13, v15
	v_fmamk_f32 v17, v8, 0x32a5705f, v17
	v_rcp_f32_e32 v14, v16
	v_log_f32_e32 v12, v12
	v_fma_f32 v9, v4, v10, -v9
	v_div_scale_f32 v18, s0, v11, v8, v11
	v_add_f32_e32 v13, v13, v17
	v_cmp_ngt_f32_e32 vcc_lo, 0xc2ce8ed0, v8
	v_add_f32_e32 v9, 0xb33ee9f1, v9
	v_exp_f32_e32 v13, v13
	v_fma_f32 v17, -v16, v14, 1.0
	v_fma_f32 v10, v4, v9, -v10
	v_fmac_f32_e32 v14, v17, v14
	v_add_f32_e32 v10, 0x34571a26, v10
	v_mul_f32_e32 v17, 0x3f317217, v12
	v_fma_f32 v9, v4, v10, -v9
	v_fma_f32 v17, 0x3f317217, v12, -v17
	v_add_f32_e32 v9, 0xb56603cc, v9
	v_fmamk_f32 v17, v12, 0x3377d1cf, v17
	v_fma_f32 v10, v4, v9, -v10
	v_fmac_f32_e32 v17, 0x3f317217, v12
	v_add_f32_e32 v10, 0x3668e277, v10
	v_fma_f32 v9, v4, v10, -v9
	v_add_f32_e32 v9, 0xb75eafce, v9
	v_fma_f32 v10, v4, v9, -v10
	;; [unrolled: 2-line block ×12, first 2 shown]
	v_cvt_i32_f32_e32 v9, v15
	v_mul_f32_e32 v15, v18, v14
	v_add_f32_e32 v4, 0x3e81531c, v4
	v_ldexp_f32 v9, v13, v9
	v_fma_f32 v13, -v16, v15, v18
	v_sub_f32_e32 v4, v4, v10
	v_cndmask_b32_e32 v9, 0, v9, vcc_lo
	v_cmp_nlt_f32_e32 vcc_lo, 0x42b17218, v8
	v_fmac_f32_e32 v15, v13, v14
	v_mul_f32_e32 v4, 0.5, v4
	v_cndmask_b32_e32 v9, 0x7f800000, v9, vcc_lo
	v_cmp_gt_f32_e64 vcc_lo, 0x7f800000, |v12|
	v_fma_f32 v10, -v16, v15, v18
	v_mul_f32_e32 v4, v8, v4
	v_cndmask_b32_e32 v12, v12, v17, vcc_lo
	s_mov_b32 vcc_lo, s0
	v_mul_f32_e32 v9, v9, v4
	v_div_fmas_f32 v10, v10, v14, v15
	v_sub_f32_e32 v12, v12, v19
	v_div_fixup_f32 v4, v10, v8, v11
                                        ; implicit-def: $vgpr8
	v_fmac_f32_e32 v4, v12, v9
.LBB17_84:
	s_andn2_saveexec_b32 s3, s3
	s_cbranch_execz .LBB17_86
; %bb.85:
	v_div_scale_f32 v4, null, v8, v8, 0x41000000
	v_div_scale_f32 v11, vcc_lo, 0x41000000, v8, 0x41000000
	s_mov_b32 s0, 0xa2d462ea
	v_rcp_f32_e32 v9, v4
	v_fma_f32 v10, -v4, v9, 1.0
	v_fmac_f32_e32 v9, v10, v9
	v_mul_f32_e32 v10, v11, v9
	v_fma_f32 v12, -v4, v10, v11
	v_fmac_f32_e32 v10, v12, v9
	v_mul_f32_e32 v12, 0xbfb8aa3b, v8
	v_fma_f32 v4, -v4, v10, v11
	v_mul_f32_e32 v11, 0x4f800000, v8
	v_rndne_f32_e32 v13, v12
	v_fma_f32 v14, 0xbfb8aa3b, v8, -v12
	v_div_fmas_f32 v4, v4, v9, v10
	v_cmp_gt_f32_e32 vcc_lo, 0xf800000, v8
	v_sub_f32_e32 v12, v12, v13
	v_fmamk_f32 v14, v8, 0xb2a5705f, v14
	v_cvt_i32_f32_e32 v13, v13
	v_div_fixup_f32 v4, v4, v8, 0x41000000
	v_cndmask_b32_e32 v11, v8, v11, vcc_lo
	v_add_f32_e32 v12, v12, v14
	v_add_f32_e32 v4, -2.0, v4
	v_sqrt_f32_e32 v15, v11
	v_exp_f32_e32 v12, v12
	v_fmaak_f32 v9, s0, v4, 0x23a578d4
	v_fmaak_f32 v10, v4, v9, 0x22d462ea
	v_add_nc_u32_e32 v14, -1, v15
	v_add_nc_u32_e32 v16, 1, v15
	v_add_f32_e32 v10, 0xa48330a9, v10
	v_fma_f32 v17, -v14, v15, v11
	v_fma_f32 v18, -v16, v15, v11
	v_fma_f32 v9, v4, v10, -v9
	v_cmp_ge_f32_e64 s0, 0, v17
	v_add_f32_e32 v9, 0x2553eaf2, v9
	v_cndmask_b32_e64 v14, v15, v14, s0
	v_cmp_lt_f32_e64 s0, 0, v18
	v_fma_f32 v10, v4, v9, -v10
	v_add_f32_e32 v10, 0xa62e951f, v10
	v_fma_f32 v9, v4, v10, -v9
	v_add_f32_e32 v9, 0x2712e76f, v9
	;; [unrolled: 2-line block ×20, first 2 shown]
	v_fma_f32 v4, v4, v9, -v10
	v_ldexp_f32 v9, v12, v13
	v_cndmask_b32_e64 v12, v14, v16, s0
	v_cmp_nlt_f32_e64 s0, 0x42ce8ed0, v8
	v_add_f32_e32 v4, 0x402e1ebd, v4
	v_mul_f32_e32 v13, 0x37800000, v12
	v_cndmask_b32_e64 v9, 0, v9, s0
	v_cmp_ngt_f32_e64 s0, 0xc2b17218, v8
	v_sub_f32_e32 v4, v4, v10
	v_cndmask_b32_e64 v8, 0x7f800000, v9, s0
	v_cndmask_b32_e32 v9, v12, v13, vcc_lo
	v_mul_f32_e32 v4, 0.5, v4
	v_cmp_class_f32_e64 vcc_lo, v11, 0x260
	v_mul_f32_e32 v4, v8, v4
	v_cndmask_b32_e32 v9, v9, v11, vcc_lo
	v_div_scale_f32 v8, null, v9, v9, v4
	v_rcp_f32_e32 v10, v8
	v_fma_f32 v11, -v8, v10, 1.0
	v_fmac_f32_e32 v10, v11, v10
	v_div_scale_f32 v11, vcc_lo, v4, v9, v4
	v_mul_f32_e32 v12, v11, v10
	v_fma_f32 v13, -v8, v12, v11
	v_fmac_f32_e32 v12, v13, v10
	v_fma_f32 v8, -v8, v12, v11
	v_div_fmas_f32 v8, v8, v10, v12
	v_div_fixup_f32 v4, v8, v9, v4
.LBB17_86:
	s_or_b32 exec_lo, exec_lo, s3
.LBB17_87:
	s_or_b32 exec_lo, exec_lo, s2
.LBB17_88:
	s_or_b32 exec_lo, exec_lo, s1
	global_load_dword v9, v7, s[6:7]
	v_mov_b32_e32 v7, 0x7f800000
	v_mov_b32_e32 v8, 0x7f800000
	s_mov_b32 s1, exec_lo
	s_waitcnt vmcnt(0)
	v_cmpx_neq_f32_e32 0, v9
	s_cbranch_execz .LBB17_96
; %bb.89:
	v_mov_b32_e32 v8, 0x7fc00000
	s_mov_b32 s2, exec_lo
	v_cmpx_ngt_f32_e32 0, v9
	s_cbranch_execz .LBB17_95
; %bb.90:
                                        ; implicit-def: $vgpr8
	s_mov_b32 s0, exec_lo
	v_cmpx_ge_f32_e32 2.0, v9
	s_xor_b32 s3, exec_lo, s0
	s_cbranch_execz .LBB17_92
; %bb.91:
	v_fma_f32 v8, v9, 0.5, -2.0
	s_mov_b32 s0, 0x224cf950
	v_fma_f32 v12, v9, v9, -2.0
	v_fmaak_f32 v10, s0, v8, 0xa3c2be86
	s_mov_b32 s0, 0xa3019142
	v_fmaak_f32 v13, s0, v12, 0xa72eea8c
	v_fmaak_f32 v11, v8, v10, 0xa24cf950
	;; [unrolled: 1-line block ×3, first 2 shown]
	v_add_f32_e32 v11, 0x25331f1f, v11
	v_add_f32_e32 v14, 0xab3ba817, v14
	v_fma_f32 v10, v8, v11, -v10
	v_fma_f32 v13, v12, v14, -v13
	v_add_f32_e32 v10, 0xa69f5554, v10
	v_add_f32_e32 v13, 0xaf1b31de, v13
	v_fma_f32 v11, v8, v10, -v11
	v_fma_f32 v14, v12, v13, -v14
	;; [unrolled: 4-line block ×8, first 2 shown]
	v_mul_f32_e32 v13, 0.5, v9
	v_add_f32_e32 v11, 0x2fc751a6, v11
	v_add_f32_e32 v12, 0x3fc33d0a, v12
	v_cmp_gt_f32_e32 vcc_lo, 0x800000, v13
	v_fma_f32 v10, v8, v11, -v10
	v_sub_f32_e32 v12, v12, v14
	v_mul_f32_e32 v14, 0x3fb8aa3b, v9
	v_add_f32_e32 v10, 0xb101b0d9, v10
	v_cndmask_b32_e64 v15, 0, 32, vcc_lo
	v_cndmask_b32_e64 v20, 0, 0x41b17218, vcc_lo
	v_mul_f32_e32 v12, 0.5, v12
	v_rndne_f32_e32 v16, v14
	v_fma_f32 v11, v8, v10, -v11
	v_fma_f32 v18, 0x3fb8aa3b, v9, -v14
	v_ldexp_f32 v13, v13, v15
	v_div_scale_f32 v17, null, v9, v9, v12
	v_add_f32_e32 v11, 0x32212c70, v11
	v_sub_f32_e32 v14, v14, v16
	v_fmamk_f32 v18, v9, 0x32a5705f, v18
	v_rcp_f32_e32 v15, v17
	v_log_f32_e32 v13, v13
	v_fma_f32 v10, v8, v11, -v10
	v_div_scale_f32 v19, s0, v12, v9, v12
	v_add_f32_e32 v14, v14, v18
	v_cmp_ngt_f32_e32 vcc_lo, 0xc2ce8ed0, v9
	v_add_f32_e32 v10, 0xb33ee9f1, v10
	v_exp_f32_e32 v14, v14
	v_fma_f32 v18, -v17, v15, 1.0
	v_fma_f32 v11, v8, v10, -v11
	v_fmac_f32_e32 v15, v18, v15
	v_add_f32_e32 v11, 0x34571a26, v11
	v_mul_f32_e32 v18, 0x3f317217, v13
	v_fma_f32 v10, v8, v11, -v10
	v_fma_f32 v18, 0x3f317217, v13, -v18
	v_add_f32_e32 v10, 0xb56603cc, v10
	v_fmamk_f32 v18, v13, 0x3377d1cf, v18
	v_fma_f32 v11, v8, v10, -v11
	v_fmac_f32_e32 v18, 0x3f317217, v13
	v_add_f32_e32 v11, 0x3668e277, v11
	v_fma_f32 v10, v8, v11, -v10
	v_add_f32_e32 v10, 0xb75eafce, v10
	v_fma_f32 v11, v8, v10, -v11
	;; [unrolled: 2-line block ×12, first 2 shown]
	v_cvt_i32_f32_e32 v10, v16
	v_mul_f32_e32 v16, v19, v15
	v_add_f32_e32 v8, 0x3e81531c, v8
	v_ldexp_f32 v10, v14, v10
	v_fma_f32 v14, -v17, v16, v19
	v_sub_f32_e32 v8, v8, v11
	v_cndmask_b32_e32 v10, 0, v10, vcc_lo
	v_cmp_nlt_f32_e32 vcc_lo, 0x42b17218, v9
	v_fmac_f32_e32 v16, v14, v15
	v_mul_f32_e32 v8, 0.5, v8
	v_cndmask_b32_e32 v10, 0x7f800000, v10, vcc_lo
	v_cmp_gt_f32_e64 vcc_lo, 0x7f800000, |v13|
	v_fma_f32 v11, -v17, v16, v19
	v_mul_f32_e32 v8, v9, v8
	v_cndmask_b32_e32 v13, v13, v18, vcc_lo
	s_mov_b32 vcc_lo, s0
	v_mul_f32_e32 v10, v10, v8
	v_div_fmas_f32 v11, v11, v15, v16
	v_sub_f32_e32 v13, v13, v20
	v_div_fixup_f32 v8, v11, v9, v12
                                        ; implicit-def: $vgpr9
	v_fmac_f32_e32 v8, v13, v10
.LBB17_92:
	s_andn2_saveexec_b32 s3, s3
	s_cbranch_execz .LBB17_94
; %bb.93:
	v_div_scale_f32 v8, null, v9, v9, 0x41000000
	v_div_scale_f32 v12, vcc_lo, 0x41000000, v9, 0x41000000
	s_mov_b32 s0, 0xa2d462ea
	v_rcp_f32_e32 v10, v8
	v_fma_f32 v11, -v8, v10, 1.0
	v_fmac_f32_e32 v10, v11, v10
	v_mul_f32_e32 v11, v12, v10
	v_fma_f32 v13, -v8, v11, v12
	v_fmac_f32_e32 v11, v13, v10
	v_mul_f32_e32 v13, 0xbfb8aa3b, v9
	v_fma_f32 v8, -v8, v11, v12
	v_mul_f32_e32 v12, 0x4f800000, v9
	v_rndne_f32_e32 v14, v13
	v_fma_f32 v15, 0xbfb8aa3b, v9, -v13
	v_div_fmas_f32 v8, v8, v10, v11
	v_cmp_gt_f32_e32 vcc_lo, 0xf800000, v9
	v_sub_f32_e32 v13, v13, v14
	v_fmamk_f32 v15, v9, 0xb2a5705f, v15
	v_cvt_i32_f32_e32 v14, v14
	v_div_fixup_f32 v8, v8, v9, 0x41000000
	v_cndmask_b32_e32 v12, v9, v12, vcc_lo
	v_add_f32_e32 v13, v13, v15
	v_add_f32_e32 v8, -2.0, v8
	v_sqrt_f32_e32 v16, v12
	v_exp_f32_e32 v13, v13
	v_fmaak_f32 v10, s0, v8, 0x23a578d4
	v_fmaak_f32 v11, v8, v10, 0x22d462ea
	v_add_nc_u32_e32 v15, -1, v16
	v_add_nc_u32_e32 v17, 1, v16
	v_add_f32_e32 v11, 0xa48330a9, v11
	v_fma_f32 v18, -v15, v16, v12
	v_fma_f32 v19, -v17, v16, v12
	v_fma_f32 v10, v8, v11, -v10
	v_cmp_ge_f32_e64 s0, 0, v18
	v_add_f32_e32 v10, 0x2553eaf2, v10
	v_cndmask_b32_e64 v15, v16, v15, s0
	v_cmp_lt_f32_e64 s0, 0, v19
	v_fma_f32 v11, v8, v10, -v11
	v_add_f32_e32 v11, 0xa62e951f, v11
	v_fma_f32 v10, v8, v11, -v10
	v_add_f32_e32 v10, 0x2712e76f, v10
	;; [unrolled: 2-line block ×20, first 2 shown]
	v_fma_f32 v8, v8, v10, -v11
	v_ldexp_f32 v10, v13, v14
	v_cndmask_b32_e64 v13, v15, v17, s0
	v_cmp_nlt_f32_e64 s0, 0x42ce8ed0, v9
	v_add_f32_e32 v8, 0x402e1ebd, v8
	v_mul_f32_e32 v14, 0x37800000, v13
	v_cndmask_b32_e64 v10, 0, v10, s0
	v_cmp_ngt_f32_e64 s0, 0xc2b17218, v9
	v_sub_f32_e32 v8, v8, v11
	v_cndmask_b32_e64 v9, 0x7f800000, v10, s0
	v_cndmask_b32_e32 v10, v13, v14, vcc_lo
	v_mul_f32_e32 v8, 0.5, v8
	v_cmp_class_f32_e64 vcc_lo, v12, 0x260
	v_mul_f32_e32 v8, v9, v8
	v_cndmask_b32_e32 v10, v10, v12, vcc_lo
	v_div_scale_f32 v9, null, v10, v10, v8
	v_rcp_f32_e32 v11, v9
	v_fma_f32 v12, -v9, v11, 1.0
	v_fmac_f32_e32 v11, v12, v11
	v_div_scale_f32 v12, vcc_lo, v8, v10, v8
	v_mul_f32_e32 v13, v12, v11
	v_fma_f32 v14, -v9, v13, v12
	v_fmac_f32_e32 v13, v14, v11
	v_fma_f32 v9, -v9, v13, v12
	v_div_fmas_f32 v9, v9, v11, v13
	v_div_fixup_f32 v8, v9, v10, v8
.LBB17_94:
	s_or_b32 exec_lo, exec_lo, s3
.LBB17_95:
	s_or_b32 exec_lo, exec_lo, s2
.LBB17_96:
	s_or_b32 exec_lo, exec_lo, s1
	global_load_dword v5, v5, s[6:7]
	s_mov_b32 s1, exec_lo
	s_waitcnt vmcnt(0)
	v_cmpx_neq_f32_e32 0, v5
	s_cbranch_execz .LBB17_104
; %bb.97:
	v_mov_b32_e32 v7, 0x7fc00000
	s_mov_b32 s2, exec_lo
	v_cmpx_ngt_f32_e32 0, v5
	s_cbranch_execz .LBB17_103
; %bb.98:
                                        ; implicit-def: $vgpr7
	s_mov_b32 s0, exec_lo
	v_cmpx_ge_f32_e32 2.0, v5
	s_xor_b32 s3, exec_lo, s0
	s_cbranch_execz .LBB17_100
; %bb.99:
	v_fma_f32 v7, v5, 0.5, -2.0
	s_mov_b32 s0, 0x224cf950
	v_fma_f32 v11, v5, v5, -2.0
	v_fmaak_f32 v9, s0, v7, 0xa3c2be86
	s_mov_b32 s0, 0xa3019142
	v_fmaak_f32 v12, s0, v11, 0xa72eea8c
	v_fmaak_f32 v10, v7, v9, 0xa24cf950
	;; [unrolled: 1-line block ×3, first 2 shown]
	v_add_f32_e32 v10, 0x25331f1f, v10
	v_add_f32_e32 v13, 0xab3ba817, v13
	v_fma_f32 v9, v7, v10, -v9
	v_fma_f32 v12, v11, v13, -v12
	v_add_f32_e32 v9, 0xa69f5554, v9
	v_add_f32_e32 v12, 0xaf1b31de, v12
	v_fma_f32 v10, v7, v9, -v10
	v_fma_f32 v13, v11, v12, -v13
	;; [unrolled: 4-line block ×8, first 2 shown]
	v_mul_f32_e32 v12, 0.5, v5
	v_add_f32_e32 v10, 0x2fc751a6, v10
	v_add_f32_e32 v11, 0x3fc33d0a, v11
	v_cmp_gt_f32_e32 vcc_lo, 0x800000, v12
	v_fma_f32 v9, v7, v10, -v9
	v_sub_f32_e32 v11, v11, v13
	v_mul_f32_e32 v13, 0x3fb8aa3b, v5
	v_add_f32_e32 v9, 0xb101b0d9, v9
	v_cndmask_b32_e64 v14, 0, 32, vcc_lo
	v_cndmask_b32_e64 v19, 0, 0x41b17218, vcc_lo
	v_mul_f32_e32 v11, 0.5, v11
	v_rndne_f32_e32 v15, v13
	v_fma_f32 v10, v7, v9, -v10
	v_fma_f32 v17, 0x3fb8aa3b, v5, -v13
	v_ldexp_f32 v12, v12, v14
	v_div_scale_f32 v16, null, v5, v5, v11
	v_add_f32_e32 v10, 0x32212c70, v10
	v_sub_f32_e32 v13, v13, v15
	v_fmamk_f32 v17, v5, 0x32a5705f, v17
	v_rcp_f32_e32 v14, v16
	v_log_f32_e32 v12, v12
	v_fma_f32 v9, v7, v10, -v9
	v_div_scale_f32 v18, s0, v11, v5, v11
	v_add_f32_e32 v13, v13, v17
	v_cmp_ngt_f32_e32 vcc_lo, 0xc2ce8ed0, v5
	v_add_f32_e32 v9, 0xb33ee9f1, v9
	v_exp_f32_e32 v13, v13
	v_fma_f32 v17, -v16, v14, 1.0
	v_fma_f32 v10, v7, v9, -v10
	v_fmac_f32_e32 v14, v17, v14
	v_add_f32_e32 v10, 0x34571a26, v10
	v_mul_f32_e32 v17, 0x3f317217, v12
	v_fma_f32 v9, v7, v10, -v9
	v_fma_f32 v17, 0x3f317217, v12, -v17
	v_add_f32_e32 v9, 0xb56603cc, v9
	v_fmamk_f32 v17, v12, 0x3377d1cf, v17
	v_fma_f32 v10, v7, v9, -v10
	v_fmac_f32_e32 v17, 0x3f317217, v12
	v_add_f32_e32 v10, 0x3668e277, v10
	v_fma_f32 v9, v7, v10, -v9
	v_add_f32_e32 v9, 0xb75eafce, v9
	v_fma_f32 v10, v7, v9, -v10
	;; [unrolled: 2-line block ×12, first 2 shown]
	v_cvt_i32_f32_e32 v9, v15
	v_mul_f32_e32 v15, v18, v14
	v_add_f32_e32 v7, 0x3e81531c, v7
	v_ldexp_f32 v9, v13, v9
	v_fma_f32 v13, -v16, v15, v18
	v_sub_f32_e32 v7, v7, v10
	v_cndmask_b32_e32 v9, 0, v9, vcc_lo
	v_cmp_nlt_f32_e32 vcc_lo, 0x42b17218, v5
	v_fmac_f32_e32 v15, v13, v14
	v_mul_f32_e32 v7, 0.5, v7
	v_cndmask_b32_e32 v9, 0x7f800000, v9, vcc_lo
	v_cmp_gt_f32_e64 vcc_lo, 0x7f800000, |v12|
	v_fma_f32 v10, -v16, v15, v18
	v_mul_f32_e32 v7, v5, v7
	v_cndmask_b32_e32 v12, v12, v17, vcc_lo
	s_mov_b32 vcc_lo, s0
	v_mul_f32_e32 v9, v9, v7
	v_div_fmas_f32 v10, v10, v14, v15
	v_sub_f32_e32 v12, v12, v19
	v_div_fixup_f32 v7, v10, v5, v11
                                        ; implicit-def: $vgpr5
	v_fmac_f32_e32 v7, v12, v9
.LBB17_100:
	s_andn2_saveexec_b32 s3, s3
	s_cbranch_execz .LBB17_102
; %bb.101:
	v_div_scale_f32 v7, null, v5, v5, 0x41000000
	v_div_scale_f32 v11, vcc_lo, 0x41000000, v5, 0x41000000
	s_mov_b32 s0, 0xa2d462ea
	v_rcp_f32_e32 v9, v7
	v_fma_f32 v10, -v7, v9, 1.0
	v_fmac_f32_e32 v9, v10, v9
	v_mul_f32_e32 v10, v11, v9
	v_fma_f32 v12, -v7, v10, v11
	v_fmac_f32_e32 v10, v12, v9
	v_mul_f32_e32 v12, 0xbfb8aa3b, v5
	v_fma_f32 v7, -v7, v10, v11
	v_mul_f32_e32 v11, 0x4f800000, v5
	v_rndne_f32_e32 v13, v12
	v_fma_f32 v14, 0xbfb8aa3b, v5, -v12
	v_div_fmas_f32 v7, v7, v9, v10
	v_cmp_gt_f32_e32 vcc_lo, 0xf800000, v5
	v_sub_f32_e32 v12, v12, v13
	v_fmamk_f32 v14, v5, 0xb2a5705f, v14
	v_cvt_i32_f32_e32 v13, v13
	v_div_fixup_f32 v7, v7, v5, 0x41000000
	v_cndmask_b32_e32 v11, v5, v11, vcc_lo
	v_add_f32_e32 v12, v12, v14
	v_add_f32_e32 v7, -2.0, v7
	v_sqrt_f32_e32 v15, v11
	v_exp_f32_e32 v12, v12
	v_fmaak_f32 v9, s0, v7, 0x23a578d4
	v_fmaak_f32 v10, v7, v9, 0x22d462ea
	v_add_nc_u32_e32 v14, -1, v15
	v_add_nc_u32_e32 v16, 1, v15
	v_add_f32_e32 v10, 0xa48330a9, v10
	v_fma_f32 v17, -v14, v15, v11
	v_fma_f32 v18, -v16, v15, v11
	v_fma_f32 v9, v7, v10, -v9
	v_cmp_ge_f32_e64 s0, 0, v17
	v_add_f32_e32 v9, 0x2553eaf2, v9
	v_cndmask_b32_e64 v14, v15, v14, s0
	v_cmp_lt_f32_e64 s0, 0, v18
	v_fma_f32 v10, v7, v9, -v10
	v_add_f32_e32 v10, 0xa62e951f, v10
	v_fma_f32 v9, v7, v10, -v9
	v_add_f32_e32 v9, 0x2712e76f, v9
	;; [unrolled: 2-line block ×20, first 2 shown]
	v_fma_f32 v7, v7, v9, -v10
	v_ldexp_f32 v9, v12, v13
	v_cndmask_b32_e64 v12, v14, v16, s0
	v_cmp_nlt_f32_e64 s0, 0x42ce8ed0, v5
	v_add_f32_e32 v7, 0x402e1ebd, v7
	v_mul_f32_e32 v13, 0x37800000, v12
	v_cndmask_b32_e64 v9, 0, v9, s0
	v_cmp_ngt_f32_e64 s0, 0xc2b17218, v5
	v_sub_f32_e32 v7, v7, v10
	v_cndmask_b32_e64 v5, 0x7f800000, v9, s0
	v_cndmask_b32_e32 v9, v12, v13, vcc_lo
	v_mul_f32_e32 v7, 0.5, v7
	v_cmp_class_f32_e64 vcc_lo, v11, 0x260
	v_mul_f32_e32 v5, v5, v7
	v_cndmask_b32_e32 v9, v9, v11, vcc_lo
	v_div_scale_f32 v7, null, v9, v9, v5
	v_rcp_f32_e32 v10, v7
	v_fma_f32 v11, -v7, v10, 1.0
	v_fmac_f32_e32 v10, v11, v10
	v_div_scale_f32 v11, vcc_lo, v5, v9, v5
	v_mul_f32_e32 v12, v11, v10
	v_fma_f32 v13, -v7, v12, v11
	v_fmac_f32_e32 v12, v13, v10
	v_fma_f32 v7, -v7, v12, v11
	v_div_fmas_f32 v7, v7, v10, v12
	v_div_fixup_f32 v7, v7, v9, v5
.LBB17_102:
	s_or_b32 exec_lo, exec_lo, s3
.LBB17_103:
	s_or_b32 exec_lo, exec_lo, s2
.LBB17_104:
	s_or_b32 exec_lo, exec_lo, s1
	global_store_dword v0, v6, s[4:5]
	global_store_dword v1, v4, s[4:5]
	;; [unrolled: 1-line block ×4, first 2 shown]
	s_endpgm
.LBB17_105:
	v_mov_b32_e32 v0, 0
	v_mov_b32_e32 v2, 0
	s_branch .LBB17_111
.LBB17_106:
	v_mov_b32_e32 v0, 0
	v_mov_b32_e32 v2, 0
	s_branch .LBB17_135
.LBB17_107:
	v_mov_b32_e32 v0, 0
	v_mov_b32_e32 v2, 0
	;; [unrolled: 1-line block ×3, first 2 shown]
	s_mov_b32 s31, 0
.LBB17_108:
	s_and_b32 s33, s33, 3
	s_cmp_eq_u32 s33, 0
	s_cbranch_scc1 .LBB17_111
; %bb.109:
	s_lshl_b32 s0, s31, 3
	s_mul_i32 s20, s31, 12
	s_add_u32 s0, s2, s0
	s_addc_u32 s1, s3, 0
	s_add_u32 s0, s0, 0xc4
	s_addc_u32 s1, s1, 0
	;; [unrolled: 2-line block ×3, first 2 shown]
	.p2align	6
.LBB17_110:                             ; =>This Inner Loop Header: Depth=1
	s_clause 0x1
	s_load_dwordx2 s[34:35], s[20:21], 0x4
	s_load_dword s31, s[20:21], 0xc
	s_load_dwordx2 s[36:37], s[0:1], 0x0
	s_add_u32 s20, s20, 12
	s_addc_u32 s21, s21, 0
	s_add_u32 s0, s0, 8
	s_addc_u32 s1, s1, 0
	s_add_i32 s33, s33, -1
	s_cmp_lg_u32 s33, 0
	s_waitcnt lgkmcnt(0)
	v_mul_hi_u32 v3, s35, v1
	v_add_nc_u32_e32 v3, v1, v3
	v_lshrrev_b32_e32 v5, s31, v3
	v_mul_lo_u32 v3, v5, s34
	v_sub_nc_u32_e32 v3, v1, v3
	v_mad_u64_u32 v[0:1], null, v3, s36, v[0:1]
	v_mad_u64_u32 v[2:3], null, v3, s37, v[2:3]
	v_mov_b32_e32 v1, v5
	s_cbranch_scc1 .LBB17_110
.LBB17_111:
	s_cbranch_execnz .LBB17_114
.LBB17_112:
	s_waitcnt lgkmcnt(0)
	v_mul_hi_u32 v0, s13, v4
	s_andn2_b32 vcc_lo, exec_lo, s26
	v_add_nc_u32_e32 v0, v4, v0
	v_lshrrev_b32_e32 v1, s14, v0
	v_mul_lo_u32 v0, v1, s12
	v_sub_nc_u32_e32 v2, v4, v0
	v_mul_lo_u32 v0, v2, s8
	v_mul_lo_u32 v2, v2, s9
	s_cbranch_vccnz .LBB17_114
; %bb.113:
	v_mul_hi_u32 v3, s16, v1
	v_add_nc_u32_e32 v3, v1, v3
	v_lshrrev_b32_e32 v3, s17, v3
	v_mul_lo_u32 v3, v3, s15
	v_sub_nc_u32_e32 v3, v1, v3
	v_mad_u64_u32 v[0:1], null, v3, s10, v[0:1]
	v_mad_u64_u32 v[2:3], null, v3, s11, v[2:3]
.LBB17_114:
	s_waitcnt lgkmcnt(0)
	global_load_dword v1, v2, s[6:7]
	v_mov_b32_e32 v2, 0x7f800000
	s_mov_b32 s1, exec_lo
	s_waitcnt vmcnt(0)
	v_cmpx_neq_f32_e32 0, v1
	s_cbranch_execz .LBB17_122
; %bb.115:
	v_mov_b32_e32 v2, 0x7fc00000
	s_mov_b32 s20, exec_lo
	v_cmpx_ngt_f32_e32 0, v1
	s_cbranch_execz .LBB17_121
; %bb.116:
                                        ; implicit-def: $vgpr2
	s_mov_b32 s0, exec_lo
	v_cmpx_ge_f32_e32 2.0, v1
	s_xor_b32 s21, exec_lo, s0
	s_cbranch_execz .LBB17_118
; %bb.117:
	v_fma_f32 v2, v1, 0.5, -2.0
	s_mov_b32 s0, 0x224cf950
	v_fma_f32 v6, v1, v1, -2.0
	v_fmaak_f32 v3, s0, v2, 0xa3c2be86
	s_mov_b32 s0, 0xa3019142
	v_fmaak_f32 v7, s0, v6, 0xa72eea8c
	v_fmaak_f32 v5, v2, v3, 0xa24cf950
	;; [unrolled: 1-line block ×3, first 2 shown]
	v_add_f32_e32 v5, 0x25331f1f, v5
	v_add_f32_e32 v8, 0xab3ba817, v8
	v_fma_f32 v3, v2, v5, -v3
	v_fma_f32 v7, v6, v8, -v7
	v_add_f32_e32 v3, 0xa69f5554, v3
	v_add_f32_e32 v7, 0xaf1b31de, v7
	v_fma_f32 v5, v2, v3, -v5
	v_fma_f32 v8, v6, v7, -v8
	;; [unrolled: 4-line block ×8, first 2 shown]
	v_mul_f32_e32 v7, 0.5, v1
	v_add_f32_e32 v5, 0x2fc751a6, v5
	v_add_f32_e32 v6, 0x3fc33d0a, v6
	v_cmp_gt_f32_e32 vcc_lo, 0x800000, v7
	v_fma_f32 v3, v2, v5, -v3
	v_sub_f32_e32 v6, v6, v8
	v_mul_f32_e32 v8, 0x3fb8aa3b, v1
	v_add_f32_e32 v3, 0xb101b0d9, v3
	v_cndmask_b32_e64 v9, 0, 32, vcc_lo
	v_cndmask_b32_e64 v14, 0, 0x41b17218, vcc_lo
	v_mul_f32_e32 v6, 0.5, v6
	v_rndne_f32_e32 v10, v8
	v_fma_f32 v5, v2, v3, -v5
	v_fma_f32 v12, 0x3fb8aa3b, v1, -v8
	v_ldexp_f32 v7, v7, v9
	v_div_scale_f32 v11, null, v1, v1, v6
	v_add_f32_e32 v5, 0x32212c70, v5
	v_sub_f32_e32 v8, v8, v10
	v_fmamk_f32 v12, v1, 0x32a5705f, v12
	v_rcp_f32_e32 v9, v11
	v_log_f32_e32 v7, v7
	v_fma_f32 v3, v2, v5, -v3
	v_div_scale_f32 v13, s0, v6, v1, v6
	v_add_f32_e32 v8, v8, v12
	v_cmp_ngt_f32_e32 vcc_lo, 0xc2ce8ed0, v1
	v_add_f32_e32 v3, 0xb33ee9f1, v3
	v_exp_f32_e32 v8, v8
	v_fma_f32 v12, -v11, v9, 1.0
	v_fma_f32 v5, v2, v3, -v5
	v_fmac_f32_e32 v9, v12, v9
	v_add_f32_e32 v5, 0x34571a26, v5
	v_mul_f32_e32 v12, 0x3f317217, v7
	v_fma_f32 v3, v2, v5, -v3
	v_fma_f32 v12, 0x3f317217, v7, -v12
	v_add_f32_e32 v3, 0xb56603cc, v3
	v_fmamk_f32 v12, v7, 0x3377d1cf, v12
	v_fma_f32 v5, v2, v3, -v5
	v_fmac_f32_e32 v12, 0x3f317217, v7
	v_add_f32_e32 v5, 0x3668e277, v5
	v_fma_f32 v3, v2, v5, -v3
	v_add_f32_e32 v3, 0xb75eafce, v3
	v_fma_f32 v5, v2, v3, -v5
	;; [unrolled: 2-line block ×12, first 2 shown]
	v_cvt_i32_f32_e32 v3, v10
	v_mul_f32_e32 v10, v13, v9
	v_add_f32_e32 v2, 0x3e81531c, v2
	v_ldexp_f32 v3, v8, v3
	v_fma_f32 v8, -v11, v10, v13
	v_sub_f32_e32 v2, v2, v5
	v_cndmask_b32_e32 v3, 0, v3, vcc_lo
	v_cmp_nlt_f32_e32 vcc_lo, 0x42b17218, v1
	v_fmac_f32_e32 v10, v8, v9
	v_mul_f32_e32 v2, 0.5, v2
	v_cndmask_b32_e32 v3, 0x7f800000, v3, vcc_lo
	v_cmp_gt_f32_e64 vcc_lo, 0x7f800000, |v7|
	v_fma_f32 v5, -v11, v10, v13
	v_mul_f32_e32 v2, v1, v2
	v_cndmask_b32_e32 v7, v7, v12, vcc_lo
	s_mov_b32 vcc_lo, s0
	v_mul_f32_e32 v3, v3, v2
	v_div_fmas_f32 v5, v5, v9, v10
	v_sub_f32_e32 v7, v7, v14
	v_div_fixup_f32 v2, v5, v1, v6
                                        ; implicit-def: $vgpr1
	v_fmac_f32_e32 v2, v7, v3
.LBB17_118:
	s_andn2_saveexec_b32 s21, s21
	s_cbranch_execz .LBB17_120
; %bb.119:
	v_div_scale_f32 v2, null, v1, v1, 0x41000000
	v_div_scale_f32 v6, vcc_lo, 0x41000000, v1, 0x41000000
	s_mov_b32 s0, 0xa2d462ea
	v_rcp_f32_e32 v3, v2
	v_fma_f32 v5, -v2, v3, 1.0
	v_fmac_f32_e32 v3, v5, v3
	v_mul_f32_e32 v5, v6, v3
	v_fma_f32 v7, -v2, v5, v6
	v_fmac_f32_e32 v5, v7, v3
	v_mul_f32_e32 v7, 0xbfb8aa3b, v1
	v_fma_f32 v2, -v2, v5, v6
	v_mul_f32_e32 v6, 0x4f800000, v1
	v_rndne_f32_e32 v8, v7
	v_fma_f32 v9, 0xbfb8aa3b, v1, -v7
	v_div_fmas_f32 v2, v2, v3, v5
	v_cmp_gt_f32_e32 vcc_lo, 0xf800000, v1
	v_sub_f32_e32 v7, v7, v8
	v_fmamk_f32 v9, v1, 0xb2a5705f, v9
	v_cvt_i32_f32_e32 v8, v8
	v_div_fixup_f32 v2, v2, v1, 0x41000000
	v_cndmask_b32_e32 v6, v1, v6, vcc_lo
	v_add_f32_e32 v7, v7, v9
	v_add_f32_e32 v2, -2.0, v2
	v_sqrt_f32_e32 v10, v6
	v_exp_f32_e32 v7, v7
	v_fmaak_f32 v3, s0, v2, 0x23a578d4
	v_fmaak_f32 v5, v2, v3, 0x22d462ea
	v_add_nc_u32_e32 v9, -1, v10
	v_add_nc_u32_e32 v11, 1, v10
	v_add_f32_e32 v5, 0xa48330a9, v5
	v_fma_f32 v12, -v9, v10, v6
	v_fma_f32 v13, -v11, v10, v6
	v_fma_f32 v3, v2, v5, -v3
	v_cmp_ge_f32_e64 s0, 0, v12
	v_add_f32_e32 v3, 0x2553eaf2, v3
	v_cndmask_b32_e64 v9, v10, v9, s0
	v_cmp_lt_f32_e64 s0, 0, v13
	v_fma_f32 v5, v2, v3, -v5
	v_add_f32_e32 v5, 0xa62e951f, v5
	v_fma_f32 v3, v2, v5, -v3
	v_add_f32_e32 v3, 0x2712e76f, v3
	;; [unrolled: 2-line block ×20, first 2 shown]
	v_fma_f32 v2, v2, v3, -v5
	v_ldexp_f32 v3, v7, v8
	v_cndmask_b32_e64 v7, v9, v11, s0
	v_cmp_nlt_f32_e64 s0, 0x42ce8ed0, v1
	v_add_f32_e32 v2, 0x402e1ebd, v2
	v_mul_f32_e32 v8, 0x37800000, v7
	v_cndmask_b32_e64 v3, 0, v3, s0
	v_cmp_ngt_f32_e64 s0, 0xc2b17218, v1
	v_sub_f32_e32 v2, v2, v5
	v_cndmask_b32_e64 v1, 0x7f800000, v3, s0
	v_cndmask_b32_e32 v3, v7, v8, vcc_lo
	v_mul_f32_e32 v2, 0.5, v2
	v_cmp_class_f32_e64 vcc_lo, v6, 0x260
	v_mul_f32_e32 v1, v1, v2
	v_cndmask_b32_e32 v3, v3, v6, vcc_lo
	v_div_scale_f32 v2, null, v3, v3, v1
	v_rcp_f32_e32 v5, v2
	v_fma_f32 v6, -v2, v5, 1.0
	v_fmac_f32_e32 v5, v6, v5
	v_div_scale_f32 v6, vcc_lo, v1, v3, v1
	v_mul_f32_e32 v7, v6, v5
	v_fma_f32 v8, -v2, v7, v6
	v_fmac_f32_e32 v7, v8, v5
	v_fma_f32 v2, -v2, v7, v6
	v_div_fmas_f32 v2, v2, v5, v7
	v_div_fixup_f32 v2, v2, v3, v1
.LBB17_120:
	s_or_b32 exec_lo, exec_lo, s21
.LBB17_121:
	s_or_b32 exec_lo, exec_lo, s20
.LBB17_122:
	s_or_b32 exec_lo, exec_lo, s1
	v_add_nc_u32_e32 v4, 0x80, v4
	global_store_dword v0, v2, s[4:5]
	s_or_b32 exec_lo, exec_lo, s30
	s_mov_b32 s30, exec_lo
	v_cmpx_gt_i32_e64 s27, v4
	s_cbranch_execnz .LBB17_15
.LBB17_123:
	s_or_b32 exec_lo, exec_lo, s30
	s_mov_b32 s30, exec_lo
	v_cmpx_gt_i32_e64 s27, v4
	s_cbranch_execz .LBB17_147
.LBB17_124:
	s_andn2_b32 vcc_lo, exec_lo, s24
	s_cbranch_vccnz .LBB17_129
; %bb.125:
	s_andn2_b32 vcc_lo, exec_lo, s29
	s_cbranch_vccnz .LBB17_130
; %bb.126:
	s_add_i32 s33, s28, 1
	s_cmp_eq_u32 s23, 2
	s_cbranch_scc1 .LBB17_150
; %bb.127:
	v_mov_b32_e32 v2, 0
	v_mov_b32_e32 v0, 0
	;; [unrolled: 1-line block ×3, first 2 shown]
	s_and_b32 s31, s33, 28
	s_mov_b32 s34, 0
	s_mov_b64 s[0:1], s[2:3]
	s_mov_b64 s[20:21], s[18:19]
.LBB17_128:                             ; =>This Inner Loop Header: Depth=1
	s_clause 0x1
	s_load_dwordx8 s[36:43], s[0:1], 0x4
	s_load_dwordx4 s[52:55], s[0:1], 0x24
	s_load_dwordx8 s[44:51], s[20:21], 0x0
	s_add_u32 s0, s0, 48
	s_addc_u32 s1, s1, 0
	s_add_i32 s34, s34, 4
	s_add_u32 s20, s20, 32
	s_addc_u32 s21, s21, 0
	s_cmp_eq_u32 s31, s34
	s_waitcnt lgkmcnt(0)
	v_mul_hi_u32 v3, s37, v1
	v_add_nc_u32_e32 v3, v1, v3
	v_lshrrev_b32_e32 v3, s38, v3
	v_mul_hi_u32 v5, s40, v3
	v_mul_lo_u32 v7, v3, s36
	v_add_nc_u32_e32 v5, v3, v5
	v_sub_nc_u32_e32 v1, v1, v7
	v_lshrrev_b32_e32 v5, s41, v5
	v_mul_lo_u32 v7, v1, s44
	v_mul_lo_u32 v9, v1, s45
	v_mul_hi_u32 v6, s43, v5
	v_add_nc_u32_e32 v6, v5, v6
	v_lshrrev_b32_e32 v6, s52, v6
	v_mul_hi_u32 v8, s54, v6
	v_mul_lo_u32 v10, v6, s42
	v_add_nc_u32_e32 v1, v6, v8
	v_mul_lo_u32 v8, v5, s39
	v_sub_nc_u32_e32 v5, v5, v10
	v_lshrrev_b32_e32 v1, s55, v1
	v_mul_lo_u32 v10, v5, s48
	v_mul_lo_u32 v5, v5, s49
	v_sub_nc_u32_e32 v3, v3, v8
	v_mul_lo_u32 v11, v1, s53
	v_mul_lo_u32 v8, v3, s46
	v_mul_lo_u32 v3, v3, s47
	v_sub_nc_u32_e32 v6, v6, v11
	v_add3_u32 v0, v7, v0, v8
	v_mul_lo_u32 v11, v6, s50
	v_mul_lo_u32 v6, v6, s51
	v_add3_u32 v2, v9, v2, v3
	v_add3_u32 v0, v10, v0, v11
	;; [unrolled: 1-line block ×3, first 2 shown]
	s_cbranch_scc0 .LBB17_128
	s_branch .LBB17_151
.LBB17_129:
                                        ; implicit-def: $vgpr0
                                        ; implicit-def: $vgpr2
	s_branch .LBB17_155
.LBB17_130:
	v_mov_b32_e32 v0, 0
	v_mov_b32_e32 v2, 0
	s_branch .LBB17_154
.LBB17_131:
	v_mov_b32_e32 v0, 0
	v_mov_b32_e32 v2, 0
	v_mov_b32_e32 v1, v4
	s_mov_b32 s31, 0
.LBB17_132:
	s_and_b32 s33, s33, 3
	s_cmp_eq_u32 s33, 0
	s_cbranch_scc1 .LBB17_135
; %bb.133:
	s_lshl_b32 s0, s31, 3
	s_mul_i32 s20, s31, 12
	s_add_u32 s0, s2, s0
	s_addc_u32 s1, s3, 0
	s_add_u32 s0, s0, 0xc4
	s_addc_u32 s1, s1, 0
	;; [unrolled: 2-line block ×3, first 2 shown]
	.p2align	6
.LBB17_134:                             ; =>This Inner Loop Header: Depth=1
	s_clause 0x1
	s_load_dwordx2 s[34:35], s[20:21], 0x4
	s_load_dword s31, s[20:21], 0xc
	s_load_dwordx2 s[36:37], s[0:1], 0x0
	s_add_u32 s20, s20, 12
	s_addc_u32 s21, s21, 0
	s_add_u32 s0, s0, 8
	s_addc_u32 s1, s1, 0
	s_add_i32 s33, s33, -1
	s_cmp_lg_u32 s33, 0
	s_waitcnt lgkmcnt(0)
	v_mul_hi_u32 v3, s35, v1
	v_add_nc_u32_e32 v3, v1, v3
	v_lshrrev_b32_e32 v5, s31, v3
	v_mul_lo_u32 v3, v5, s34
	v_sub_nc_u32_e32 v3, v1, v3
	v_mad_u64_u32 v[0:1], null, v3, s36, v[0:1]
	v_mad_u64_u32 v[2:3], null, v3, s37, v[2:3]
	v_mov_b32_e32 v1, v5
	s_cbranch_scc1 .LBB17_134
.LBB17_135:
	s_cbranch_execnz .LBB17_138
.LBB17_136:
	s_waitcnt lgkmcnt(0)
	v_mul_hi_u32 v0, s13, v4
	s_andn2_b32 vcc_lo, exec_lo, s26
	v_add_nc_u32_e32 v0, v4, v0
	v_lshrrev_b32_e32 v1, s14, v0
	v_mul_lo_u32 v0, v1, s12
	v_sub_nc_u32_e32 v2, v4, v0
	v_mul_lo_u32 v0, v2, s8
	v_mul_lo_u32 v2, v2, s9
	s_cbranch_vccnz .LBB17_138
; %bb.137:
	v_mul_hi_u32 v3, s16, v1
	v_add_nc_u32_e32 v3, v1, v3
	v_lshrrev_b32_e32 v3, s17, v3
	v_mul_lo_u32 v3, v3, s15
	v_sub_nc_u32_e32 v3, v1, v3
	v_mad_u64_u32 v[0:1], null, v3, s10, v[0:1]
	v_mad_u64_u32 v[2:3], null, v3, s11, v[2:3]
.LBB17_138:
	s_waitcnt lgkmcnt(0)
	global_load_dword v1, v2, s[6:7]
	v_mov_b32_e32 v2, 0x7f800000
	s_mov_b32 s1, exec_lo
	s_waitcnt vmcnt(0)
	v_cmpx_neq_f32_e32 0, v1
	s_cbranch_execz .LBB17_146
; %bb.139:
	v_mov_b32_e32 v2, 0x7fc00000
	s_mov_b32 s20, exec_lo
	v_cmpx_ngt_f32_e32 0, v1
	s_cbranch_execz .LBB17_145
; %bb.140:
                                        ; implicit-def: $vgpr2
	s_mov_b32 s0, exec_lo
	v_cmpx_ge_f32_e32 2.0, v1
	s_xor_b32 s21, exec_lo, s0
	s_cbranch_execz .LBB17_142
; %bb.141:
	v_fma_f32 v2, v1, 0.5, -2.0
	s_mov_b32 s0, 0x224cf950
	v_fma_f32 v6, v1, v1, -2.0
	v_fmaak_f32 v3, s0, v2, 0xa3c2be86
	s_mov_b32 s0, 0xa3019142
	v_fmaak_f32 v7, s0, v6, 0xa72eea8c
	v_fmaak_f32 v5, v2, v3, 0xa24cf950
	;; [unrolled: 1-line block ×3, first 2 shown]
	v_add_f32_e32 v5, 0x25331f1f, v5
	v_add_f32_e32 v8, 0xab3ba817, v8
	v_fma_f32 v3, v2, v5, -v3
	v_fma_f32 v7, v6, v8, -v7
	v_add_f32_e32 v3, 0xa69f5554, v3
	v_add_f32_e32 v7, 0xaf1b31de, v7
	v_fma_f32 v5, v2, v3, -v5
	v_fma_f32 v8, v6, v7, -v8
	;; [unrolled: 4-line block ×8, first 2 shown]
	v_mul_f32_e32 v7, 0.5, v1
	v_add_f32_e32 v5, 0x2fc751a6, v5
	v_add_f32_e32 v6, 0x3fc33d0a, v6
	v_cmp_gt_f32_e32 vcc_lo, 0x800000, v7
	v_fma_f32 v3, v2, v5, -v3
	v_sub_f32_e32 v6, v6, v8
	v_mul_f32_e32 v8, 0x3fb8aa3b, v1
	v_add_f32_e32 v3, 0xb101b0d9, v3
	v_cndmask_b32_e64 v9, 0, 32, vcc_lo
	v_cndmask_b32_e64 v14, 0, 0x41b17218, vcc_lo
	v_mul_f32_e32 v6, 0.5, v6
	v_rndne_f32_e32 v10, v8
	v_fma_f32 v5, v2, v3, -v5
	v_fma_f32 v12, 0x3fb8aa3b, v1, -v8
	v_ldexp_f32 v7, v7, v9
	v_div_scale_f32 v11, null, v1, v1, v6
	v_add_f32_e32 v5, 0x32212c70, v5
	v_sub_f32_e32 v8, v8, v10
	v_fmamk_f32 v12, v1, 0x32a5705f, v12
	v_rcp_f32_e32 v9, v11
	v_log_f32_e32 v7, v7
	v_fma_f32 v3, v2, v5, -v3
	v_div_scale_f32 v13, s0, v6, v1, v6
	v_add_f32_e32 v8, v8, v12
	v_cmp_ngt_f32_e32 vcc_lo, 0xc2ce8ed0, v1
	v_add_f32_e32 v3, 0xb33ee9f1, v3
	v_exp_f32_e32 v8, v8
	v_fma_f32 v12, -v11, v9, 1.0
	v_fma_f32 v5, v2, v3, -v5
	v_fmac_f32_e32 v9, v12, v9
	v_add_f32_e32 v5, 0x34571a26, v5
	v_mul_f32_e32 v12, 0x3f317217, v7
	v_fma_f32 v3, v2, v5, -v3
	v_fma_f32 v12, 0x3f317217, v7, -v12
	v_add_f32_e32 v3, 0xb56603cc, v3
	v_fmamk_f32 v12, v7, 0x3377d1cf, v12
	v_fma_f32 v5, v2, v3, -v5
	v_fmac_f32_e32 v12, 0x3f317217, v7
	v_add_f32_e32 v5, 0x3668e277, v5
	v_fma_f32 v3, v2, v5, -v3
	v_add_f32_e32 v3, 0xb75eafce, v3
	v_fma_f32 v5, v2, v3, -v5
	;; [unrolled: 2-line block ×12, first 2 shown]
	v_cvt_i32_f32_e32 v3, v10
	v_mul_f32_e32 v10, v13, v9
	v_add_f32_e32 v2, 0x3e81531c, v2
	v_ldexp_f32 v3, v8, v3
	v_fma_f32 v8, -v11, v10, v13
	v_sub_f32_e32 v2, v2, v5
	v_cndmask_b32_e32 v3, 0, v3, vcc_lo
	v_cmp_nlt_f32_e32 vcc_lo, 0x42b17218, v1
	v_fmac_f32_e32 v10, v8, v9
	v_mul_f32_e32 v2, 0.5, v2
	v_cndmask_b32_e32 v3, 0x7f800000, v3, vcc_lo
	v_cmp_gt_f32_e64 vcc_lo, 0x7f800000, |v7|
	v_fma_f32 v5, -v11, v10, v13
	v_mul_f32_e32 v2, v1, v2
	v_cndmask_b32_e32 v7, v7, v12, vcc_lo
	s_mov_b32 vcc_lo, s0
	v_mul_f32_e32 v3, v3, v2
	v_div_fmas_f32 v5, v5, v9, v10
	v_sub_f32_e32 v7, v7, v14
	v_div_fixup_f32 v2, v5, v1, v6
                                        ; implicit-def: $vgpr1
	v_fmac_f32_e32 v2, v7, v3
.LBB17_142:
	s_andn2_saveexec_b32 s21, s21
	s_cbranch_execz .LBB17_144
; %bb.143:
	v_div_scale_f32 v2, null, v1, v1, 0x41000000
	v_div_scale_f32 v6, vcc_lo, 0x41000000, v1, 0x41000000
	s_mov_b32 s0, 0xa2d462ea
	v_rcp_f32_e32 v3, v2
	v_fma_f32 v5, -v2, v3, 1.0
	v_fmac_f32_e32 v3, v5, v3
	v_mul_f32_e32 v5, v6, v3
	v_fma_f32 v7, -v2, v5, v6
	v_fmac_f32_e32 v5, v7, v3
	v_mul_f32_e32 v7, 0xbfb8aa3b, v1
	v_fma_f32 v2, -v2, v5, v6
	v_mul_f32_e32 v6, 0x4f800000, v1
	v_rndne_f32_e32 v8, v7
	v_fma_f32 v9, 0xbfb8aa3b, v1, -v7
	v_div_fmas_f32 v2, v2, v3, v5
	v_cmp_gt_f32_e32 vcc_lo, 0xf800000, v1
	v_sub_f32_e32 v7, v7, v8
	v_fmamk_f32 v9, v1, 0xb2a5705f, v9
	v_cvt_i32_f32_e32 v8, v8
	v_div_fixup_f32 v2, v2, v1, 0x41000000
	v_cndmask_b32_e32 v6, v1, v6, vcc_lo
	v_add_f32_e32 v7, v7, v9
	v_add_f32_e32 v2, -2.0, v2
	v_sqrt_f32_e32 v10, v6
	v_exp_f32_e32 v7, v7
	v_fmaak_f32 v3, s0, v2, 0x23a578d4
	v_fmaak_f32 v5, v2, v3, 0x22d462ea
	v_add_nc_u32_e32 v9, -1, v10
	v_add_nc_u32_e32 v11, 1, v10
	v_add_f32_e32 v5, 0xa48330a9, v5
	v_fma_f32 v12, -v9, v10, v6
	v_fma_f32 v13, -v11, v10, v6
	v_fma_f32 v3, v2, v5, -v3
	v_cmp_ge_f32_e64 s0, 0, v12
	v_add_f32_e32 v3, 0x2553eaf2, v3
	v_cndmask_b32_e64 v9, v10, v9, s0
	v_cmp_lt_f32_e64 s0, 0, v13
	v_fma_f32 v5, v2, v3, -v5
	v_add_f32_e32 v5, 0xa62e951f, v5
	v_fma_f32 v3, v2, v5, -v3
	v_add_f32_e32 v3, 0x2712e76f, v3
	;; [unrolled: 2-line block ×20, first 2 shown]
	v_fma_f32 v2, v2, v3, -v5
	v_ldexp_f32 v3, v7, v8
	v_cndmask_b32_e64 v7, v9, v11, s0
	v_cmp_nlt_f32_e64 s0, 0x42ce8ed0, v1
	v_add_f32_e32 v2, 0x402e1ebd, v2
	v_mul_f32_e32 v8, 0x37800000, v7
	v_cndmask_b32_e64 v3, 0, v3, s0
	v_cmp_ngt_f32_e64 s0, 0xc2b17218, v1
	v_sub_f32_e32 v2, v2, v5
	v_cndmask_b32_e64 v1, 0x7f800000, v3, s0
	v_cndmask_b32_e32 v3, v7, v8, vcc_lo
	v_mul_f32_e32 v2, 0.5, v2
	v_cmp_class_f32_e64 vcc_lo, v6, 0x260
	v_mul_f32_e32 v1, v1, v2
	v_cndmask_b32_e32 v3, v3, v6, vcc_lo
	v_div_scale_f32 v2, null, v3, v3, v1
	v_rcp_f32_e32 v5, v2
	v_fma_f32 v6, -v2, v5, 1.0
	v_fmac_f32_e32 v5, v6, v5
	v_div_scale_f32 v6, vcc_lo, v1, v3, v1
	v_mul_f32_e32 v7, v6, v5
	v_fma_f32 v8, -v2, v7, v6
	v_fmac_f32_e32 v7, v8, v5
	v_fma_f32 v2, -v2, v7, v6
	v_div_fmas_f32 v2, v2, v5, v7
	v_div_fixup_f32 v2, v2, v3, v1
.LBB17_144:
	s_or_b32 exec_lo, exec_lo, s21
.LBB17_145:
	s_or_b32 exec_lo, exec_lo, s20
.LBB17_146:
	s_or_b32 exec_lo, exec_lo, s1
	v_add_nc_u32_e32 v4, 0x80, v4
	global_store_dword v0, v2, s[4:5]
	s_or_b32 exec_lo, exec_lo, s30
	s_mov_b32 s30, exec_lo
	v_cmpx_gt_i32_e64 s27, v4
	s_cbranch_execnz .LBB17_124
.LBB17_147:
	s_or_b32 exec_lo, exec_lo, s30
	s_mov_b32 s20, exec_lo
	v_cmpx_gt_i32_e64 s27, v4
	s_cbranch_execnz .LBB17_166
.LBB17_148:
	s_or_b32 exec_lo, exec_lo, s20
                                        ; implicit-def: $vgpr13
                                        ; implicit-def: $vgpr4
	s_andn2_saveexec_b32 s0, s25
	s_cbranch_execnz .LBB17_8
.LBB17_149:
	s_endpgm
.LBB17_150:
	v_mov_b32_e32 v0, 0
	v_mov_b32_e32 v2, 0
	;; [unrolled: 1-line block ×3, first 2 shown]
	s_mov_b32 s31, 0
.LBB17_151:
	s_and_b32 s33, s33, 3
	s_cmp_eq_u32 s33, 0
	s_cbranch_scc1 .LBB17_154
; %bb.152:
	s_lshl_b32 s0, s31, 3
	s_mul_i32 s20, s31, 12
	s_add_u32 s0, s2, s0
	s_addc_u32 s1, s3, 0
	s_add_u32 s0, s0, 0xc4
	s_addc_u32 s1, s1, 0
	;; [unrolled: 2-line block ×3, first 2 shown]
	.p2align	6
.LBB17_153:                             ; =>This Inner Loop Header: Depth=1
	s_clause 0x1
	s_load_dwordx2 s[34:35], s[20:21], 0x4
	s_load_dword s31, s[20:21], 0xc
	s_load_dwordx2 s[36:37], s[0:1], 0x0
	s_add_u32 s20, s20, 12
	s_addc_u32 s21, s21, 0
	s_add_u32 s0, s0, 8
	s_addc_u32 s1, s1, 0
	s_add_i32 s33, s33, -1
	s_cmp_lg_u32 s33, 0
	s_waitcnt lgkmcnt(0)
	v_mul_hi_u32 v3, s35, v1
	v_add_nc_u32_e32 v3, v1, v3
	v_lshrrev_b32_e32 v5, s31, v3
	v_mul_lo_u32 v3, v5, s34
	v_sub_nc_u32_e32 v3, v1, v3
	v_mad_u64_u32 v[0:1], null, v3, s36, v[0:1]
	v_mad_u64_u32 v[2:3], null, v3, s37, v[2:3]
	v_mov_b32_e32 v1, v5
	s_cbranch_scc1 .LBB17_153
.LBB17_154:
	s_cbranch_execnz .LBB17_157
.LBB17_155:
	s_waitcnt lgkmcnt(0)
	v_mul_hi_u32 v0, s13, v4
	s_andn2_b32 vcc_lo, exec_lo, s26
	v_add_nc_u32_e32 v0, v4, v0
	v_lshrrev_b32_e32 v1, s14, v0
	v_mul_lo_u32 v0, v1, s12
	v_sub_nc_u32_e32 v2, v4, v0
	v_mul_lo_u32 v0, v2, s8
	v_mul_lo_u32 v2, v2, s9
	s_cbranch_vccnz .LBB17_157
; %bb.156:
	v_mul_hi_u32 v3, s16, v1
	v_add_nc_u32_e32 v3, v1, v3
	v_lshrrev_b32_e32 v3, s17, v3
	v_mul_lo_u32 v3, v3, s15
	v_sub_nc_u32_e32 v3, v1, v3
	v_mad_u64_u32 v[0:1], null, v3, s10, v[0:1]
	v_mad_u64_u32 v[2:3], null, v3, s11, v[2:3]
.LBB17_157:
	s_waitcnt lgkmcnt(0)
	global_load_dword v1, v2, s[6:7]
	v_mov_b32_e32 v2, 0x7f800000
	s_mov_b32 s1, exec_lo
	s_waitcnt vmcnt(0)
	v_cmpx_neq_f32_e32 0, v1
	s_cbranch_execz .LBB17_165
; %bb.158:
	v_mov_b32_e32 v2, 0x7fc00000
	s_mov_b32 s20, exec_lo
	v_cmpx_ngt_f32_e32 0, v1
	s_cbranch_execz .LBB17_164
; %bb.159:
                                        ; implicit-def: $vgpr2
	s_mov_b32 s0, exec_lo
	v_cmpx_ge_f32_e32 2.0, v1
	s_xor_b32 s21, exec_lo, s0
	s_cbranch_execz .LBB17_161
; %bb.160:
	v_fma_f32 v2, v1, 0.5, -2.0
	s_mov_b32 s0, 0x224cf950
	v_fma_f32 v6, v1, v1, -2.0
	v_fmaak_f32 v3, s0, v2, 0xa3c2be86
	s_mov_b32 s0, 0xa3019142
	v_fmaak_f32 v7, s0, v6, 0xa72eea8c
	v_fmaak_f32 v5, v2, v3, 0xa24cf950
	;; [unrolled: 1-line block ×3, first 2 shown]
	v_add_f32_e32 v5, 0x25331f1f, v5
	v_add_f32_e32 v8, 0xab3ba817, v8
	v_fma_f32 v3, v2, v5, -v3
	v_fma_f32 v7, v6, v8, -v7
	v_add_f32_e32 v3, 0xa69f5554, v3
	v_add_f32_e32 v7, 0xaf1b31de, v7
	v_fma_f32 v5, v2, v3, -v5
	v_fma_f32 v8, v6, v7, -v8
	;; [unrolled: 4-line block ×8, first 2 shown]
	v_mul_f32_e32 v7, 0.5, v1
	v_add_f32_e32 v5, 0x2fc751a6, v5
	v_add_f32_e32 v6, 0x3fc33d0a, v6
	v_cmp_gt_f32_e32 vcc_lo, 0x800000, v7
	v_fma_f32 v3, v2, v5, -v3
	v_sub_f32_e32 v6, v6, v8
	v_mul_f32_e32 v8, 0x3fb8aa3b, v1
	v_add_f32_e32 v3, 0xb101b0d9, v3
	v_cndmask_b32_e64 v9, 0, 32, vcc_lo
	v_cndmask_b32_e64 v14, 0, 0x41b17218, vcc_lo
	v_mul_f32_e32 v6, 0.5, v6
	v_rndne_f32_e32 v10, v8
	v_fma_f32 v5, v2, v3, -v5
	v_fma_f32 v12, 0x3fb8aa3b, v1, -v8
	v_ldexp_f32 v7, v7, v9
	v_div_scale_f32 v11, null, v1, v1, v6
	v_add_f32_e32 v5, 0x32212c70, v5
	v_sub_f32_e32 v8, v8, v10
	v_fmamk_f32 v12, v1, 0x32a5705f, v12
	v_rcp_f32_e32 v9, v11
	v_log_f32_e32 v7, v7
	v_fma_f32 v3, v2, v5, -v3
	v_div_scale_f32 v13, s0, v6, v1, v6
	v_add_f32_e32 v8, v8, v12
	v_cmp_ngt_f32_e32 vcc_lo, 0xc2ce8ed0, v1
	v_add_f32_e32 v3, 0xb33ee9f1, v3
	v_exp_f32_e32 v8, v8
	v_fma_f32 v12, -v11, v9, 1.0
	v_fma_f32 v5, v2, v3, -v5
	v_fmac_f32_e32 v9, v12, v9
	v_add_f32_e32 v5, 0x34571a26, v5
	v_mul_f32_e32 v12, 0x3f317217, v7
	v_fma_f32 v3, v2, v5, -v3
	v_fma_f32 v12, 0x3f317217, v7, -v12
	v_add_f32_e32 v3, 0xb56603cc, v3
	v_fmamk_f32 v12, v7, 0x3377d1cf, v12
	v_fma_f32 v5, v2, v3, -v5
	v_fmac_f32_e32 v12, 0x3f317217, v7
	v_add_f32_e32 v5, 0x3668e277, v5
	v_fma_f32 v3, v2, v5, -v3
	v_add_f32_e32 v3, 0xb75eafce, v3
	v_fma_f32 v5, v2, v3, -v5
	;; [unrolled: 2-line block ×12, first 2 shown]
	v_cvt_i32_f32_e32 v3, v10
	v_mul_f32_e32 v10, v13, v9
	v_add_f32_e32 v2, 0x3e81531c, v2
	v_ldexp_f32 v3, v8, v3
	v_fma_f32 v8, -v11, v10, v13
	v_sub_f32_e32 v2, v2, v5
	v_cndmask_b32_e32 v3, 0, v3, vcc_lo
	v_cmp_nlt_f32_e32 vcc_lo, 0x42b17218, v1
	v_fmac_f32_e32 v10, v8, v9
	v_mul_f32_e32 v2, 0.5, v2
	v_cndmask_b32_e32 v3, 0x7f800000, v3, vcc_lo
	v_cmp_gt_f32_e64 vcc_lo, 0x7f800000, |v7|
	v_fma_f32 v5, -v11, v10, v13
	v_mul_f32_e32 v2, v1, v2
	v_cndmask_b32_e32 v7, v7, v12, vcc_lo
	s_mov_b32 vcc_lo, s0
	v_mul_f32_e32 v3, v3, v2
	v_div_fmas_f32 v5, v5, v9, v10
	v_sub_f32_e32 v7, v7, v14
	v_div_fixup_f32 v2, v5, v1, v6
                                        ; implicit-def: $vgpr1
	v_fmac_f32_e32 v2, v7, v3
.LBB17_161:
	s_andn2_saveexec_b32 s21, s21
	s_cbranch_execz .LBB17_163
; %bb.162:
	v_div_scale_f32 v2, null, v1, v1, 0x41000000
	v_div_scale_f32 v6, vcc_lo, 0x41000000, v1, 0x41000000
	s_mov_b32 s0, 0xa2d462ea
	v_rcp_f32_e32 v3, v2
	v_fma_f32 v5, -v2, v3, 1.0
	v_fmac_f32_e32 v3, v5, v3
	v_mul_f32_e32 v5, v6, v3
	v_fma_f32 v7, -v2, v5, v6
	v_fmac_f32_e32 v5, v7, v3
	v_mul_f32_e32 v7, 0xbfb8aa3b, v1
	v_fma_f32 v2, -v2, v5, v6
	v_mul_f32_e32 v6, 0x4f800000, v1
	v_rndne_f32_e32 v8, v7
	v_fma_f32 v9, 0xbfb8aa3b, v1, -v7
	v_div_fmas_f32 v2, v2, v3, v5
	v_cmp_gt_f32_e32 vcc_lo, 0xf800000, v1
	v_sub_f32_e32 v7, v7, v8
	v_fmamk_f32 v9, v1, 0xb2a5705f, v9
	v_cvt_i32_f32_e32 v8, v8
	v_div_fixup_f32 v2, v2, v1, 0x41000000
	v_cndmask_b32_e32 v6, v1, v6, vcc_lo
	v_add_f32_e32 v7, v7, v9
	v_add_f32_e32 v2, -2.0, v2
	v_sqrt_f32_e32 v10, v6
	v_exp_f32_e32 v7, v7
	v_fmaak_f32 v3, s0, v2, 0x23a578d4
	v_fmaak_f32 v5, v2, v3, 0x22d462ea
	v_add_nc_u32_e32 v9, -1, v10
	v_add_nc_u32_e32 v11, 1, v10
	v_add_f32_e32 v5, 0xa48330a9, v5
	v_fma_f32 v12, -v9, v10, v6
	v_fma_f32 v13, -v11, v10, v6
	v_fma_f32 v3, v2, v5, -v3
	v_cmp_ge_f32_e64 s0, 0, v12
	v_add_f32_e32 v3, 0x2553eaf2, v3
	v_cndmask_b32_e64 v9, v10, v9, s0
	v_cmp_lt_f32_e64 s0, 0, v13
	v_fma_f32 v5, v2, v3, -v5
	v_add_f32_e32 v5, 0xa62e951f, v5
	v_fma_f32 v3, v2, v5, -v3
	v_add_f32_e32 v3, 0x2712e76f, v3
	;; [unrolled: 2-line block ×20, first 2 shown]
	v_fma_f32 v2, v2, v3, -v5
	v_ldexp_f32 v3, v7, v8
	v_cndmask_b32_e64 v7, v9, v11, s0
	v_cmp_nlt_f32_e64 s0, 0x42ce8ed0, v1
	v_add_f32_e32 v2, 0x402e1ebd, v2
	v_mul_f32_e32 v8, 0x37800000, v7
	v_cndmask_b32_e64 v3, 0, v3, s0
	v_cmp_ngt_f32_e64 s0, 0xc2b17218, v1
	v_sub_f32_e32 v2, v2, v5
	v_cndmask_b32_e64 v1, 0x7f800000, v3, s0
	v_cndmask_b32_e32 v3, v7, v8, vcc_lo
	v_mul_f32_e32 v2, 0.5, v2
	v_cmp_class_f32_e64 vcc_lo, v6, 0x260
	v_mul_f32_e32 v1, v1, v2
	v_cndmask_b32_e32 v3, v3, v6, vcc_lo
	v_div_scale_f32 v2, null, v3, v3, v1
	v_rcp_f32_e32 v5, v2
	v_fma_f32 v6, -v2, v5, 1.0
	v_fmac_f32_e32 v5, v6, v5
	v_div_scale_f32 v6, vcc_lo, v1, v3, v1
	v_mul_f32_e32 v7, v6, v5
	v_fma_f32 v8, -v2, v7, v6
	v_fmac_f32_e32 v7, v8, v5
	v_fma_f32 v2, -v2, v7, v6
	v_div_fmas_f32 v2, v2, v5, v7
	v_div_fixup_f32 v2, v2, v3, v1
.LBB17_163:
	s_or_b32 exec_lo, exec_lo, s21
.LBB17_164:
	s_or_b32 exec_lo, exec_lo, s20
.LBB17_165:
	s_or_b32 exec_lo, exec_lo, s1
	v_add_nc_u32_e32 v4, 0x80, v4
	global_store_dword v0, v2, s[4:5]
	s_or_b32 exec_lo, exec_lo, s30
	s_mov_b32 s20, exec_lo
	v_cmpx_gt_i32_e64 s27, v4
	s_cbranch_execz .LBB17_148
.LBB17_166:
	s_andn2_b32 vcc_lo, exec_lo, s24
	s_cbranch_vccnz .LBB17_171
; %bb.167:
	s_andn2_b32 vcc_lo, exec_lo, s29
	s_cbranch_vccnz .LBB17_172
; %bb.168:
	s_add_i32 s28, s28, 1
	s_cmp_eq_u32 s23, 2
	s_cbranch_scc1 .LBB17_173
; %bb.169:
	v_mov_b32_e32 v2, 0
	v_mov_b32_e32 v0, 0
	;; [unrolled: 1-line block ×3, first 2 shown]
	s_and_b32 s21, s28, 28
	s_mov_b32 s27, 0
	s_mov_b64 s[0:1], s[2:3]
.LBB17_170:                             ; =>This Inner Loop Header: Depth=1
	s_clause 0x1
	s_load_dwordx8 s[36:43], s[0:1], 0x4
	s_load_dwordx4 s[52:55], s[0:1], 0x24
	s_load_dwordx8 s[44:51], s[18:19], 0x0
	s_add_u32 s0, s0, 48
	s_addc_u32 s1, s1, 0
	s_add_i32 s27, s27, 4
	s_add_u32 s18, s18, 32
	s_addc_u32 s19, s19, 0
	s_cmp_eq_u32 s21, s27
	s_waitcnt lgkmcnt(0)
	v_mul_hi_u32 v3, s37, v1
	v_add_nc_u32_e32 v3, v1, v3
	v_lshrrev_b32_e32 v3, s38, v3
	v_mul_hi_u32 v5, s40, v3
	v_mul_lo_u32 v7, v3, s36
	v_add_nc_u32_e32 v5, v3, v5
	v_sub_nc_u32_e32 v1, v1, v7
	v_lshrrev_b32_e32 v5, s41, v5
	v_mul_lo_u32 v7, v1, s44
	v_mul_lo_u32 v9, v1, s45
	v_mul_hi_u32 v6, s43, v5
	v_add_nc_u32_e32 v6, v5, v6
	v_lshrrev_b32_e32 v6, s52, v6
	v_mul_hi_u32 v8, s54, v6
	v_mul_lo_u32 v10, v6, s42
	v_add_nc_u32_e32 v1, v6, v8
	v_mul_lo_u32 v8, v5, s39
	v_sub_nc_u32_e32 v5, v5, v10
	v_lshrrev_b32_e32 v1, s55, v1
	v_mul_lo_u32 v10, v5, s48
	v_mul_lo_u32 v5, v5, s49
	v_sub_nc_u32_e32 v3, v3, v8
	v_mul_lo_u32 v11, v1, s53
	v_mul_lo_u32 v8, v3, s46
	;; [unrolled: 1-line block ×3, first 2 shown]
	v_sub_nc_u32_e32 v6, v6, v11
	v_add3_u32 v0, v7, v0, v8
	v_mul_lo_u32 v11, v6, s50
	v_mul_lo_u32 v6, v6, s51
	v_add3_u32 v2, v9, v2, v3
	v_add3_u32 v0, v10, v0, v11
	;; [unrolled: 1-line block ×3, first 2 shown]
	s_cbranch_scc0 .LBB17_170
	s_branch .LBB17_174
.LBB17_171:
                                        ; implicit-def: $vgpr0
                                        ; implicit-def: $vgpr2
	s_branch .LBB17_178
.LBB17_172:
	v_mov_b32_e32 v0, 0
	v_mov_b32_e32 v2, 0
	s_branch .LBB17_177
.LBB17_173:
	v_mov_b32_e32 v0, 0
	v_mov_b32_e32 v2, 0
	;; [unrolled: 1-line block ×3, first 2 shown]
	s_mov_b32 s21, 0
.LBB17_174:
	s_and_b32 s27, s28, 3
	s_cmp_eq_u32 s27, 0
	s_cbranch_scc1 .LBB17_177
; %bb.175:
	s_lshl_b32 s0, s21, 3
	s_mul_i32 s18, s21, 12
	s_add_u32 s0, s2, s0
	s_addc_u32 s1, s3, 0
	s_add_u32 s0, s0, 0xc4
	s_addc_u32 s1, s1, 0
	;; [unrolled: 2-line block ×3, first 2 shown]
	.p2align	6
.LBB17_176:                             ; =>This Inner Loop Header: Depth=1
	s_clause 0x1
	s_load_dwordx2 s[28:29], s[18:19], 0x4
	s_load_dword s21, s[18:19], 0xc
	s_load_dwordx2 s[30:31], s[0:1], 0x0
	s_add_u32 s18, s18, 12
	s_addc_u32 s19, s19, 0
	s_add_u32 s0, s0, 8
	s_addc_u32 s1, s1, 0
	s_add_i32 s27, s27, -1
	s_cmp_lg_u32 s27, 0
	s_waitcnt lgkmcnt(0)
	v_mul_hi_u32 v3, s29, v1
	v_add_nc_u32_e32 v3, v1, v3
	v_lshrrev_b32_e32 v5, s21, v3
	v_mul_lo_u32 v3, v5, s28
	v_sub_nc_u32_e32 v3, v1, v3
	v_mad_u64_u32 v[0:1], null, v3, s30, v[0:1]
	v_mad_u64_u32 v[2:3], null, v3, s31, v[2:3]
	v_mov_b32_e32 v1, v5
	s_cbranch_scc1 .LBB17_176
.LBB17_177:
	s_cbranch_execnz .LBB17_180
.LBB17_178:
	s_waitcnt lgkmcnt(0)
	v_mul_hi_u32 v0, s13, v4
	s_andn2_b32 vcc_lo, exec_lo, s26
	v_add_nc_u32_e32 v0, v4, v0
	v_lshrrev_b32_e32 v1, s14, v0
	v_mul_lo_u32 v0, v1, s12
	v_sub_nc_u32_e32 v2, v4, v0
	v_mul_lo_u32 v0, v2, s8
	v_mul_lo_u32 v2, v2, s9
	s_cbranch_vccnz .LBB17_180
; %bb.179:
	v_mul_hi_u32 v3, s16, v1
	v_add_nc_u32_e32 v3, v1, v3
	v_lshrrev_b32_e32 v3, s17, v3
	v_mul_lo_u32 v3, v3, s15
	v_sub_nc_u32_e32 v3, v1, v3
	v_mad_u64_u32 v[0:1], null, v3, s10, v[0:1]
	v_mad_u64_u32 v[2:3], null, v3, s11, v[2:3]
.LBB17_180:
	s_waitcnt lgkmcnt(0)
	global_load_dword v1, v2, s[6:7]
	v_mov_b32_e32 v2, 0x7f800000
	s_mov_b32 s1, exec_lo
	s_waitcnt vmcnt(0)
	v_cmpx_neq_f32_e32 0, v1
	s_cbranch_execz .LBB17_188
; %bb.181:
	v_mov_b32_e32 v2, 0x7fc00000
	s_mov_b32 s6, exec_lo
	v_cmpx_ngt_f32_e32 0, v1
	s_cbranch_execz .LBB17_187
; %bb.182:
                                        ; implicit-def: $vgpr2
	s_mov_b32 s0, exec_lo
	v_cmpx_ge_f32_e32 2.0, v1
	s_xor_b32 s7, exec_lo, s0
	s_cbranch_execz .LBB17_184
; %bb.183:
	v_fma_f32 v2, v1, 0.5, -2.0
	s_mov_b32 s0, 0x224cf950
	v_fma_f32 v5, v1, v1, -2.0
	v_fmaak_f32 v3, s0, v2, 0xa3c2be86
	s_mov_b32 s0, 0xa3019142
	v_fmaak_f32 v6, s0, v5, 0xa72eea8c
	v_fmaak_f32 v4, v2, v3, 0xa24cf950
	;; [unrolled: 1-line block ×3, first 2 shown]
	v_add_f32_e32 v4, 0x25331f1f, v4
	v_add_f32_e32 v7, 0xab3ba817, v7
	v_fma_f32 v3, v2, v4, -v3
	v_fma_f32 v6, v5, v7, -v6
	v_add_f32_e32 v3, 0xa69f5554, v3
	v_add_f32_e32 v6, 0xaf1b31de, v6
	v_fma_f32 v4, v2, v3, -v4
	v_fma_f32 v7, v5, v6, -v7
	;; [unrolled: 4-line block ×8, first 2 shown]
	v_mul_f32_e32 v6, 0.5, v1
	v_add_f32_e32 v4, 0x2fc751a6, v4
	v_add_f32_e32 v5, 0x3fc33d0a, v5
	v_cmp_gt_f32_e32 vcc_lo, 0x800000, v6
	v_fma_f32 v3, v2, v4, -v3
	v_sub_f32_e32 v5, v5, v7
	v_mul_f32_e32 v7, 0x3fb8aa3b, v1
	v_add_f32_e32 v3, 0xb101b0d9, v3
	v_cndmask_b32_e64 v8, 0, 32, vcc_lo
	v_cndmask_b32_e64 v13, 0, 0x41b17218, vcc_lo
	v_mul_f32_e32 v5, 0.5, v5
	v_rndne_f32_e32 v9, v7
	v_fma_f32 v4, v2, v3, -v4
	v_fma_f32 v11, 0x3fb8aa3b, v1, -v7
	v_ldexp_f32 v6, v6, v8
	v_div_scale_f32 v10, null, v1, v1, v5
	v_add_f32_e32 v4, 0x32212c70, v4
	v_sub_f32_e32 v7, v7, v9
	v_fmamk_f32 v11, v1, 0x32a5705f, v11
	v_rcp_f32_e32 v8, v10
	v_log_f32_e32 v6, v6
	v_fma_f32 v3, v2, v4, -v3
	v_div_scale_f32 v12, s0, v5, v1, v5
	v_add_f32_e32 v7, v7, v11
	v_cmp_ngt_f32_e32 vcc_lo, 0xc2ce8ed0, v1
	v_add_f32_e32 v3, 0xb33ee9f1, v3
	v_exp_f32_e32 v7, v7
	v_fma_f32 v11, -v10, v8, 1.0
	v_fma_f32 v4, v2, v3, -v4
	v_fmac_f32_e32 v8, v11, v8
	v_add_f32_e32 v4, 0x34571a26, v4
	v_mul_f32_e32 v11, 0x3f317217, v6
	v_fma_f32 v3, v2, v4, -v3
	v_fma_f32 v11, 0x3f317217, v6, -v11
	v_add_f32_e32 v3, 0xb56603cc, v3
	v_fmamk_f32 v11, v6, 0x3377d1cf, v11
	v_fma_f32 v4, v2, v3, -v4
	v_fmac_f32_e32 v11, 0x3f317217, v6
	v_add_f32_e32 v4, 0x3668e277, v4
	v_fma_f32 v3, v2, v4, -v3
	v_add_f32_e32 v3, 0xb75eafce, v3
	v_fma_f32 v4, v2, v3, -v4
	;; [unrolled: 2-line block ×12, first 2 shown]
	v_cvt_i32_f32_e32 v3, v9
	v_mul_f32_e32 v9, v12, v8
	v_add_f32_e32 v2, 0x3e81531c, v2
	v_ldexp_f32 v3, v7, v3
	v_fma_f32 v7, -v10, v9, v12
	v_sub_f32_e32 v2, v2, v4
	v_cndmask_b32_e32 v3, 0, v3, vcc_lo
	v_cmp_nlt_f32_e32 vcc_lo, 0x42b17218, v1
	v_fmac_f32_e32 v9, v7, v8
	v_mul_f32_e32 v2, 0.5, v2
	v_cndmask_b32_e32 v3, 0x7f800000, v3, vcc_lo
	v_cmp_gt_f32_e64 vcc_lo, 0x7f800000, |v6|
	v_fma_f32 v4, -v10, v9, v12
	v_mul_f32_e32 v2, v1, v2
	v_cndmask_b32_e32 v6, v6, v11, vcc_lo
	s_mov_b32 vcc_lo, s0
	v_mul_f32_e32 v3, v3, v2
	v_div_fmas_f32 v4, v4, v8, v9
	v_sub_f32_e32 v6, v6, v13
	v_div_fixup_f32 v2, v4, v1, v5
                                        ; implicit-def: $vgpr1
	v_fmac_f32_e32 v2, v6, v3
.LBB17_184:
	s_andn2_saveexec_b32 s7, s7
	s_cbranch_execz .LBB17_186
; %bb.185:
	v_div_scale_f32 v2, null, v1, v1, 0x41000000
	v_div_scale_f32 v5, vcc_lo, 0x41000000, v1, 0x41000000
	s_mov_b32 s0, 0xa2d462ea
	v_rcp_f32_e32 v3, v2
	v_fma_f32 v4, -v2, v3, 1.0
	v_fmac_f32_e32 v3, v4, v3
	v_mul_f32_e32 v4, v5, v3
	v_fma_f32 v6, -v2, v4, v5
	v_fmac_f32_e32 v4, v6, v3
	v_mul_f32_e32 v6, 0xbfb8aa3b, v1
	v_fma_f32 v2, -v2, v4, v5
	v_mul_f32_e32 v5, 0x4f800000, v1
	v_rndne_f32_e32 v7, v6
	v_fma_f32 v8, 0xbfb8aa3b, v1, -v6
	v_div_fmas_f32 v2, v2, v3, v4
	v_cmp_gt_f32_e32 vcc_lo, 0xf800000, v1
	v_sub_f32_e32 v6, v6, v7
	v_fmamk_f32 v8, v1, 0xb2a5705f, v8
	v_cvt_i32_f32_e32 v7, v7
	v_div_fixup_f32 v2, v2, v1, 0x41000000
	v_cndmask_b32_e32 v5, v1, v5, vcc_lo
	v_add_f32_e32 v6, v6, v8
	v_add_f32_e32 v2, -2.0, v2
	v_sqrt_f32_e32 v9, v5
	v_exp_f32_e32 v6, v6
	v_fmaak_f32 v3, s0, v2, 0x23a578d4
	v_fmaak_f32 v4, v2, v3, 0x22d462ea
	v_add_nc_u32_e32 v8, -1, v9
	v_add_nc_u32_e32 v10, 1, v9
	v_add_f32_e32 v4, 0xa48330a9, v4
	v_fma_f32 v11, -v8, v9, v5
	v_fma_f32 v12, -v10, v9, v5
	v_fma_f32 v3, v2, v4, -v3
	v_cmp_ge_f32_e64 s0, 0, v11
	v_add_f32_e32 v3, 0x2553eaf2, v3
	v_cndmask_b32_e64 v8, v9, v8, s0
	v_cmp_lt_f32_e64 s0, 0, v12
	v_fma_f32 v4, v2, v3, -v4
	v_add_f32_e32 v4, 0xa62e951f, v4
	v_fma_f32 v3, v2, v4, -v3
	v_add_f32_e32 v3, 0x2712e76f, v3
	;; [unrolled: 2-line block ×20, first 2 shown]
	v_fma_f32 v2, v2, v3, -v4
	v_ldexp_f32 v3, v6, v7
	v_cndmask_b32_e64 v6, v8, v10, s0
	v_cmp_nlt_f32_e64 s0, 0x42ce8ed0, v1
	v_add_f32_e32 v2, 0x402e1ebd, v2
	v_mul_f32_e32 v7, 0x37800000, v6
	v_cndmask_b32_e64 v3, 0, v3, s0
	v_cmp_ngt_f32_e64 s0, 0xc2b17218, v1
	v_sub_f32_e32 v2, v2, v4
	v_cndmask_b32_e64 v1, 0x7f800000, v3, s0
	v_cndmask_b32_e32 v3, v6, v7, vcc_lo
	v_mul_f32_e32 v2, 0.5, v2
	v_cmp_class_f32_e64 vcc_lo, v5, 0x260
	v_mul_f32_e32 v1, v1, v2
	v_cndmask_b32_e32 v3, v3, v5, vcc_lo
	v_div_scale_f32 v2, null, v3, v3, v1
	v_rcp_f32_e32 v4, v2
	v_fma_f32 v5, -v2, v4, 1.0
	v_fmac_f32_e32 v4, v5, v4
	v_div_scale_f32 v5, vcc_lo, v1, v3, v1
	v_mul_f32_e32 v6, v5, v4
	v_fma_f32 v7, -v2, v6, v5
	v_fmac_f32_e32 v6, v7, v4
	v_fma_f32 v2, -v2, v6, v5
	v_div_fmas_f32 v2, v2, v4, v6
	v_div_fixup_f32 v2, v2, v3, v1
.LBB17_186:
	s_or_b32 exec_lo, exec_lo, s7
.LBB17_187:
	s_or_b32 exec_lo, exec_lo, s6
.LBB17_188:
	s_or_b32 exec_lo, exec_lo, s1
	global_store_dword v0, v2, s[4:5]
	s_or_b32 exec_lo, exec_lo, s20
                                        ; implicit-def: $vgpr13
                                        ; implicit-def: $vgpr4
	s_andn2_saveexec_b32 s0, s25
	s_cbranch_execz .LBB17_149
	s_branch .LBB17_8
	.section	.rodata,"a",@progbits
	.p2align	6, 0x0
	.amdhsa_kernel _ZN2at6native32elementwise_kernel_manual_unrollILi128ELi4EZNS0_22gpu_kernel_impl_nocastIZZZNS0_12_GLOBAL__N_130modified_bessel_k1_kernel_cudaERNS_18TensorIteratorBaseEENKUlvE_clEvENKUlvE0_clEvEUlfE_EEvS5_RKT_EUlibE_EEviT1_
		.amdhsa_group_segment_fixed_size 0
		.amdhsa_private_segment_fixed_size 0
		.amdhsa_kernarg_size 360
		.amdhsa_user_sgpr_count 6
		.amdhsa_user_sgpr_private_segment_buffer 1
		.amdhsa_user_sgpr_dispatch_ptr 0
		.amdhsa_user_sgpr_queue_ptr 0
		.amdhsa_user_sgpr_kernarg_segment_ptr 1
		.amdhsa_user_sgpr_dispatch_id 0
		.amdhsa_user_sgpr_flat_scratch_init 0
		.amdhsa_user_sgpr_private_segment_size 0
		.amdhsa_wavefront_size32 1
		.amdhsa_uses_dynamic_stack 0
		.amdhsa_system_sgpr_private_segment_wavefront_offset 0
		.amdhsa_system_sgpr_workgroup_id_x 1
		.amdhsa_system_sgpr_workgroup_id_y 0
		.amdhsa_system_sgpr_workgroup_id_z 0
		.amdhsa_system_sgpr_workgroup_info 0
		.amdhsa_system_vgpr_workitem_id 0
		.amdhsa_next_free_vgpr 21
		.amdhsa_next_free_sgpr 56
		.amdhsa_reserve_vcc 1
		.amdhsa_reserve_flat_scratch 0
		.amdhsa_float_round_mode_32 0
		.amdhsa_float_round_mode_16_64 0
		.amdhsa_float_denorm_mode_32 3
		.amdhsa_float_denorm_mode_16_64 3
		.amdhsa_dx10_clamp 1
		.amdhsa_ieee_mode 1
		.amdhsa_fp16_overflow 0
		.amdhsa_workgroup_processor_mode 1
		.amdhsa_memory_ordered 1
		.amdhsa_forward_progress 1
		.amdhsa_shared_vgpr_count 0
		.amdhsa_exception_fp_ieee_invalid_op 0
		.amdhsa_exception_fp_denorm_src 0
		.amdhsa_exception_fp_ieee_div_zero 0
		.amdhsa_exception_fp_ieee_overflow 0
		.amdhsa_exception_fp_ieee_underflow 0
		.amdhsa_exception_fp_ieee_inexact 0
		.amdhsa_exception_int_div_zero 0
	.end_amdhsa_kernel
	.section	.text._ZN2at6native32elementwise_kernel_manual_unrollILi128ELi4EZNS0_22gpu_kernel_impl_nocastIZZZNS0_12_GLOBAL__N_130modified_bessel_k1_kernel_cudaERNS_18TensorIteratorBaseEENKUlvE_clEvENKUlvE0_clEvEUlfE_EEvS5_RKT_EUlibE_EEviT1_,"axG",@progbits,_ZN2at6native32elementwise_kernel_manual_unrollILi128ELi4EZNS0_22gpu_kernel_impl_nocastIZZZNS0_12_GLOBAL__N_130modified_bessel_k1_kernel_cudaERNS_18TensorIteratorBaseEENKUlvE_clEvENKUlvE0_clEvEUlfE_EEvS5_RKT_EUlibE_EEviT1_,comdat
.Lfunc_end17:
	.size	_ZN2at6native32elementwise_kernel_manual_unrollILi128ELi4EZNS0_22gpu_kernel_impl_nocastIZZZNS0_12_GLOBAL__N_130modified_bessel_k1_kernel_cudaERNS_18TensorIteratorBaseEENKUlvE_clEvENKUlvE0_clEvEUlfE_EEvS5_RKT_EUlibE_EEviT1_, .Lfunc_end17-_ZN2at6native32elementwise_kernel_manual_unrollILi128ELi4EZNS0_22gpu_kernel_impl_nocastIZZZNS0_12_GLOBAL__N_130modified_bessel_k1_kernel_cudaERNS_18TensorIteratorBaseEENKUlvE_clEvENKUlvE0_clEvEUlfE_EEvS5_RKT_EUlibE_EEviT1_
                                        ; -- End function
	.set _ZN2at6native32elementwise_kernel_manual_unrollILi128ELi4EZNS0_22gpu_kernel_impl_nocastIZZZNS0_12_GLOBAL__N_130modified_bessel_k1_kernel_cudaERNS_18TensorIteratorBaseEENKUlvE_clEvENKUlvE0_clEvEUlfE_EEvS5_RKT_EUlibE_EEviT1_.num_vgpr, 21
	.set _ZN2at6native32elementwise_kernel_manual_unrollILi128ELi4EZNS0_22gpu_kernel_impl_nocastIZZZNS0_12_GLOBAL__N_130modified_bessel_k1_kernel_cudaERNS_18TensorIteratorBaseEENKUlvE_clEvENKUlvE0_clEvEUlfE_EEvS5_RKT_EUlibE_EEviT1_.num_agpr, 0
	.set _ZN2at6native32elementwise_kernel_manual_unrollILi128ELi4EZNS0_22gpu_kernel_impl_nocastIZZZNS0_12_GLOBAL__N_130modified_bessel_k1_kernel_cudaERNS_18TensorIteratorBaseEENKUlvE_clEvENKUlvE0_clEvEUlfE_EEvS5_RKT_EUlibE_EEviT1_.numbered_sgpr, 56
	.set _ZN2at6native32elementwise_kernel_manual_unrollILi128ELi4EZNS0_22gpu_kernel_impl_nocastIZZZNS0_12_GLOBAL__N_130modified_bessel_k1_kernel_cudaERNS_18TensorIteratorBaseEENKUlvE_clEvENKUlvE0_clEvEUlfE_EEvS5_RKT_EUlibE_EEviT1_.num_named_barrier, 0
	.set _ZN2at6native32elementwise_kernel_manual_unrollILi128ELi4EZNS0_22gpu_kernel_impl_nocastIZZZNS0_12_GLOBAL__N_130modified_bessel_k1_kernel_cudaERNS_18TensorIteratorBaseEENKUlvE_clEvENKUlvE0_clEvEUlfE_EEvS5_RKT_EUlibE_EEviT1_.private_seg_size, 0
	.set _ZN2at6native32elementwise_kernel_manual_unrollILi128ELi4EZNS0_22gpu_kernel_impl_nocastIZZZNS0_12_GLOBAL__N_130modified_bessel_k1_kernel_cudaERNS_18TensorIteratorBaseEENKUlvE_clEvENKUlvE0_clEvEUlfE_EEvS5_RKT_EUlibE_EEviT1_.uses_vcc, 1
	.set _ZN2at6native32elementwise_kernel_manual_unrollILi128ELi4EZNS0_22gpu_kernel_impl_nocastIZZZNS0_12_GLOBAL__N_130modified_bessel_k1_kernel_cudaERNS_18TensorIteratorBaseEENKUlvE_clEvENKUlvE0_clEvEUlfE_EEvS5_RKT_EUlibE_EEviT1_.uses_flat_scratch, 0
	.set _ZN2at6native32elementwise_kernel_manual_unrollILi128ELi4EZNS0_22gpu_kernel_impl_nocastIZZZNS0_12_GLOBAL__N_130modified_bessel_k1_kernel_cudaERNS_18TensorIteratorBaseEENKUlvE_clEvENKUlvE0_clEvEUlfE_EEvS5_RKT_EUlibE_EEviT1_.has_dyn_sized_stack, 0
	.set _ZN2at6native32elementwise_kernel_manual_unrollILi128ELi4EZNS0_22gpu_kernel_impl_nocastIZZZNS0_12_GLOBAL__N_130modified_bessel_k1_kernel_cudaERNS_18TensorIteratorBaseEENKUlvE_clEvENKUlvE0_clEvEUlfE_EEvS5_RKT_EUlibE_EEviT1_.has_recursion, 0
	.set _ZN2at6native32elementwise_kernel_manual_unrollILi128ELi4EZNS0_22gpu_kernel_impl_nocastIZZZNS0_12_GLOBAL__N_130modified_bessel_k1_kernel_cudaERNS_18TensorIteratorBaseEENKUlvE_clEvENKUlvE0_clEvEUlfE_EEvS5_RKT_EUlibE_EEviT1_.has_indirect_call, 0
	.section	.AMDGPU.csdata,"",@progbits
; Kernel info:
; codeLenInByte = 20180
; TotalNumSgprs: 58
; NumVgprs: 21
; ScratchSize: 0
; MemoryBound: 0
; FloatMode: 240
; IeeeMode: 1
; LDSByteSize: 0 bytes/workgroup (compile time only)
; SGPRBlocks: 0
; VGPRBlocks: 2
; NumSGPRsForWavesPerEU: 58
; NumVGPRsForWavesPerEU: 21
; Occupancy: 16
; WaveLimiterHint : 1
; COMPUTE_PGM_RSRC2:SCRATCH_EN: 0
; COMPUTE_PGM_RSRC2:USER_SGPR: 6
; COMPUTE_PGM_RSRC2:TRAP_HANDLER: 0
; COMPUTE_PGM_RSRC2:TGID_X_EN: 1
; COMPUTE_PGM_RSRC2:TGID_Y_EN: 0
; COMPUTE_PGM_RSRC2:TGID_Z_EN: 0
; COMPUTE_PGM_RSRC2:TIDIG_COMP_CNT: 0
	.section	.text._ZN2at6native32elementwise_kernel_manual_unrollILi128ELi4EZNS0_15gpu_kernel_implIZZZNS0_12_GLOBAL__N_130modified_bessel_k1_kernel_cudaERNS_18TensorIteratorBaseEENKUlvE_clEvENKUlvE0_clEvEUlfE_EEvS5_RKT_EUlibE_EEviT1_,"axG",@progbits,_ZN2at6native32elementwise_kernel_manual_unrollILi128ELi4EZNS0_15gpu_kernel_implIZZZNS0_12_GLOBAL__N_130modified_bessel_k1_kernel_cudaERNS_18TensorIteratorBaseEENKUlvE_clEvENKUlvE0_clEvEUlfE_EEvS5_RKT_EUlibE_EEviT1_,comdat
	.globl	_ZN2at6native32elementwise_kernel_manual_unrollILi128ELi4EZNS0_15gpu_kernel_implIZZZNS0_12_GLOBAL__N_130modified_bessel_k1_kernel_cudaERNS_18TensorIteratorBaseEENKUlvE_clEvENKUlvE0_clEvEUlfE_EEvS5_RKT_EUlibE_EEviT1_ ; -- Begin function _ZN2at6native32elementwise_kernel_manual_unrollILi128ELi4EZNS0_15gpu_kernel_implIZZZNS0_12_GLOBAL__N_130modified_bessel_k1_kernel_cudaERNS_18TensorIteratorBaseEENKUlvE_clEvENKUlvE0_clEvEUlfE_EEvS5_RKT_EUlibE_EEviT1_
	.p2align	8
	.type	_ZN2at6native32elementwise_kernel_manual_unrollILi128ELi4EZNS0_15gpu_kernel_implIZZZNS0_12_GLOBAL__N_130modified_bessel_k1_kernel_cudaERNS_18TensorIteratorBaseEENKUlvE_clEvENKUlvE0_clEvEUlfE_EEvS5_RKT_EUlibE_EEviT1_,@function
_ZN2at6native32elementwise_kernel_manual_unrollILi128ELi4EZNS0_15gpu_kernel_implIZZZNS0_12_GLOBAL__N_130modified_bessel_k1_kernel_cudaERNS_18TensorIteratorBaseEENKUlvE_clEvENKUlvE0_clEvEUlfE_EEvS5_RKT_EUlibE_EEviT1_: ; @_ZN2at6native32elementwise_kernel_manual_unrollILi128ELi4EZNS0_15gpu_kernel_implIZZZNS0_12_GLOBAL__N_130modified_bessel_k1_kernel_cudaERNS_18TensorIteratorBaseEENKUlvE_clEvENKUlvE0_clEvEUlfE_EEvS5_RKT_EUlibE_EEviT1_
; %bb.0:
	v_mov_b32_e32 v1, 0
	s_clause 0x2
	s_load_dword s12, s[4:5], 0x0
	s_load_dwordx2 s[2:3], s[4:5], 0x18
	s_load_dwordx4 s[8:11], s[4:5], 0x8
	v_lshl_or_b32 v7, s6, 9, v0
	s_mov_b32 s7, 0
	global_load_ushort v1, v1, s[4:5] offset:33
	s_mov_b32 s4, 0
	v_or_b32_e32 v0, 0x180, v7
	s_waitcnt vmcnt(0)
	v_readfirstlane_b32 s1, v1
	s_and_b32 s0, 0xffff, s1
	s_lshr_b32 s5, s0, 8
	s_mov_b32 s0, exec_lo
	s_waitcnt lgkmcnt(0)
	v_cmpx_le_i32_e64 s12, v0
	s_xor_b32 s6, exec_lo, s0
	s_cbranch_execz .LBB18_1063
; %bb.1:
	s_mov_b32 s17, -1
	s_mov_b32 s15, 0
	s_mov_b32 s13, 0
	s_mov_b32 s14, exec_lo
	v_cmpx_gt_i32_e64 s12, v7
	s_cbranch_execz .LBB18_260
; %bb.2:
	v_mul_lo_u32 v0, v7, s3
	s_and_b32 s0, 0xffff, s5
	s_cmp_lt_i32 s0, 11
	v_ashrrev_i32_e32 v1, 31, v0
	v_add_co_u32 v0, vcc_lo, s10, v0
	v_add_co_ci_u32_e64 v1, null, s11, v1, vcc_lo
	s_cbranch_scc1 .LBB18_9
; %bb.3:
	s_cmp_gt_i32 s0, 25
	s_cbranch_scc0 .LBB18_26
; %bb.4:
	s_cmp_gt_i32 s0, 28
	s_cbranch_scc0 .LBB18_29
	;; [unrolled: 3-line block ×4, first 2 shown]
; %bb.7:
	s_cmp_eq_u32 s0, 46
	s_mov_b32 s16, 0
	s_cbranch_scc0 .LBB18_35
; %bb.8:
	global_load_dword v2, v[0:1], off
	s_mov_b32 s7, -1
	s_waitcnt vmcnt(0)
	v_lshlrev_b32_e32 v2, 16, v2
	s_branch .LBB18_37
.LBB18_9:
                                        ; implicit-def: $vgpr2
	s_cbranch_execnz .LBB18_210
.LBB18_10:
	s_andn2_b32 vcc_lo, exec_lo, s7
	s_cbranch_vccnz .LBB18_257
.LBB18_11:
	v_mov_b32_e32 v0, 0x7f800000
	s_mov_b32 s7, exec_lo
	s_waitcnt vmcnt(0)
	v_cmpx_neq_f32_e32 0, v2
	s_cbranch_execz .LBB18_19
; %bb.12:
	v_mov_b32_e32 v0, 0x7fc00000
	s_mov_b32 s16, exec_lo
	v_cmpx_ngt_f32_e32 0, v2
	s_cbranch_execz .LBB18_18
; %bb.13:
                                        ; implicit-def: $vgpr0
	s_mov_b32 s0, exec_lo
	v_cmpx_ge_f32_e32 2.0, v2
	s_xor_b32 s17, exec_lo, s0
	s_cbranch_execz .LBB18_15
; %bb.14:
	v_fma_f32 v0, v2, 0.5, -2.0
	s_mov_b32 s0, 0x224cf950
	v_fma_f32 v4, v2, v2, -2.0
	v_fmaak_f32 v1, s0, v0, 0xa3c2be86
	s_mov_b32 s0, 0xa3019142
	v_fmaak_f32 v5, s0, v4, 0xa72eea8c
	v_fmaak_f32 v3, v0, v1, 0xa24cf950
	;; [unrolled: 1-line block ×3, first 2 shown]
	v_add_f32_e32 v3, 0x25331f1f, v3
	v_add_f32_e32 v6, 0xab3ba817, v6
	v_fma_f32 v1, v0, v3, -v1
	v_fma_f32 v5, v4, v6, -v5
	v_add_f32_e32 v1, 0xa69f5554, v1
	v_add_f32_e32 v5, 0xaf1b31de, v5
	v_fma_f32 v3, v0, v1, -v3
	v_fma_f32 v6, v4, v5, -v6
	;; [unrolled: 4-line block ×8, first 2 shown]
	v_mul_f32_e32 v5, 0.5, v2
	v_add_f32_e32 v3, 0x2fc751a6, v3
	v_add_f32_e32 v4, 0x3fc33d0a, v4
	v_cmp_gt_f32_e32 vcc_lo, 0x800000, v5
	v_fma_f32 v1, v0, v3, -v1
	v_sub_f32_e32 v4, v4, v6
	v_mul_f32_e32 v6, 0x3fb8aa3b, v2
	v_add_f32_e32 v1, 0xb101b0d9, v1
	v_cndmask_b32_e64 v8, 0, 32, vcc_lo
	v_cndmask_b32_e64 v13, 0, 0x41b17218, vcc_lo
	v_mul_f32_e32 v4, 0.5, v4
	v_rndne_f32_e32 v9, v6
	v_fma_f32 v3, v0, v1, -v3
	v_fma_f32 v11, 0x3fb8aa3b, v2, -v6
	v_ldexp_f32 v5, v5, v8
	v_div_scale_f32 v10, null, v2, v2, v4
	v_add_f32_e32 v3, 0x32212c70, v3
	v_sub_f32_e32 v6, v6, v9
	v_fmamk_f32 v11, v2, 0x32a5705f, v11
	v_rcp_f32_e32 v8, v10
	v_log_f32_e32 v5, v5
	v_fma_f32 v1, v0, v3, -v1
	v_div_scale_f32 v12, s0, v4, v2, v4
	v_add_f32_e32 v6, v6, v11
	v_cmp_ngt_f32_e32 vcc_lo, 0xc2ce8ed0, v2
	v_add_f32_e32 v1, 0xb33ee9f1, v1
	v_exp_f32_e32 v6, v6
	v_fma_f32 v11, -v10, v8, 1.0
	v_fma_f32 v3, v0, v1, -v3
	v_fmac_f32_e32 v8, v11, v8
	v_add_f32_e32 v3, 0x34571a26, v3
	v_mul_f32_e32 v11, 0x3f317217, v5
	v_fma_f32 v1, v0, v3, -v1
	v_fma_f32 v11, 0x3f317217, v5, -v11
	v_add_f32_e32 v1, 0xb56603cc, v1
	v_fmamk_f32 v11, v5, 0x3377d1cf, v11
	v_fma_f32 v3, v0, v1, -v3
	v_fmac_f32_e32 v11, 0x3f317217, v5
	v_add_f32_e32 v3, 0x3668e277, v3
	v_fma_f32 v1, v0, v3, -v1
	v_add_f32_e32 v1, 0xb75eafce, v1
	v_fma_f32 v3, v0, v1, -v3
	v_add_f32_e32 v3, 0x38488daa, v3
	v_fma_f32 v1, v0, v3, -v1
	v_add_f32_e32 v1, 0xb9299e57, v1
	v_fma_f32 v3, v0, v1, -v3
	v_add_f32_e32 v3, 0x3a064aee, v3
	v_fma_f32 v1, v0, v3, -v1
	v_add_f32_e32 v1, 0xbac66310, v1
	v_fma_f32 v3, v0, v1, -v3
	v_add_f32_e32 v3, 0x3b88329a, v3
	v_fma_f32 v1, v0, v3, -v1
	v_add_f32_e32 v1, 0xbc2d14fc, v1
	v_fma_f32 v3, v0, v1, -v3
	v_add_f32_e32 v3, 0x3cca8f1f, v3
	v_fma_f32 v1, v0, v3, -v1
	v_add_f32_e32 v1, 0xbd58dde3, v1
	v_fma_f32 v3, v0, v1, -v3
	v_add_f32_e32 v3, 0x3dd236d7, v3
	v_fma_f32 v1, v0, v3, -v1
	v_add_f32_e32 v1, 0xbe34a688, v1
	v_fma_f32 v0, v0, v1, -v3
	v_cvt_i32_f32_e32 v1, v9
	v_mul_f32_e32 v9, v12, v8
	v_add_f32_e32 v0, 0x3e81531c, v0
	v_ldexp_f32 v1, v6, v1
	v_fma_f32 v6, -v10, v9, v12
	v_sub_f32_e32 v0, v0, v3
	v_cndmask_b32_e32 v1, 0, v1, vcc_lo
	v_cmp_nlt_f32_e32 vcc_lo, 0x42b17218, v2
	v_fmac_f32_e32 v9, v6, v8
	v_mul_f32_e32 v0, 0.5, v0
	v_cndmask_b32_e32 v1, 0x7f800000, v1, vcc_lo
	v_cmp_gt_f32_e64 vcc_lo, 0x7f800000, |v5|
	v_fma_f32 v3, -v10, v9, v12
	v_mul_f32_e32 v0, v2, v0
	v_cndmask_b32_e32 v5, v5, v11, vcc_lo
	s_mov_b32 vcc_lo, s0
	v_mul_f32_e32 v1, v1, v0
	v_div_fmas_f32 v3, v3, v8, v9
	v_sub_f32_e32 v5, v5, v13
	v_div_fixup_f32 v0, v3, v2, v4
                                        ; implicit-def: $vgpr2
	v_fmac_f32_e32 v0, v5, v1
.LBB18_15:
	s_andn2_saveexec_b32 s17, s17
	s_cbranch_execz .LBB18_17
; %bb.16:
	v_div_scale_f32 v0, null, v2, v2, 0x41000000
	v_div_scale_f32 v4, vcc_lo, 0x41000000, v2, 0x41000000
	s_mov_b32 s0, 0xa2d462ea
	v_rcp_f32_e32 v1, v0
	v_fma_f32 v3, -v0, v1, 1.0
	v_fmac_f32_e32 v1, v3, v1
	v_mul_f32_e32 v3, v4, v1
	v_fma_f32 v5, -v0, v3, v4
	v_fmac_f32_e32 v3, v5, v1
	v_mul_f32_e32 v5, 0xbfb8aa3b, v2
	v_fma_f32 v0, -v0, v3, v4
	v_mul_f32_e32 v4, 0x4f800000, v2
	v_rndne_f32_e32 v6, v5
	v_fma_f32 v8, 0xbfb8aa3b, v2, -v5
	v_div_fmas_f32 v0, v0, v1, v3
	v_cmp_gt_f32_e32 vcc_lo, 0xf800000, v2
	v_sub_f32_e32 v5, v5, v6
	v_fmamk_f32 v8, v2, 0xb2a5705f, v8
	v_cvt_i32_f32_e32 v6, v6
	v_div_fixup_f32 v0, v0, v2, 0x41000000
	v_cndmask_b32_e32 v4, v2, v4, vcc_lo
	v_add_f32_e32 v5, v5, v8
	v_add_f32_e32 v0, -2.0, v0
	v_sqrt_f32_e32 v9, v4
	v_exp_f32_e32 v5, v5
	v_fmaak_f32 v1, s0, v0, 0x23a578d4
	v_fmaak_f32 v3, v0, v1, 0x22d462ea
	v_add_nc_u32_e32 v8, -1, v9
	v_add_nc_u32_e32 v10, 1, v9
	v_add_f32_e32 v3, 0xa48330a9, v3
	v_fma_f32 v11, -v8, v9, v4
	v_fma_f32 v12, -v10, v9, v4
	v_fma_f32 v1, v0, v3, -v1
	v_cmp_ge_f32_e64 s0, 0, v11
	v_add_f32_e32 v1, 0x2553eaf2, v1
	v_cndmask_b32_e64 v8, v9, v8, s0
	v_cmp_lt_f32_e64 s0, 0, v12
	v_fma_f32 v3, v0, v1, -v3
	v_add_f32_e32 v3, 0xa62e951f, v3
	v_fma_f32 v1, v0, v3, -v1
	v_add_f32_e32 v1, 0x2712e76f, v1
	;; [unrolled: 2-line block ×20, first 2 shown]
	v_fma_f32 v0, v0, v1, -v3
	v_ldexp_f32 v1, v5, v6
	v_cndmask_b32_e64 v5, v8, v10, s0
	v_cmp_nlt_f32_e64 s0, 0x42ce8ed0, v2
	v_add_f32_e32 v0, 0x402e1ebd, v0
	v_mul_f32_e32 v6, 0x37800000, v5
	v_cndmask_b32_e64 v1, 0, v1, s0
	v_cmp_ngt_f32_e64 s0, 0xc2b17218, v2
	v_sub_f32_e32 v0, v0, v3
	v_cndmask_b32_e32 v2, v5, v6, vcc_lo
	v_cmp_class_f32_e64 vcc_lo, v4, 0x260
	v_cndmask_b32_e64 v1, 0x7f800000, v1, s0
	v_mul_f32_e32 v0, 0.5, v0
	v_cndmask_b32_e32 v2, v2, v4, vcc_lo
	v_mul_f32_e32 v0, v1, v0
	v_div_scale_f32 v1, null, v2, v2, v0
	v_rcp_f32_e32 v3, v1
	v_fma_f32 v4, -v1, v3, 1.0
	v_fmac_f32_e32 v3, v4, v3
	v_div_scale_f32 v4, vcc_lo, v0, v2, v0
	v_mul_f32_e32 v5, v4, v3
	v_fma_f32 v6, -v1, v5, v4
	v_fmac_f32_e32 v5, v6, v3
	v_fma_f32 v1, -v1, v5, v4
	v_div_fmas_f32 v1, v1, v3, v5
	v_div_fixup_f32 v0, v1, v2, v0
.LBB18_17:
	s_or_b32 exec_lo, exec_lo, s17
.LBB18_18:
	s_or_b32 exec_lo, exec_lo, s16
.LBB18_19:
	s_or_b32 exec_lo, exec_lo, s7
	v_mul_lo_u32 v1, v7, s2
	s_and_b32 s7, s1, 0xff
	s_cmp_lt_i32 s7, 11
	v_ashrrev_i32_e32 v3, 31, v1
	v_add_co_u32 v2, vcc_lo, s8, v1
	v_add_co_ci_u32_e64 v3, null, s9, v3, vcc_lo
	s_cbranch_scc1 .LBB18_27
; %bb.20:
	s_and_b32 s16, 0xffff, s7
	s_cmp_gt_i32 s16, 25
	s_cbranch_scc0 .LBB18_30
; %bb.21:
	s_cmp_gt_i32 s16, 28
	s_cbranch_scc0 .LBB18_32
; %bb.22:
	;; [unrolled: 3-line block ×4, first 2 shown]
	s_mov_b32 s18, 0
	s_mov_b32 s0, -1
	s_cmp_eq_u32 s16, 46
	s_mov_b32 s17, 0
	s_cbranch_scc0 .LBB18_41
; %bb.25:
	v_bfe_u32 v1, v0, 16, 1
	v_cmp_o_f32_e32 vcc_lo, v0, v0
	v_mov_b32_e32 v4, 0x7fc0
	s_mov_b32 s17, -1
	s_mov_b32 s0, 0
	v_add3_u32 v1, v0, v1, 0x7fff
	v_cndmask_b32_sdwa v1, v4, v1, vcc_lo dst_sel:DWORD dst_unused:UNUSED_PAD src0_sel:DWORD src1_sel:WORD_1
	global_store_dword v[2:3], v1, off
	s_branch .LBB18_41
.LBB18_26:
                                        ; implicit-def: $vgpr2
	s_cbranch_execnz .LBB18_175
	s_branch .LBB18_209
.LBB18_27:
	s_mov_b32 s0, 0
	s_mov_b32 s17, 0
	s_cbranch_execnz .LBB18_110
.LBB18_28:
	s_andn2_b32 vcc_lo, exec_lo, s17
	s_cbranch_vccnz .LBB18_258
	s_branch .LBB18_148
.LBB18_29:
	s_mov_b32 s16, -1
                                        ; implicit-def: $vgpr2
	s_branch .LBB18_156
.LBB18_30:
	s_mov_b32 s18, -1
	s_mov_b32 s0, 0
	s_mov_b32 s17, 0
	s_branch .LBB18_68
.LBB18_31:
	s_mov_b32 s16, -1
                                        ; implicit-def: $vgpr2
	s_branch .LBB18_151
.LBB18_32:
	s_mov_b32 s18, -1
	s_mov_b32 s0, 0
	s_mov_b32 s17, 0
	s_branch .LBB18_51
.LBB18_33:
	s_mov_b32 s16, -1
	s_branch .LBB18_36
.LBB18_34:
	s_mov_b32 s18, -1
	s_mov_b32 s0, 0
	s_mov_b32 s17, 0
	s_branch .LBB18_47
.LBB18_35:
	s_mov_b32 s13, -1
.LBB18_36:
                                        ; implicit-def: $vgpr2
.LBB18_37:
	s_and_b32 vcc_lo, exec_lo, s16
	s_cbranch_vccz .LBB18_150
; %bb.38:
	s_cmp_eq_u32 s0, 44
	s_cbranch_scc0 .LBB18_149
; %bb.39:
	global_load_ubyte v2, v[0:1], off
	s_mov_b32 s13, 0
	s_mov_b32 s7, -1
	s_waitcnt vmcnt(0)
	v_lshlrev_b32_e32 v3, 23, v2
	v_cmp_ne_u32_e32 vcc_lo, 0xff, v2
	v_cndmask_b32_e32 v3, 0x7f800001, v3, vcc_lo
	v_cmp_ne_u32_e32 vcc_lo, 0, v2
	v_cndmask_b32_e32 v2, 0x400000, v3, vcc_lo
	s_branch .LBB18_150
.LBB18_40:
	s_mov_b32 s18, -1
	s_mov_b32 s0, 0
	s_mov_b32 s17, 0
.LBB18_41:
	s_and_b32 vcc_lo, exec_lo, s18
	s_cbranch_vccz .LBB18_46
; %bb.42:
	s_cmp_eq_u32 s16, 44
	s_mov_b32 s0, -1
	s_cbranch_scc0 .LBB18_46
; %bb.43:
	v_bfe_u32 v4, v0, 23, 8
	v_mov_b32_e32 v1, 0xff
	s_mov_b32 s17, exec_lo
	v_cmpx_ne_u32_e32 0xff, v4
	s_cbranch_execz .LBB18_45
; %bb.44:
	v_and_b32_e32 v1, 0x400000, v0
	v_and_or_b32 v4, 0x3fffff, v0, v4
	v_cmp_ne_u32_e32 vcc_lo, 0, v1
	v_cmp_ne_u32_e64 s0, 0, v4
	v_lshrrev_b32_e32 v1, 23, v0
	s_and_b32 s0, vcc_lo, s0
	v_cndmask_b32_e64 v4, 0, 1, s0
	v_add_nc_u32_e32 v1, v1, v4
.LBB18_45:
	s_or_b32 exec_lo, exec_lo, s17
	s_mov_b32 s17, -1
	s_mov_b32 s0, 0
	global_store_byte v[2:3], v1, off
.LBB18_46:
	s_mov_b32 s18, 0
.LBB18_47:
	s_and_b32 vcc_lo, exec_lo, s18
	s_cbranch_vccz .LBB18_50
; %bb.48:
	s_cmp_eq_u32 s16, 29
	s_mov_b32 s0, -1
	s_cbranch_scc0 .LBB18_50
; %bb.49:
	v_trunc_f32_e32 v1, v0
	s_mov_b32 s17, -1
	s_mov_b32 s0, 0
	s_mov_b32 s18, 0
	v_mul_f32_e32 v4, 0x2f800000, v1
	v_floor_f32_e32 v4, v4
	v_fmamk_f32 v1, v4, 0xcf800000, v1
	v_cvt_u32_f32_e32 v5, v4
	v_cvt_u32_f32_e32 v4, v1
	global_store_dwordx2 v[2:3], v[4:5], off
	s_branch .LBB18_51
.LBB18_50:
	s_mov_b32 s18, 0
.LBB18_51:
	s_and_b32 vcc_lo, exec_lo, s18
	s_cbranch_vccz .LBB18_67
; %bb.52:
	s_cmp_lt_i32 s16, 27
	s_mov_b32 s17, -1
	s_cbranch_scc1 .LBB18_58
; %bb.53:
	v_cvt_u32_f32_e32 v1, v0
	s_cmp_gt_i32 s16, 27
	s_cbranch_scc0 .LBB18_55
; %bb.54:
	s_mov_b32 s17, 0
	global_store_dword v[2:3], v1, off
.LBB18_55:
	s_andn2_b32 vcc_lo, exec_lo, s17
	s_cbranch_vccnz .LBB18_57
; %bb.56:
	global_store_short v[2:3], v1, off
.LBB18_57:
	s_mov_b32 s17, 0
.LBB18_58:
	s_andn2_b32 vcc_lo, exec_lo, s17
	s_cbranch_vccnz .LBB18_66
; %bb.59:
	v_and_b32_e32 v1, 0x7fffffff, v0
	v_mov_b32_e32 v4, 0x80
	s_mov_b32 s17, exec_lo
	v_cmpx_gt_u32_e32 0x43800000, v1
	s_cbranch_execz .LBB18_65
; %bb.60:
	v_cmp_lt_u32_e32 vcc_lo, 0x3bffffff, v1
	s_mov_b32 s18, 0
                                        ; implicit-def: $vgpr1
	s_and_saveexec_b32 s19, vcc_lo
	s_xor_b32 s19, exec_lo, s19
	s_cbranch_execz .LBB18_295
; %bb.61:
	v_bfe_u32 v1, v0, 20, 1
	s_mov_b32 s18, exec_lo
	v_add3_u32 v1, v0, v1, 0x487ffff
	v_lshrrev_b32_e32 v1, 20, v1
	s_andn2_saveexec_b32 s19, s19
	s_cbranch_execnz .LBB18_296
.LBB18_62:
	s_or_b32 exec_lo, exec_lo, s19
	v_mov_b32_e32 v4, 0
	s_and_saveexec_b32 s19, s18
.LBB18_63:
	v_lshrrev_b32_e32 v4, 24, v0
	v_and_or_b32 v4, 0x80, v4, v1
.LBB18_64:
	s_or_b32 exec_lo, exec_lo, s19
.LBB18_65:
	s_or_b32 exec_lo, exec_lo, s17
	global_store_byte v[2:3], v4, off
.LBB18_66:
	s_mov_b32 s17, -1
.LBB18_67:
	s_mov_b32 s18, 0
.LBB18_68:
	s_and_b32 vcc_lo, exec_lo, s18
	s_cbranch_vccz .LBB18_109
; %bb.69:
	s_cmp_gt_i32 s16, 22
	s_mov_b32 s18, -1
	s_cbranch_scc0 .LBB18_101
; %bb.70:
	s_cmp_lt_i32 s16, 24
	s_mov_b32 s17, -1
	s_cbranch_scc1 .LBB18_90
; %bb.71:
	s_cmp_gt_i32 s16, 24
	s_cbranch_scc0 .LBB18_79
; %bb.72:
	v_and_b32_e32 v1, 0x7fffffff, v0
	v_mov_b32_e32 v4, 0x80
	s_mov_b32 s17, exec_lo
	v_cmpx_gt_u32_e32 0x47800000, v1
	s_cbranch_execz .LBB18_78
; %bb.73:
	v_cmp_lt_u32_e32 vcc_lo, 0x37ffffff, v1
	s_mov_b32 s18, 0
                                        ; implicit-def: $vgpr1
	s_and_saveexec_b32 s19, vcc_lo
	s_xor_b32 s19, exec_lo, s19
	s_cbranch_execz .LBB18_299
; %bb.74:
	v_bfe_u32 v1, v0, 21, 1
	s_mov_b32 s18, exec_lo
	v_add3_u32 v1, v0, v1, 0x88fffff
	v_lshrrev_b32_e32 v1, 21, v1
	s_andn2_saveexec_b32 s19, s19
	s_cbranch_execnz .LBB18_300
.LBB18_75:
	s_or_b32 exec_lo, exec_lo, s19
	v_mov_b32_e32 v4, 0
	s_and_saveexec_b32 s19, s18
.LBB18_76:
	v_lshrrev_b32_e32 v4, 24, v0
	v_and_or_b32 v4, 0x80, v4, v1
.LBB18_77:
	s_or_b32 exec_lo, exec_lo, s19
.LBB18_78:
	s_or_b32 exec_lo, exec_lo, s17
	s_mov_b32 s17, 0
	global_store_byte v[2:3], v4, off
.LBB18_79:
	s_and_b32 vcc_lo, exec_lo, s17
	s_cbranch_vccz .LBB18_89
; %bb.80:
	v_and_b32_e32 v4, 0x7fffffff, v0
	s_mov_b32 s17, exec_lo
                                        ; implicit-def: $vgpr1
	v_cmpx_gt_u32_e32 0x43f00000, v4
	s_xor_b32 s17, exec_lo, s17
	s_cbranch_execz .LBB18_86
; %bb.81:
	s_mov_b32 s18, exec_lo
                                        ; implicit-def: $vgpr1
	v_cmpx_lt_u32_e32 0x3c7fffff, v4
	s_xor_b32 s18, exec_lo, s18
; %bb.82:
	v_bfe_u32 v1, v0, 20, 1
	v_add3_u32 v1, v0, v1, 0x407ffff
	v_and_b32_e32 v4, 0xff00000, v1
	v_lshrrev_b32_e32 v1, 20, v1
	v_cmp_ne_u32_e32 vcc_lo, 0x7f00000, v4
	v_cndmask_b32_e32 v1, 0x7e, v1, vcc_lo
; %bb.83:
	s_andn2_saveexec_b32 s18, s18
; %bb.84:
	v_add_f32_e64 v1, 0x46800000, |v0|
; %bb.85:
	s_or_b32 exec_lo, exec_lo, s18
                                        ; implicit-def: $vgpr4
.LBB18_86:
	s_andn2_saveexec_b32 s17, s17
; %bb.87:
	v_mov_b32_e32 v1, 0x7f
	v_cmp_lt_u32_e32 vcc_lo, 0x7f800000, v4
	v_cndmask_b32_e32 v1, 0x7e, v1, vcc_lo
; %bb.88:
	s_or_b32 exec_lo, exec_lo, s17
	v_lshrrev_b32_e32 v4, 24, v0
	v_and_or_b32 v1, 0x80, v4, v1
	global_store_byte v[2:3], v1, off
.LBB18_89:
	s_mov_b32 s17, 0
.LBB18_90:
	s_andn2_b32 vcc_lo, exec_lo, s17
	s_cbranch_vccnz .LBB18_100
; %bb.91:
	v_and_b32_e32 v4, 0x7fffffff, v0
	s_mov_b32 s17, exec_lo
                                        ; implicit-def: $vgpr1
	v_cmpx_gt_u32_e32 0x47800000, v4
	s_xor_b32 s17, exec_lo, s17
	s_cbranch_execz .LBB18_97
; %bb.92:
	s_mov_b32 s18, exec_lo
                                        ; implicit-def: $vgpr1
	v_cmpx_lt_u32_e32 0x387fffff, v4
	s_xor_b32 s18, exec_lo, s18
; %bb.93:
	v_bfe_u32 v1, v0, 21, 1
	v_add3_u32 v1, v0, v1, 0x80fffff
	v_lshrrev_b32_e32 v1, 21, v1
; %bb.94:
	s_andn2_saveexec_b32 s18, s18
; %bb.95:
	v_add_f32_e64 v1, 0x43000000, |v0|
; %bb.96:
	s_or_b32 exec_lo, exec_lo, s18
                                        ; implicit-def: $vgpr4
.LBB18_97:
	s_andn2_saveexec_b32 s17, s17
; %bb.98:
	v_mov_b32_e32 v1, 0x7f
	v_cmp_lt_u32_e32 vcc_lo, 0x7f800000, v4
	v_cndmask_b32_e32 v1, 0x7c, v1, vcc_lo
; %bb.99:
	s_or_b32 exec_lo, exec_lo, s17
	v_lshrrev_b32_e32 v4, 24, v0
	v_and_or_b32 v1, 0x80, v4, v1
	global_store_byte v[2:3], v1, off
.LBB18_100:
	s_mov_b32 s18, 0
	s_mov_b32 s17, -1
.LBB18_101:
	s_andn2_b32 vcc_lo, exec_lo, s18
	s_cbranch_vccnz .LBB18_109
; %bb.102:
	s_cmp_gt_i32 s16, 14
	s_mov_b32 s18, -1
	s_cbranch_scc0 .LBB18_106
; %bb.103:
	s_cmp_eq_u32 s16, 15
	s_mov_b32 s0, -1
	s_cbranch_scc0 .LBB18_105
; %bb.104:
	v_bfe_u32 v1, v0, 16, 1
	v_cmp_o_f32_e32 vcc_lo, v0, v0
	v_mov_b32_e32 v4, 0x7fc0
	s_mov_b32 s17, -1
	s_mov_b32 s0, 0
	v_add3_u32 v1, v0, v1, 0x7fff
	v_cndmask_b32_sdwa v1, v4, v1, vcc_lo dst_sel:DWORD dst_unused:UNUSED_PAD src0_sel:DWORD src1_sel:WORD_1
	global_store_short v[2:3], v1, off
.LBB18_105:
	s_mov_b32 s18, 0
.LBB18_106:
	s_and_b32 vcc_lo, exec_lo, s18
	s_cbranch_vccz .LBB18_109
; %bb.107:
	s_cmp_eq_u32 s16, 11
	s_mov_b32 s0, -1
	s_cbranch_scc0 .LBB18_109
; %bb.108:
	v_cmp_neq_f32_e32 vcc_lo, 0, v0
	s_mov_b32 s0, 0
	s_mov_b32 s17, -1
	v_cndmask_b32_e64 v1, 0, 1, vcc_lo
	global_store_byte v[2:3], v1, off
.LBB18_109:
	s_branch .LBB18_28
.LBB18_110:
	s_and_b32 s7, 0xffff, s7
	s_mov_b32 s16, -1
	s_cmp_lt_i32 s7, 5
	s_cbranch_scc1 .LBB18_131
; %bb.111:
	s_cmp_lt_i32 s7, 8
	s_cbranch_scc1 .LBB18_121
; %bb.112:
	;; [unrolled: 3-line block ×3, first 2 shown]
	s_cmp_gt_i32 s7, 9
	s_cbranch_scc0 .LBB18_115
; %bb.114:
	v_cvt_f64_f32_e32 v[8:9], v0
	v_mov_b32_e32 v10, 0
	s_mov_b32 s16, 0
	v_mov_b32_e32 v11, v10
	global_store_dwordx4 v[2:3], v[8:11], off
.LBB18_115:
	s_andn2_b32 vcc_lo, exec_lo, s16
	s_cbranch_vccnz .LBB18_117
; %bb.116:
	v_mov_b32_e32 v1, 0
	global_store_dwordx2 v[2:3], v[0:1], off
.LBB18_117:
	s_mov_b32 s16, 0
.LBB18_118:
	s_andn2_b32 vcc_lo, exec_lo, s16
	s_cbranch_vccnz .LBB18_120
; %bb.119:
	v_cvt_f16_f32_e32 v1, v0
	v_and_b32_e32 v1, 0xffff, v1
	global_store_dword v[2:3], v1, off
.LBB18_120:
	s_mov_b32 s16, 0
.LBB18_121:
	s_andn2_b32 vcc_lo, exec_lo, s16
	s_cbranch_vccnz .LBB18_130
; %bb.122:
	s_cmp_lt_i32 s7, 6
	s_mov_b32 s16, -1
	s_cbranch_scc1 .LBB18_128
; %bb.123:
	s_cmp_gt_i32 s7, 6
	s_cbranch_scc0 .LBB18_125
; %bb.124:
	v_cvt_f64_f32_e32 v[4:5], v0
	s_mov_b32 s16, 0
	global_store_dwordx2 v[2:3], v[4:5], off
.LBB18_125:
	s_andn2_b32 vcc_lo, exec_lo, s16
	s_cbranch_vccnz .LBB18_127
; %bb.126:
	global_store_dword v[2:3], v0, off
.LBB18_127:
	s_mov_b32 s16, 0
.LBB18_128:
	s_andn2_b32 vcc_lo, exec_lo, s16
	s_cbranch_vccnz .LBB18_130
; %bb.129:
	v_cvt_f16_f32_e32 v1, v0
	global_store_short v[2:3], v1, off
.LBB18_130:
	s_mov_b32 s16, 0
.LBB18_131:
	s_andn2_b32 vcc_lo, exec_lo, s16
	s_cbranch_vccnz .LBB18_147
; %bb.132:
	s_cmp_lt_i32 s7, 2
	s_mov_b32 s16, -1
	s_cbranch_scc1 .LBB18_142
; %bb.133:
	s_cmp_lt_i32 s7, 3
	s_cbranch_scc1 .LBB18_139
; %bb.134:
	s_cmp_gt_i32 s7, 3
	s_cbranch_scc0 .LBB18_136
; %bb.135:
	v_trunc_f32_e32 v1, v0
	s_mov_b32 s16, 0
	v_mul_f32_e64 v4, 0x2f800000, |v1|
	v_floor_f32_e32 v4, v4
	v_fma_f32 v5, 0xcf800000, v4, |v1|
	v_ashrrev_i32_e32 v1, 31, v1
	v_cvt_u32_f32_e32 v4, v4
	v_cvt_u32_f32_e32 v5, v5
	v_xor_b32_e32 v6, v4, v1
	v_xor_b32_e32 v5, v5, v1
	v_sub_co_u32 v4, vcc_lo, v5, v1
	v_sub_co_ci_u32_e64 v5, null, v6, v1, vcc_lo
	global_store_dwordx2 v[2:3], v[4:5], off
.LBB18_136:
	s_andn2_b32 vcc_lo, exec_lo, s16
	s_cbranch_vccnz .LBB18_138
; %bb.137:
	v_cvt_i32_f32_e32 v1, v0
	global_store_dword v[2:3], v1, off
.LBB18_138:
	s_mov_b32 s16, 0
.LBB18_139:
	s_andn2_b32 vcc_lo, exec_lo, s16
	s_cbranch_vccnz .LBB18_141
; %bb.140:
	v_cvt_i32_f32_e32 v1, v0
	global_store_short v[2:3], v1, off
.LBB18_141:
	s_mov_b32 s16, 0
.LBB18_142:
	s_andn2_b32 vcc_lo, exec_lo, s16
	s_cbranch_vccnz .LBB18_147
; %bb.143:
	s_cmp_gt_i32 s7, 0
	s_mov_b32 s7, -1
	s_cbranch_scc0 .LBB18_145
; %bb.144:
	v_cvt_i32_f32_e32 v1, v0
	s_mov_b32 s7, 0
	global_store_byte v[2:3], v1, off
.LBB18_145:
	s_andn2_b32 vcc_lo, exec_lo, s7
	s_cbranch_vccnz .LBB18_147
; %bb.146:
	v_trunc_f32_e32 v0, v0
	v_mul_f32_e64 v1, 0x2f800000, |v0|
	v_floor_f32_e32 v1, v1
	v_fma_f32 v1, 0xcf800000, v1, |v0|
	v_ashrrev_i32_e32 v0, 31, v0
	v_cvt_u32_f32_e32 v1, v1
	v_xor_b32_e32 v1, v1, v0
	v_sub_nc_u32_e32 v0, v1, v0
	global_store_byte v[2:3], v0, off
.LBB18_147:
.LBB18_148:
	v_add_nc_u32_e32 v7, 0x80, v7
	s_mov_b32 s16, -1
	s_branch .LBB18_259
.LBB18_149:
	s_mov_b32 s13, -1
                                        ; implicit-def: $vgpr2
.LBB18_150:
	s_mov_b32 s16, 0
.LBB18_151:
	s_and_b32 vcc_lo, exec_lo, s16
	s_cbranch_vccz .LBB18_155
; %bb.152:
	s_cmp_eq_u32 s0, 29
	s_cbranch_scc0 .LBB18_154
; %bb.153:
	global_load_dwordx2 v[2:3], v[0:1], off
	s_mov_b32 s7, -1
	s_mov_b32 s13, 0
	s_mov_b32 s16, 0
	s_waitcnt vmcnt(0)
	v_ffbh_u32_e32 v4, v3
	v_min_u32_e32 v4, 32, v4
	v_lshlrev_b64 v[2:3], v4, v[2:3]
	v_min_u32_e32 v2, 1, v2
	v_or_b32_e32 v2, v3, v2
	v_sub_nc_u32_e32 v3, 32, v4
	v_cvt_f32_u32_e32 v2, v2
	v_ldexp_f32 v2, v2, v3
	s_branch .LBB18_156
.LBB18_154:
	s_mov_b32 s13, -1
                                        ; implicit-def: $vgpr2
.LBB18_155:
	s_mov_b32 s16, 0
.LBB18_156:
	s_and_b32 vcc_lo, exec_lo, s16
	s_cbranch_vccz .LBB18_174
; %bb.157:
	s_cmp_lt_i32 s0, 27
	s_cbranch_scc1 .LBB18_160
; %bb.158:
	s_cmp_gt_i32 s0, 27
	s_cbranch_scc0 .LBB18_161
; %bb.159:
	global_load_dword v2, v[0:1], off
	s_mov_b32 s7, 0
	s_waitcnt vmcnt(0)
	v_cvt_f32_u32_e32 v2, v2
	s_branch .LBB18_162
.LBB18_160:
	s_mov_b32 s7, -1
                                        ; implicit-def: $vgpr2
	s_branch .LBB18_165
.LBB18_161:
	s_mov_b32 s7, -1
                                        ; implicit-def: $vgpr2
.LBB18_162:
	s_andn2_b32 vcc_lo, exec_lo, s7
	s_cbranch_vccnz .LBB18_164
; %bb.163:
	global_load_ushort v2, v[0:1], off
	s_waitcnt vmcnt(0)
	v_cvt_f32_u32_e32 v2, v2
.LBB18_164:
	s_mov_b32 s7, 0
.LBB18_165:
	s_andn2_b32 vcc_lo, exec_lo, s7
	s_cbranch_vccnz .LBB18_173
; %bb.166:
	global_load_ubyte v3, v[0:1], off
	s_mov_b32 s7, 0
	s_mov_b32 s16, exec_lo
	s_waitcnt vmcnt(0)
	v_cmpx_lt_i16_e32 0x7f, v3
	s_xor_b32 s16, exec_lo, s16
	s_cbranch_execz .LBB18_186
; %bb.167:
	s_mov_b32 s7, -1
	s_mov_b32 s17, exec_lo
	v_cmpx_eq_u16_e32 0x80, v3
; %bb.168:
	s_xor_b32 s7, exec_lo, -1
; %bb.169:
	s_or_b32 exec_lo, exec_lo, s17
	s_and_b32 s7, s7, exec_lo
	s_or_saveexec_b32 s16, s16
	v_mov_b32_e32 v2, 0x7f800001
	s_xor_b32 exec_lo, exec_lo, s16
	s_cbranch_execnz .LBB18_187
.LBB18_170:
	s_or_b32 exec_lo, exec_lo, s16
	s_and_saveexec_b32 s16, s7
	s_cbranch_execz .LBB18_172
.LBB18_171:
	v_and_b32_e32 v2, 0xffff, v3
	v_lshlrev_b32_e32 v3, 24, v3
	v_and_b32_e32 v4, 7, v2
	v_bfe_u32 v8, v2, 3, 4
	v_and_b32_e32 v3, 0x80000000, v3
	v_ffbh_u32_e32 v5, v4
	v_cmp_eq_u32_e32 vcc_lo, 0, v8
	v_min_u32_e32 v5, 32, v5
	v_subrev_nc_u32_e32 v6, 28, v5
	v_sub_nc_u32_e32 v5, 29, v5
	v_lshlrev_b32_e32 v2, v6, v2
	v_cndmask_b32_e32 v5, v8, v5, vcc_lo
	v_and_b32_e32 v2, 7, v2
	v_cndmask_b32_e32 v2, v4, v2, vcc_lo
	v_lshl_add_u32 v4, v5, 23, 0x3b800000
	v_lshlrev_b32_e32 v2, 20, v2
	v_or3_b32 v2, v3, v4, v2
.LBB18_172:
	s_or_b32 exec_lo, exec_lo, s16
.LBB18_173:
	s_mov_b32 s7, -1
.LBB18_174:
	s_branch .LBB18_209
.LBB18_175:
	s_cmp_gt_i32 s0, 22
	s_cbranch_scc0 .LBB18_185
; %bb.176:
	s_cmp_lt_i32 s0, 24
	s_cbranch_scc1 .LBB18_188
; %bb.177:
	s_cmp_gt_i32 s0, 24
	s_cbranch_scc0 .LBB18_189
; %bb.178:
	global_load_ubyte v3, v[0:1], off
	s_mov_b32 s7, 0
	s_mov_b32 s16, exec_lo
	s_waitcnt vmcnt(0)
	v_cmpx_lt_i16_e32 0x7f, v3
	s_xor_b32 s16, exec_lo, s16
	s_cbranch_execz .LBB18_201
; %bb.179:
	s_mov_b32 s7, -1
	s_mov_b32 s17, exec_lo
	v_cmpx_eq_u16_e32 0x80, v3
; %bb.180:
	s_xor_b32 s7, exec_lo, -1
; %bb.181:
	s_or_b32 exec_lo, exec_lo, s17
	s_and_b32 s7, s7, exec_lo
	s_or_saveexec_b32 s16, s16
	v_mov_b32_e32 v2, 0x7f800001
	s_xor_b32 exec_lo, exec_lo, s16
	s_cbranch_execnz .LBB18_202
.LBB18_182:
	s_or_b32 exec_lo, exec_lo, s16
	s_and_saveexec_b32 s16, s7
	s_cbranch_execz .LBB18_184
.LBB18_183:
	v_and_b32_e32 v2, 0xffff, v3
	v_lshlrev_b32_e32 v3, 24, v3
	v_and_b32_e32 v4, 3, v2
	v_bfe_u32 v8, v2, 2, 5
	v_and_b32_e32 v3, 0x80000000, v3
	v_ffbh_u32_e32 v5, v4
	v_cmp_eq_u32_e32 vcc_lo, 0, v8
	v_min_u32_e32 v5, 32, v5
	v_subrev_nc_u32_e32 v6, 29, v5
	v_sub_nc_u32_e32 v5, 30, v5
	v_lshlrev_b32_e32 v2, v6, v2
	v_cndmask_b32_e32 v5, v8, v5, vcc_lo
	v_and_b32_e32 v2, 3, v2
	v_cndmask_b32_e32 v2, v4, v2, vcc_lo
	v_lshl_add_u32 v4, v5, 23, 0x37800000
	v_lshlrev_b32_e32 v2, 21, v2
	v_or3_b32 v2, v3, v4, v2
.LBB18_184:
	s_or_b32 exec_lo, exec_lo, s16
	s_mov_b32 s7, 0
	s_branch .LBB18_190
.LBB18_185:
	s_mov_b32 s16, -1
                                        ; implicit-def: $vgpr2
	s_branch .LBB18_196
.LBB18_186:
	s_or_saveexec_b32 s16, s16
	v_mov_b32_e32 v2, 0x7f800001
	s_xor_b32 exec_lo, exec_lo, s16
	s_cbranch_execz .LBB18_170
.LBB18_187:
	v_cmp_ne_u16_e32 vcc_lo, 0, v3
	v_mov_b32_e32 v2, 0
	s_andn2_b32 s7, s7, exec_lo
	s_and_b32 s17, vcc_lo, exec_lo
	s_or_b32 s7, s7, s17
	s_or_b32 exec_lo, exec_lo, s16
	s_and_saveexec_b32 s16, s7
	s_cbranch_execnz .LBB18_171
	s_branch .LBB18_172
.LBB18_188:
	s_mov_b32 s7, -1
                                        ; implicit-def: $vgpr2
	s_branch .LBB18_193
.LBB18_189:
	s_mov_b32 s7, -1
                                        ; implicit-def: $vgpr2
.LBB18_190:
	s_and_b32 vcc_lo, exec_lo, s7
	s_cbranch_vccz .LBB18_192
; %bb.191:
	global_load_ubyte v2, v[0:1], off
	s_waitcnt vmcnt(0)
	v_lshlrev_b32_e32 v2, 24, v2
	v_and_b32_e32 v3, 0x7f000000, v2
	v_ffbh_u32_e32 v4, v3
	v_add_nc_u32_e32 v6, 0x1000000, v3
	v_cmp_ne_u32_e32 vcc_lo, 0, v3
	v_min_u32_e32 v4, 32, v4
	v_sub_nc_u32_e64 v4, v4, 4 clamp
	v_lshlrev_b32_e32 v5, v4, v3
	v_lshlrev_b32_e32 v4, 23, v4
	v_lshrrev_b32_e32 v5, 4, v5
	v_sub_nc_u32_e32 v4, v5, v4
	v_ashrrev_i32_e32 v5, 8, v6
	v_add_nc_u32_e32 v4, 0x3c000000, v4
	v_and_or_b32 v4, 0x7f800000, v5, v4
	v_cndmask_b32_e32 v3, 0, v4, vcc_lo
	v_and_or_b32 v2, 0x80000000, v2, v3
.LBB18_192:
	s_mov_b32 s7, 0
.LBB18_193:
	s_andn2_b32 vcc_lo, exec_lo, s7
	s_cbranch_vccnz .LBB18_195
; %bb.194:
	global_load_ubyte v2, v[0:1], off
	s_waitcnt vmcnt(0)
	v_lshlrev_b32_e32 v3, 25, v2
	v_lshlrev_b16 v2, 8, v2
	v_lshrrev_b32_e32 v4, 4, v3
	v_and_or_b32 v5, 0x7f00, v2, 0.5
	v_cmp_gt_u32_e32 vcc_lo, 0x8000000, v3
	v_bfe_i32 v2, v2, 0, 16
	v_or_b32_e32 v4, 0x70000000, v4
	v_add_f32_e32 v5, -0.5, v5
	v_mul_f32_e32 v4, 0x7800000, v4
	v_cndmask_b32_e32 v3, v4, v5, vcc_lo
	v_and_or_b32 v2, 0x80000000, v2, v3
.LBB18_195:
	s_mov_b32 s16, 0
	s_mov_b32 s7, -1
.LBB18_196:
	s_andn2_b32 vcc_lo, exec_lo, s16
	s_cbranch_vccnz .LBB18_209
; %bb.197:
	s_cmp_gt_i32 s0, 14
	s_cbranch_scc0 .LBB18_200
; %bb.198:
	s_cmp_eq_u32 s0, 15
	s_cbranch_scc0 .LBB18_203
; %bb.199:
	global_load_ushort v2, v[0:1], off
	s_mov_b32 s7, -1
	s_mov_b32 s13, 0
	s_waitcnt vmcnt(0)
	v_lshlrev_b32_e32 v2, 16, v2
	s_branch .LBB18_204
.LBB18_200:
	s_mov_b32 s16, -1
                                        ; implicit-def: $vgpr2
	s_branch .LBB18_205
.LBB18_201:
	s_or_saveexec_b32 s16, s16
	v_mov_b32_e32 v2, 0x7f800001
	s_xor_b32 exec_lo, exec_lo, s16
	s_cbranch_execz .LBB18_182
.LBB18_202:
	v_cmp_ne_u16_e32 vcc_lo, 0, v3
	v_mov_b32_e32 v2, 0
	s_andn2_b32 s7, s7, exec_lo
	s_and_b32 s17, vcc_lo, exec_lo
	s_or_b32 s7, s7, s17
	s_or_b32 exec_lo, exec_lo, s16
	s_and_saveexec_b32 s16, s7
	s_cbranch_execnz .LBB18_183
	s_branch .LBB18_184
.LBB18_203:
	s_mov_b32 s13, -1
                                        ; implicit-def: $vgpr2
.LBB18_204:
	s_mov_b32 s16, 0
.LBB18_205:
	s_and_b32 vcc_lo, exec_lo, s16
	s_cbranch_vccz .LBB18_209
; %bb.206:
	s_cmp_eq_u32 s0, 11
	s_cbranch_scc0 .LBB18_208
; %bb.207:
	global_load_ubyte v2, v[0:1], off
	s_mov_b32 s13, 0
	s_mov_b32 s7, -1
	s_waitcnt vmcnt(0)
	v_cmp_ne_u16_e32 vcc_lo, 0, v2
	v_cndmask_b32_e64 v2, 0, 1.0, vcc_lo
	s_branch .LBB18_209
.LBB18_208:
	s_mov_b32 s13, -1
                                        ; implicit-def: $vgpr2
.LBB18_209:
	s_branch .LBB18_10
.LBB18_210:
	s_cmp_lt_i32 s0, 5
	s_cbranch_scc1 .LBB18_215
; %bb.211:
	s_cmp_lt_i32 s0, 8
	s_cbranch_scc1 .LBB18_216
; %bb.212:
	;; [unrolled: 3-line block ×3, first 2 shown]
	s_cmp_gt_i32 s0, 9
	s_cbranch_scc0 .LBB18_218
; %bb.214:
	global_load_dwordx2 v[2:3], v[0:1], off
	s_mov_b32 s7, 0
	s_waitcnt vmcnt(0)
	v_cvt_f32_f64_e32 v2, v[2:3]
	s_branch .LBB18_219
.LBB18_215:
                                        ; implicit-def: $vgpr2
	s_branch .LBB18_237
.LBB18_216:
	s_mov_b32 s7, -1
                                        ; implicit-def: $vgpr2
	s_branch .LBB18_225
.LBB18_217:
	s_mov_b32 s7, -1
                                        ; implicit-def: $vgpr2
	s_branch .LBB18_222
.LBB18_218:
	s_mov_b32 s7, -1
                                        ; implicit-def: $vgpr2
.LBB18_219:
	s_andn2_b32 vcc_lo, exec_lo, s7
	s_cbranch_vccnz .LBB18_221
; %bb.220:
	global_load_dword v2, v[0:1], off
.LBB18_221:
	s_mov_b32 s7, 0
.LBB18_222:
	s_andn2_b32 vcc_lo, exec_lo, s7
	s_cbranch_vccnz .LBB18_224
; %bb.223:
	global_load_dword v2, v[0:1], off
	s_waitcnt vmcnt(0)
	v_cvt_f32_f16_e32 v2, v2
.LBB18_224:
	s_mov_b32 s7, 0
.LBB18_225:
	s_andn2_b32 vcc_lo, exec_lo, s7
	s_cbranch_vccnz .LBB18_236
; %bb.226:
	s_cmp_lt_i32 s0, 6
	s_cbranch_scc1 .LBB18_229
; %bb.227:
	s_cmp_gt_i32 s0, 6
	s_cbranch_scc0 .LBB18_230
; %bb.228:
	global_load_dwordx2 v[2:3], v[0:1], off
	s_mov_b32 s7, 0
	s_waitcnt vmcnt(0)
	v_cvt_f32_f64_e32 v2, v[2:3]
	s_branch .LBB18_231
.LBB18_229:
	s_mov_b32 s7, -1
                                        ; implicit-def: $vgpr2
	s_branch .LBB18_234
.LBB18_230:
	s_mov_b32 s7, -1
                                        ; implicit-def: $vgpr2
.LBB18_231:
	s_andn2_b32 vcc_lo, exec_lo, s7
	s_cbranch_vccnz .LBB18_233
; %bb.232:
	global_load_dword v2, v[0:1], off
.LBB18_233:
	s_mov_b32 s7, 0
.LBB18_234:
	s_andn2_b32 vcc_lo, exec_lo, s7
	s_cbranch_vccnz .LBB18_236
; %bb.235:
	global_load_ushort v2, v[0:1], off
	s_waitcnt vmcnt(0)
	v_cvt_f32_f16_e32 v2, v2
.LBB18_236:
	s_cbranch_execnz .LBB18_256
.LBB18_237:
	s_cmp_lt_i32 s0, 2
	s_cbranch_scc1 .LBB18_241
; %bb.238:
	s_cmp_lt_i32 s0, 3
	s_cbranch_scc1 .LBB18_242
; %bb.239:
	s_cmp_gt_i32 s0, 3
	s_cbranch_scc0 .LBB18_243
; %bb.240:
	global_load_dwordx2 v[2:3], v[0:1], off
	s_mov_b32 s7, 0
	s_waitcnt vmcnt(0)
	v_xor_b32_e32 v4, v2, v3
	v_ffbh_i32_e32 v5, v3
	v_ashrrev_i32_e32 v4, 31, v4
	v_add_nc_u32_e32 v5, -1, v5
	v_add_nc_u32_e32 v4, 32, v4
	v_min_u32_e32 v4, v5, v4
	v_lshlrev_b64 v[2:3], v4, v[2:3]
	v_min_u32_e32 v2, 1, v2
	v_or_b32_e32 v2, v3, v2
	v_sub_nc_u32_e32 v3, 32, v4
	v_cvt_f32_i32_e32 v2, v2
	v_ldexp_f32 v2, v2, v3
	s_branch .LBB18_244
.LBB18_241:
	s_mov_b32 s7, -1
                                        ; implicit-def: $vgpr2
	s_branch .LBB18_250
.LBB18_242:
	s_mov_b32 s7, -1
                                        ; implicit-def: $vgpr2
	s_branch .LBB18_247
.LBB18_243:
	s_mov_b32 s7, -1
                                        ; implicit-def: $vgpr2
.LBB18_244:
	s_andn2_b32 vcc_lo, exec_lo, s7
	s_cbranch_vccnz .LBB18_246
; %bb.245:
	global_load_dword v2, v[0:1], off
	s_waitcnt vmcnt(0)
	v_cvt_f32_i32_e32 v2, v2
.LBB18_246:
	s_mov_b32 s7, 0
.LBB18_247:
	s_andn2_b32 vcc_lo, exec_lo, s7
	s_cbranch_vccnz .LBB18_249
; %bb.248:
	global_load_sshort v2, v[0:1], off
	s_waitcnt vmcnt(0)
	v_cvt_f32_i32_e32 v2, v2
.LBB18_249:
	s_mov_b32 s7, 0
.LBB18_250:
	s_andn2_b32 vcc_lo, exec_lo, s7
	s_cbranch_vccnz .LBB18_256
; %bb.251:
	s_cmp_gt_i32 s0, 0
	s_mov_b32 s0, 0
	s_cbranch_scc0 .LBB18_253
; %bb.252:
	global_load_sbyte v2, v[0:1], off
	s_waitcnt vmcnt(0)
	v_cvt_f32_i32_e32 v2, v2
	s_branch .LBB18_254
.LBB18_253:
	s_mov_b32 s0, -1
                                        ; implicit-def: $vgpr2
.LBB18_254:
	s_andn2_b32 vcc_lo, exec_lo, s0
	s_cbranch_vccnz .LBB18_256
; %bb.255:
	global_load_ubyte v0, v[0:1], off
	s_waitcnt vmcnt(0)
	v_cvt_f32_ubyte0_e32 v2, v0
.LBB18_256:
	s_branch .LBB18_11
.LBB18_257:
	s_mov_b32 s0, 0
.LBB18_258:
	s_mov_b32 s16, 0
                                        ; implicit-def: $vgpr7
.LBB18_259:
	s_and_b32 s7, s0, exec_lo
	s_and_b32 s13, s13, exec_lo
	s_orn2_b32 s17, s16, exec_lo
.LBB18_260:
	s_or_b32 exec_lo, exec_lo, s14
	s_mov_b32 s16, 0
	s_mov_b32 s0, 0
                                        ; implicit-def: $vgpr0_vgpr1
                                        ; implicit-def: $vgpr4
	s_and_saveexec_b32 s14, s17
	s_cbranch_execz .LBB18_269
; %bb.261:
	s_mov_b32 s0, -1
	s_mov_b32 s15, s13
	s_mov_b32 s16, s7
	s_mov_b32 s17, exec_lo
	v_cmpx_gt_i32_e64 s12, v7
	s_cbranch_execz .LBB18_531
; %bb.262:
	v_mul_lo_u32 v0, v7, s3
	s_and_b32 s0, 0xffff, s5
	s_cmp_lt_i32 s0, 11
	v_ashrrev_i32_e32 v1, 31, v0
	v_add_co_u32 v0, vcc_lo, s10, v0
	v_add_co_ci_u32_e64 v1, null, s11, v1, vcc_lo
	s_cbranch_scc1 .LBB18_272
; %bb.263:
	s_cmp_gt_i32 s0, 25
	s_cbranch_scc0 .LBB18_289
; %bb.264:
	s_cmp_gt_i32 s0, 28
	s_cbranch_scc0 .LBB18_291
	;; [unrolled: 3-line block ×4, first 2 shown]
; %bb.267:
	s_cmp_eq_u32 s0, 46
	s_mov_b32 s18, 0
	s_cbranch_scc0 .LBB18_301
; %bb.268:
	global_load_dword v2, v[0:1], off
	s_mov_b32 s16, -1
	s_mov_b32 s15, 0
	s_waitcnt vmcnt(0)
	v_lshlrev_b32_e32 v2, 16, v2
	s_branch .LBB18_303
.LBB18_269:
	s_or_b32 exec_lo, exec_lo, s14
	s_mov_b32 s12, 0
	s_and_saveexec_b32 s14, s13
	s_cbranch_execnz .LBB18_887
.LBB18_270:
	s_or_b32 exec_lo, exec_lo, s14
	s_and_saveexec_b32 s13, s15
	s_xor_b32 s13, exec_lo, s13
	s_cbranch_execz .LBB18_888
.LBB18_271:
	global_load_ubyte v2, v[0:1], off
	s_or_b32 s0, s0, exec_lo
	s_waitcnt vmcnt(0)
	v_cmp_ne_u16_e32 vcc_lo, 0, v2
	v_cndmask_b32_e64 v4, 0, 1.0, vcc_lo
	s_or_b32 exec_lo, exec_lo, s13
	s_and_saveexec_b32 s13, s16
	s_cbranch_execz .LBB18_934
	s_branch .LBB18_889
.LBB18_272:
	s_mov_b32 s16, 0
	s_mov_b32 s15, s13
                                        ; implicit-def: $vgpr2
	s_cbranch_execnz .LBB18_480
.LBB18_273:
	s_andn2_b32 vcc_lo, exec_lo, s16
	s_cbranch_vccnz .LBB18_528
.LBB18_274:
	v_mov_b32_e32 v0, 0x7f800000
	s_mov_b32 s16, exec_lo
	s_waitcnt vmcnt(0)
	v_cmpx_neq_f32_e32 0, v2
	s_cbranch_execz .LBB18_282
; %bb.275:
	v_mov_b32_e32 v0, 0x7fc00000
	s_mov_b32 s18, exec_lo
	v_cmpx_ngt_f32_e32 0, v2
	s_cbranch_execz .LBB18_281
; %bb.276:
                                        ; implicit-def: $vgpr0
	s_mov_b32 s0, exec_lo
	v_cmpx_ge_f32_e32 2.0, v2
	s_xor_b32 s19, exec_lo, s0
	s_cbranch_execz .LBB18_278
; %bb.277:
	v_fma_f32 v0, v2, 0.5, -2.0
	s_mov_b32 s0, 0x224cf950
	v_fma_f32 v4, v2, v2, -2.0
	v_fmaak_f32 v1, s0, v0, 0xa3c2be86
	s_mov_b32 s0, 0xa3019142
	v_fmaak_f32 v5, s0, v4, 0xa72eea8c
	v_fmaak_f32 v3, v0, v1, 0xa24cf950
	;; [unrolled: 1-line block ×3, first 2 shown]
	v_add_f32_e32 v3, 0x25331f1f, v3
	v_add_f32_e32 v6, 0xab3ba817, v6
	v_fma_f32 v1, v0, v3, -v1
	v_fma_f32 v5, v4, v6, -v5
	v_add_f32_e32 v1, 0xa69f5554, v1
	v_add_f32_e32 v5, 0xaf1b31de, v5
	v_fma_f32 v3, v0, v1, -v3
	v_fma_f32 v6, v4, v5, -v6
	;; [unrolled: 4-line block ×8, first 2 shown]
	v_mul_f32_e32 v5, 0.5, v2
	v_add_f32_e32 v3, 0x2fc751a6, v3
	v_add_f32_e32 v4, 0x3fc33d0a, v4
	v_cmp_gt_f32_e32 vcc_lo, 0x800000, v5
	v_fma_f32 v1, v0, v3, -v1
	v_sub_f32_e32 v4, v4, v6
	v_mul_f32_e32 v6, 0x3fb8aa3b, v2
	v_add_f32_e32 v1, 0xb101b0d9, v1
	v_cndmask_b32_e64 v8, 0, 32, vcc_lo
	v_cndmask_b32_e64 v13, 0, 0x41b17218, vcc_lo
	v_mul_f32_e32 v4, 0.5, v4
	v_rndne_f32_e32 v9, v6
	v_fma_f32 v3, v0, v1, -v3
	v_fma_f32 v11, 0x3fb8aa3b, v2, -v6
	v_ldexp_f32 v5, v5, v8
	v_div_scale_f32 v10, null, v2, v2, v4
	v_add_f32_e32 v3, 0x32212c70, v3
	v_sub_f32_e32 v6, v6, v9
	v_fmamk_f32 v11, v2, 0x32a5705f, v11
	v_rcp_f32_e32 v8, v10
	v_log_f32_e32 v5, v5
	v_fma_f32 v1, v0, v3, -v1
	v_div_scale_f32 v12, s0, v4, v2, v4
	v_add_f32_e32 v6, v6, v11
	v_cmp_ngt_f32_e32 vcc_lo, 0xc2ce8ed0, v2
	v_add_f32_e32 v1, 0xb33ee9f1, v1
	v_exp_f32_e32 v6, v6
	v_fma_f32 v11, -v10, v8, 1.0
	v_fma_f32 v3, v0, v1, -v3
	v_fmac_f32_e32 v8, v11, v8
	v_add_f32_e32 v3, 0x34571a26, v3
	v_mul_f32_e32 v11, 0x3f317217, v5
	v_fma_f32 v1, v0, v3, -v1
	v_fma_f32 v11, 0x3f317217, v5, -v11
	v_add_f32_e32 v1, 0xb56603cc, v1
	v_fmamk_f32 v11, v5, 0x3377d1cf, v11
	v_fma_f32 v3, v0, v1, -v3
	v_fmac_f32_e32 v11, 0x3f317217, v5
	v_add_f32_e32 v3, 0x3668e277, v3
	v_fma_f32 v1, v0, v3, -v1
	v_add_f32_e32 v1, 0xb75eafce, v1
	v_fma_f32 v3, v0, v1, -v3
	;; [unrolled: 2-line block ×12, first 2 shown]
	v_cvt_i32_f32_e32 v1, v9
	v_mul_f32_e32 v9, v12, v8
	v_add_f32_e32 v0, 0x3e81531c, v0
	v_ldexp_f32 v1, v6, v1
	v_fma_f32 v6, -v10, v9, v12
	v_sub_f32_e32 v0, v0, v3
	v_cndmask_b32_e32 v1, 0, v1, vcc_lo
	v_cmp_nlt_f32_e32 vcc_lo, 0x42b17218, v2
	v_fmac_f32_e32 v9, v6, v8
	v_mul_f32_e32 v0, 0.5, v0
	v_cndmask_b32_e32 v1, 0x7f800000, v1, vcc_lo
	v_cmp_gt_f32_e64 vcc_lo, 0x7f800000, |v5|
	v_fma_f32 v3, -v10, v9, v12
	v_mul_f32_e32 v0, v2, v0
	v_cndmask_b32_e32 v5, v5, v11, vcc_lo
	s_mov_b32 vcc_lo, s0
	v_mul_f32_e32 v1, v1, v0
	v_div_fmas_f32 v3, v3, v8, v9
	v_sub_f32_e32 v5, v5, v13
	v_div_fixup_f32 v0, v3, v2, v4
                                        ; implicit-def: $vgpr2
	v_fmac_f32_e32 v0, v5, v1
.LBB18_278:
	s_andn2_saveexec_b32 s19, s19
	s_cbranch_execz .LBB18_280
; %bb.279:
	v_div_scale_f32 v0, null, v2, v2, 0x41000000
	v_div_scale_f32 v4, vcc_lo, 0x41000000, v2, 0x41000000
	s_mov_b32 s0, 0xa2d462ea
	v_rcp_f32_e32 v1, v0
	v_fma_f32 v3, -v0, v1, 1.0
	v_fmac_f32_e32 v1, v3, v1
	v_mul_f32_e32 v3, v4, v1
	v_fma_f32 v5, -v0, v3, v4
	v_fmac_f32_e32 v3, v5, v1
	v_mul_f32_e32 v5, 0xbfb8aa3b, v2
	v_fma_f32 v0, -v0, v3, v4
	v_mul_f32_e32 v4, 0x4f800000, v2
	v_rndne_f32_e32 v6, v5
	v_fma_f32 v8, 0xbfb8aa3b, v2, -v5
	v_div_fmas_f32 v0, v0, v1, v3
	v_cmp_gt_f32_e32 vcc_lo, 0xf800000, v2
	v_sub_f32_e32 v5, v5, v6
	v_fmamk_f32 v8, v2, 0xb2a5705f, v8
	v_cvt_i32_f32_e32 v6, v6
	v_div_fixup_f32 v0, v0, v2, 0x41000000
	v_cndmask_b32_e32 v4, v2, v4, vcc_lo
	v_add_f32_e32 v5, v5, v8
	v_add_f32_e32 v0, -2.0, v0
	v_sqrt_f32_e32 v9, v4
	v_exp_f32_e32 v5, v5
	v_fmaak_f32 v1, s0, v0, 0x23a578d4
	v_fmaak_f32 v3, v0, v1, 0x22d462ea
	v_add_nc_u32_e32 v8, -1, v9
	v_add_nc_u32_e32 v10, 1, v9
	v_add_f32_e32 v3, 0xa48330a9, v3
	v_fma_f32 v11, -v8, v9, v4
	v_fma_f32 v12, -v10, v9, v4
	v_fma_f32 v1, v0, v3, -v1
	v_cmp_ge_f32_e64 s0, 0, v11
	v_add_f32_e32 v1, 0x2553eaf2, v1
	v_cndmask_b32_e64 v8, v9, v8, s0
	v_cmp_lt_f32_e64 s0, 0, v12
	v_fma_f32 v3, v0, v1, -v3
	v_add_f32_e32 v3, 0xa62e951f, v3
	v_fma_f32 v1, v0, v3, -v1
	v_add_f32_e32 v1, 0x2712e76f, v1
	v_fma_f32 v3, v0, v1, -v3
	v_add_f32_e32 v3, 0xa7fcea92, v3
	v_fma_f32 v1, v0, v3, -v1
	v_add_f32_e32 v1, 0x28df1f4b, v1
	v_fma_f32 v3, v0, v1, -v3
	v_add_f32_e32 v3, 0xa9ca232f, v3
	v_fma_f32 v1, v0, v3, -v1
	v_add_f32_e32 v1, 0x2abc7fd0, v1
	v_fma_f32 v3, v0, v1, -v3
	v_add_f32_e32 v3, 0xabb56f63, v3
	v_fma_f32 v1, v0, v3, -v1
	v_add_f32_e32 v1, 0x2cb4d5c2, v1
	v_fma_f32 v3, v0, v1, -v3
	v_add_f32_e32 v3, 0xadbb5a9d, v3
	v_fma_f32 v1, v0, v3, -v1
	v_add_f32_e32 v1, 0x2ecab680, v1
	v_fma_f32 v3, v0, v1, -v3
	v_add_f32_e32 v3, 0xafe65e00, v3
	v_fma_f32 v1, v0, v3, -v1
	v_add_f32_e32 v1, 0x310a7921, v1
	v_fma_f32 v3, v0, v1, -v3
	v_add_f32_e32 v3, 0xb231bd25, v3
	v_fma_f32 v1, v0, v3, -v1
	v_add_f32_e32 v1, 0x337693e3, v1
	v_fma_f32 v3, v0, v1, -v3
	v_add_f32_e32 v3, 0xb4bc0294, v3
	v_fma_f32 v1, v0, v3, -v1
	v_add_f32_e32 v1, 0x36217f19, v1
	v_fma_f32 v3, v0, v1, -v3
	v_add_f32_e32 v3, 0xb7a26b89, v3
	v_fma_f32 v1, v0, v3, -v1
	v_add_f32_e32 v1, 0x394cb2c4, v1
	v_fma_f32 v3, v0, v1, -v3
	v_add_f32_e32 v3, 0xbb3b4a36, v3
	v_fma_f32 v1, v0, v3, -v1
	v_add_f32_e32 v1, 0x3dd4d5f8, v1
	v_fma_f32 v0, v0, v1, -v3
	v_ldexp_f32 v1, v5, v6
	v_cndmask_b32_e64 v5, v8, v10, s0
	v_cmp_nlt_f32_e64 s0, 0x42ce8ed0, v2
	v_add_f32_e32 v0, 0x402e1ebd, v0
	v_mul_f32_e32 v6, 0x37800000, v5
	v_cndmask_b32_e64 v1, 0, v1, s0
	v_cmp_ngt_f32_e64 s0, 0xc2b17218, v2
	v_sub_f32_e32 v0, v0, v3
	v_cndmask_b32_e32 v2, v5, v6, vcc_lo
	v_cmp_class_f32_e64 vcc_lo, v4, 0x260
	v_cndmask_b32_e64 v1, 0x7f800000, v1, s0
	v_mul_f32_e32 v0, 0.5, v0
	v_cndmask_b32_e32 v2, v2, v4, vcc_lo
	v_mul_f32_e32 v0, v1, v0
	v_div_scale_f32 v1, null, v2, v2, v0
	v_rcp_f32_e32 v3, v1
	v_fma_f32 v4, -v1, v3, 1.0
	v_fmac_f32_e32 v3, v4, v3
	v_div_scale_f32 v4, vcc_lo, v0, v2, v0
	v_mul_f32_e32 v5, v4, v3
	v_fma_f32 v6, -v1, v5, v4
	v_fmac_f32_e32 v5, v6, v3
	v_fma_f32 v1, -v1, v5, v4
	v_div_fmas_f32 v1, v1, v3, v5
	v_div_fixup_f32 v0, v1, v2, v0
.LBB18_280:
	s_or_b32 exec_lo, exec_lo, s19
.LBB18_281:
	s_or_b32 exec_lo, exec_lo, s18
.LBB18_282:
	s_or_b32 exec_lo, exec_lo, s16
	v_mul_lo_u32 v1, v7, s2
	s_and_b32 s16, s1, 0xff
	s_cmp_lt_i32 s16, 11
	v_ashrrev_i32_e32 v3, 31, v1
	v_add_co_u32 v2, vcc_lo, s8, v1
	v_add_co_ci_u32_e64 v3, null, s9, v3, vcc_lo
	s_cbranch_scc1 .LBB18_290
; %bb.283:
	s_and_b32 s18, 0xffff, s16
	s_cmp_gt_i32 s18, 25
	s_cbranch_scc0 .LBB18_292
; %bb.284:
	s_cmp_gt_i32 s18, 28
	s_cbranch_scc0 .LBB18_294
; %bb.285:
	;; [unrolled: 3-line block ×4, first 2 shown]
	s_mov_b32 s20, 0
	s_mov_b32 s0, -1
	s_cmp_eq_u32 s18, 46
	s_mov_b32 s19, 0
	s_cbranch_scc0 .LBB18_307
; %bb.288:
	v_bfe_u32 v1, v0, 16, 1
	v_cmp_o_f32_e32 vcc_lo, v0, v0
	v_mov_b32_e32 v4, 0x7fc0
	s_mov_b32 s19, -1
	s_mov_b32 s0, 0
	v_add3_u32 v1, v0, v1, 0x7fff
	v_cndmask_b32_sdwa v1, v4, v1, vcc_lo dst_sel:DWORD dst_unused:UNUSED_PAD src0_sel:DWORD src1_sel:WORD_1
	global_store_dword v[2:3], v1, off
	s_branch .LBB18_307
.LBB18_289:
	s_mov_b32 s18, -1
	s_mov_b32 s16, 0
	s_mov_b32 s15, s13
                                        ; implicit-def: $vgpr2
	s_branch .LBB18_444
.LBB18_290:
	s_mov_b32 s18, -1
	s_mov_b32 s19, 0
	s_mov_b32 s0, s7
	s_branch .LBB18_376
.LBB18_291:
	s_mov_b32 s18, -1
	s_mov_b32 s16, 0
	s_mov_b32 s15, s13
                                        ; implicit-def: $vgpr2
	s_branch .LBB18_425
.LBB18_292:
	s_mov_b32 s20, -1
	s_mov_b32 s19, 0
	s_mov_b32 s0, s7
	s_branch .LBB18_334
.LBB18_293:
	s_mov_b32 s18, -1
	s_mov_b32 s16, 0
	s_mov_b32 s15, s13
                                        ; implicit-def: $vgpr2
	s_branch .LBB18_420
.LBB18_294:
	s_mov_b32 s20, -1
	s_mov_b32 s19, 0
	s_mov_b32 s0, s7
	s_branch .LBB18_317
.LBB18_295:
	s_andn2_saveexec_b32 s19, s19
	s_cbranch_execz .LBB18_62
.LBB18_296:
	v_add_f32_e64 v1, 0x46000000, |v0|
	s_andn2_b32 s18, s18, exec_lo
	v_and_b32_e32 v1, 0xff, v1
	v_cmp_ne_u32_e32 vcc_lo, 0, v1
	s_and_b32 s20, vcc_lo, exec_lo
	s_or_b32 s18, s18, s20
	s_or_b32 exec_lo, exec_lo, s19
	v_mov_b32_e32 v4, 0
	s_and_saveexec_b32 s19, s18
	s_cbranch_execnz .LBB18_63
	s_branch .LBB18_64
.LBB18_297:
	s_mov_b32 s18, -1
	s_mov_b32 s16, 0
	s_mov_b32 s15, s13
	s_branch .LBB18_302
.LBB18_298:
	s_mov_b32 s20, -1
	s_mov_b32 s19, 0
	s_mov_b32 s0, s7
	s_branch .LBB18_313
.LBB18_299:
	s_andn2_saveexec_b32 s19, s19
	s_cbranch_execz .LBB18_75
.LBB18_300:
	v_add_f32_e64 v1, 0x42800000, |v0|
	s_andn2_b32 s18, s18, exec_lo
	v_and_b32_e32 v1, 0xff, v1
	v_cmp_ne_u32_e32 vcc_lo, 0, v1
	s_and_b32 s20, vcc_lo, exec_lo
	s_or_b32 s18, s18, s20
	s_or_b32 exec_lo, exec_lo, s19
	v_mov_b32_e32 v4, 0
	s_and_saveexec_b32 s19, s18
	s_cbranch_execnz .LBB18_76
	s_branch .LBB18_77
.LBB18_301:
	s_mov_b32 s15, -1
	s_mov_b32 s16, 0
.LBB18_302:
                                        ; implicit-def: $vgpr2
.LBB18_303:
	s_and_b32 vcc_lo, exec_lo, s18
	s_cbranch_vccz .LBB18_419
; %bb.304:
	s_cmp_eq_u32 s0, 44
	s_cbranch_scc0 .LBB18_418
; %bb.305:
	global_load_ubyte v2, v[0:1], off
	s_mov_b32 s15, 0
	s_mov_b32 s16, -1
	s_waitcnt vmcnt(0)
	v_lshlrev_b32_e32 v3, 23, v2
	v_cmp_ne_u32_e32 vcc_lo, 0xff, v2
	v_cndmask_b32_e32 v3, 0x7f800001, v3, vcc_lo
	v_cmp_ne_u32_e32 vcc_lo, 0, v2
	v_cndmask_b32_e32 v2, 0x400000, v3, vcc_lo
	s_branch .LBB18_419
.LBB18_306:
	s_mov_b32 s20, -1
	s_mov_b32 s19, 0
	s_mov_b32 s0, s7
.LBB18_307:
	s_and_b32 vcc_lo, exec_lo, s20
	s_cbranch_vccz .LBB18_312
; %bb.308:
	s_cmp_eq_u32 s18, 44
	s_mov_b32 s0, -1
	s_cbranch_scc0 .LBB18_312
; %bb.309:
	v_bfe_u32 v4, v0, 23, 8
	v_mov_b32_e32 v1, 0xff
	s_mov_b32 s19, exec_lo
	v_cmpx_ne_u32_e32 0xff, v4
	s_cbranch_execz .LBB18_311
; %bb.310:
	v_and_b32_e32 v1, 0x400000, v0
	v_and_or_b32 v4, 0x3fffff, v0, v4
	v_cmp_ne_u32_e32 vcc_lo, 0, v1
	v_cmp_ne_u32_e64 s0, 0, v4
	v_lshrrev_b32_e32 v1, 23, v0
	s_and_b32 s0, vcc_lo, s0
	v_cndmask_b32_e64 v4, 0, 1, s0
	v_add_nc_u32_e32 v1, v1, v4
.LBB18_311:
	s_or_b32 exec_lo, exec_lo, s19
	s_mov_b32 s19, -1
	s_mov_b32 s0, 0
	global_store_byte v[2:3], v1, off
.LBB18_312:
	s_mov_b32 s20, 0
.LBB18_313:
	s_and_b32 vcc_lo, exec_lo, s20
	s_cbranch_vccz .LBB18_316
; %bb.314:
	s_cmp_eq_u32 s18, 29
	s_mov_b32 s0, -1
	s_cbranch_scc0 .LBB18_316
; %bb.315:
	v_trunc_f32_e32 v1, v0
	s_mov_b32 s19, -1
	s_mov_b32 s0, 0
	s_mov_b32 s20, 0
	v_mul_f32_e32 v4, 0x2f800000, v1
	v_floor_f32_e32 v4, v4
	v_fmamk_f32 v1, v4, 0xcf800000, v1
	v_cvt_u32_f32_e32 v5, v4
	v_cvt_u32_f32_e32 v4, v1
	global_store_dwordx2 v[2:3], v[4:5], off
	s_branch .LBB18_317
.LBB18_316:
	s_mov_b32 s20, 0
.LBB18_317:
	s_and_b32 vcc_lo, exec_lo, s20
	s_cbranch_vccz .LBB18_333
; %bb.318:
	s_cmp_lt_i32 s18, 27
	s_mov_b32 s19, -1
	s_cbranch_scc1 .LBB18_324
; %bb.319:
	v_cvt_u32_f32_e32 v1, v0
	s_cmp_gt_i32 s18, 27
	s_cbranch_scc0 .LBB18_321
; %bb.320:
	s_mov_b32 s19, 0
	global_store_dword v[2:3], v1, off
.LBB18_321:
	s_andn2_b32 vcc_lo, exec_lo, s19
	s_cbranch_vccnz .LBB18_323
; %bb.322:
	global_store_short v[2:3], v1, off
.LBB18_323:
	s_mov_b32 s19, 0
.LBB18_324:
	s_andn2_b32 vcc_lo, exec_lo, s19
	s_cbranch_vccnz .LBB18_332
; %bb.325:
	v_and_b32_e32 v1, 0x7fffffff, v0
	v_mov_b32_e32 v4, 0x80
	s_mov_b32 s19, exec_lo
	v_cmpx_gt_u32_e32 0x43800000, v1
	s_cbranch_execz .LBB18_331
; %bb.326:
	v_cmp_lt_u32_e32 vcc_lo, 0x3bffffff, v1
	s_mov_b32 s20, 0
                                        ; implicit-def: $vgpr1
	s_and_saveexec_b32 s21, vcc_lo
	s_xor_b32 s21, exec_lo, s21
	s_cbranch_execz .LBB18_544
; %bb.327:
	v_bfe_u32 v1, v0, 20, 1
	s_mov_b32 s20, exec_lo
	v_add3_u32 v1, v0, v1, 0x487ffff
	v_lshrrev_b32_e32 v1, 20, v1
	s_andn2_saveexec_b32 s21, s21
	s_cbranch_execnz .LBB18_545
.LBB18_328:
	s_or_b32 exec_lo, exec_lo, s21
	v_mov_b32_e32 v4, 0
	s_and_saveexec_b32 s21, s20
.LBB18_329:
	v_lshrrev_b32_e32 v4, 24, v0
	v_and_or_b32 v4, 0x80, v4, v1
.LBB18_330:
	s_or_b32 exec_lo, exec_lo, s21
.LBB18_331:
	s_or_b32 exec_lo, exec_lo, s19
	global_store_byte v[2:3], v4, off
.LBB18_332:
	s_mov_b32 s19, -1
.LBB18_333:
	s_mov_b32 s20, 0
.LBB18_334:
	s_and_b32 vcc_lo, exec_lo, s20
	s_cbranch_vccz .LBB18_375
; %bb.335:
	s_cmp_gt_i32 s18, 22
	s_mov_b32 s20, -1
	s_cbranch_scc0 .LBB18_367
; %bb.336:
	s_cmp_lt_i32 s18, 24
	s_mov_b32 s19, -1
	s_cbranch_scc1 .LBB18_356
; %bb.337:
	s_cmp_gt_i32 s18, 24
	s_cbranch_scc0 .LBB18_345
; %bb.338:
	v_and_b32_e32 v1, 0x7fffffff, v0
	v_mov_b32_e32 v4, 0x80
	s_mov_b32 s19, exec_lo
	v_cmpx_gt_u32_e32 0x47800000, v1
	s_cbranch_execz .LBB18_344
; %bb.339:
	v_cmp_lt_u32_e32 vcc_lo, 0x37ffffff, v1
	s_mov_b32 s20, 0
                                        ; implicit-def: $vgpr1
	s_and_saveexec_b32 s21, vcc_lo
	s_xor_b32 s21, exec_lo, s21
	s_cbranch_execz .LBB18_547
; %bb.340:
	v_bfe_u32 v1, v0, 21, 1
	s_mov_b32 s20, exec_lo
	v_add3_u32 v1, v0, v1, 0x88fffff
	v_lshrrev_b32_e32 v1, 21, v1
	s_andn2_saveexec_b32 s21, s21
	s_cbranch_execnz .LBB18_548
.LBB18_341:
	s_or_b32 exec_lo, exec_lo, s21
	v_mov_b32_e32 v4, 0
	s_and_saveexec_b32 s21, s20
.LBB18_342:
	v_lshrrev_b32_e32 v4, 24, v0
	v_and_or_b32 v4, 0x80, v4, v1
.LBB18_343:
	s_or_b32 exec_lo, exec_lo, s21
.LBB18_344:
	s_or_b32 exec_lo, exec_lo, s19
	s_mov_b32 s19, 0
	global_store_byte v[2:3], v4, off
.LBB18_345:
	s_and_b32 vcc_lo, exec_lo, s19
	s_cbranch_vccz .LBB18_355
; %bb.346:
	v_and_b32_e32 v4, 0x7fffffff, v0
	s_mov_b32 s19, exec_lo
                                        ; implicit-def: $vgpr1
	v_cmpx_gt_u32_e32 0x43f00000, v4
	s_xor_b32 s19, exec_lo, s19
	s_cbranch_execz .LBB18_352
; %bb.347:
	s_mov_b32 s20, exec_lo
                                        ; implicit-def: $vgpr1
	v_cmpx_lt_u32_e32 0x3c7fffff, v4
	s_xor_b32 s20, exec_lo, s20
; %bb.348:
	v_bfe_u32 v1, v0, 20, 1
	v_add3_u32 v1, v0, v1, 0x407ffff
	v_and_b32_e32 v4, 0xff00000, v1
	v_lshrrev_b32_e32 v1, 20, v1
	v_cmp_ne_u32_e32 vcc_lo, 0x7f00000, v4
	v_cndmask_b32_e32 v1, 0x7e, v1, vcc_lo
; %bb.349:
	s_andn2_saveexec_b32 s20, s20
; %bb.350:
	v_add_f32_e64 v1, 0x46800000, |v0|
; %bb.351:
	s_or_b32 exec_lo, exec_lo, s20
                                        ; implicit-def: $vgpr4
.LBB18_352:
	s_andn2_saveexec_b32 s19, s19
; %bb.353:
	v_mov_b32_e32 v1, 0x7f
	v_cmp_lt_u32_e32 vcc_lo, 0x7f800000, v4
	v_cndmask_b32_e32 v1, 0x7e, v1, vcc_lo
; %bb.354:
	s_or_b32 exec_lo, exec_lo, s19
	v_lshrrev_b32_e32 v4, 24, v0
	v_and_or_b32 v1, 0x80, v4, v1
	global_store_byte v[2:3], v1, off
.LBB18_355:
	s_mov_b32 s19, 0
.LBB18_356:
	s_andn2_b32 vcc_lo, exec_lo, s19
	s_cbranch_vccnz .LBB18_366
; %bb.357:
	v_and_b32_e32 v4, 0x7fffffff, v0
	s_mov_b32 s19, exec_lo
                                        ; implicit-def: $vgpr1
	v_cmpx_gt_u32_e32 0x47800000, v4
	s_xor_b32 s19, exec_lo, s19
	s_cbranch_execz .LBB18_363
; %bb.358:
	s_mov_b32 s20, exec_lo
                                        ; implicit-def: $vgpr1
	v_cmpx_lt_u32_e32 0x387fffff, v4
	s_xor_b32 s20, exec_lo, s20
; %bb.359:
	v_bfe_u32 v1, v0, 21, 1
	v_add3_u32 v1, v0, v1, 0x80fffff
	v_lshrrev_b32_e32 v1, 21, v1
; %bb.360:
	s_andn2_saveexec_b32 s20, s20
; %bb.361:
	v_add_f32_e64 v1, 0x43000000, |v0|
; %bb.362:
	s_or_b32 exec_lo, exec_lo, s20
                                        ; implicit-def: $vgpr4
.LBB18_363:
	s_andn2_saveexec_b32 s19, s19
; %bb.364:
	v_mov_b32_e32 v1, 0x7f
	v_cmp_lt_u32_e32 vcc_lo, 0x7f800000, v4
	v_cndmask_b32_e32 v1, 0x7c, v1, vcc_lo
; %bb.365:
	s_or_b32 exec_lo, exec_lo, s19
	v_lshrrev_b32_e32 v4, 24, v0
	v_and_or_b32 v1, 0x80, v4, v1
	global_store_byte v[2:3], v1, off
.LBB18_366:
	s_mov_b32 s20, 0
	s_mov_b32 s19, -1
.LBB18_367:
	s_andn2_b32 vcc_lo, exec_lo, s20
	s_cbranch_vccnz .LBB18_375
; %bb.368:
	s_cmp_gt_i32 s18, 14
	s_mov_b32 s20, -1
	s_cbranch_scc0 .LBB18_372
; %bb.369:
	s_cmp_eq_u32 s18, 15
	s_mov_b32 s0, -1
	s_cbranch_scc0 .LBB18_371
; %bb.370:
	v_bfe_u32 v1, v0, 16, 1
	v_cmp_o_f32_e32 vcc_lo, v0, v0
	v_mov_b32_e32 v4, 0x7fc0
	s_mov_b32 s19, -1
	s_mov_b32 s0, 0
	v_add3_u32 v1, v0, v1, 0x7fff
	v_cndmask_b32_sdwa v1, v4, v1, vcc_lo dst_sel:DWORD dst_unused:UNUSED_PAD src0_sel:DWORD src1_sel:WORD_1
	global_store_short v[2:3], v1, off
.LBB18_371:
	s_mov_b32 s20, 0
.LBB18_372:
	s_and_b32 vcc_lo, exec_lo, s20
	s_cbranch_vccz .LBB18_375
; %bb.373:
	s_cmp_eq_u32 s18, 11
	s_mov_b32 s0, -1
	s_cbranch_scc0 .LBB18_375
; %bb.374:
	v_cmp_neq_f32_e32 vcc_lo, 0, v0
	s_mov_b32 s0, 0
	s_mov_b32 s19, -1
	v_cndmask_b32_e64 v1, 0, 1, vcc_lo
	global_store_byte v[2:3], v1, off
.LBB18_375:
	s_mov_b32 s18, 0
.LBB18_376:
	s_and_b32 vcc_lo, exec_lo, s18
	s_cbranch_vccz .LBB18_415
; %bb.377:
	s_and_b32 s16, 0xffff, s16
	s_mov_b32 s18, -1
	s_cmp_lt_i32 s16, 5
	s_cbranch_scc1 .LBB18_398
; %bb.378:
	s_cmp_lt_i32 s16, 8
	s_cbranch_scc1 .LBB18_388
; %bb.379:
	;; [unrolled: 3-line block ×3, first 2 shown]
	s_cmp_gt_i32 s16, 9
	s_cbranch_scc0 .LBB18_382
; %bb.381:
	v_cvt_f64_f32_e32 v[8:9], v0
	v_mov_b32_e32 v10, 0
	s_mov_b32 s18, 0
	v_mov_b32_e32 v11, v10
	global_store_dwordx4 v[2:3], v[8:11], off
.LBB18_382:
	s_andn2_b32 vcc_lo, exec_lo, s18
	s_cbranch_vccnz .LBB18_384
; %bb.383:
	v_mov_b32_e32 v1, 0
	global_store_dwordx2 v[2:3], v[0:1], off
.LBB18_384:
	s_mov_b32 s18, 0
.LBB18_385:
	s_andn2_b32 vcc_lo, exec_lo, s18
	s_cbranch_vccnz .LBB18_387
; %bb.386:
	v_cvt_f16_f32_e32 v1, v0
	v_and_b32_e32 v1, 0xffff, v1
	global_store_dword v[2:3], v1, off
.LBB18_387:
	s_mov_b32 s18, 0
.LBB18_388:
	s_andn2_b32 vcc_lo, exec_lo, s18
	s_cbranch_vccnz .LBB18_397
; %bb.389:
	s_cmp_lt_i32 s16, 6
	s_mov_b32 s18, -1
	s_cbranch_scc1 .LBB18_395
; %bb.390:
	s_cmp_gt_i32 s16, 6
	s_cbranch_scc0 .LBB18_392
; %bb.391:
	v_cvt_f64_f32_e32 v[4:5], v0
	s_mov_b32 s18, 0
	global_store_dwordx2 v[2:3], v[4:5], off
.LBB18_392:
	s_andn2_b32 vcc_lo, exec_lo, s18
	s_cbranch_vccnz .LBB18_394
; %bb.393:
	global_store_dword v[2:3], v0, off
.LBB18_394:
	s_mov_b32 s18, 0
.LBB18_395:
	s_andn2_b32 vcc_lo, exec_lo, s18
	s_cbranch_vccnz .LBB18_397
; %bb.396:
	v_cvt_f16_f32_e32 v1, v0
	global_store_short v[2:3], v1, off
.LBB18_397:
	s_mov_b32 s18, 0
.LBB18_398:
	s_andn2_b32 vcc_lo, exec_lo, s18
	s_cbranch_vccnz .LBB18_414
; %bb.399:
	s_cmp_lt_i32 s16, 2
	s_mov_b32 s18, -1
	s_cbranch_scc1 .LBB18_409
; %bb.400:
	s_cmp_lt_i32 s16, 3
	s_cbranch_scc1 .LBB18_406
; %bb.401:
	s_cmp_gt_i32 s16, 3
	s_cbranch_scc0 .LBB18_403
; %bb.402:
	v_trunc_f32_e32 v1, v0
	s_mov_b32 s18, 0
	v_mul_f32_e64 v4, 0x2f800000, |v1|
	v_floor_f32_e32 v4, v4
	v_fma_f32 v5, 0xcf800000, v4, |v1|
	v_ashrrev_i32_e32 v1, 31, v1
	v_cvt_u32_f32_e32 v4, v4
	v_cvt_u32_f32_e32 v5, v5
	v_xor_b32_e32 v6, v4, v1
	v_xor_b32_e32 v5, v5, v1
	v_sub_co_u32 v4, vcc_lo, v5, v1
	v_sub_co_ci_u32_e64 v5, null, v6, v1, vcc_lo
	global_store_dwordx2 v[2:3], v[4:5], off
.LBB18_403:
	s_andn2_b32 vcc_lo, exec_lo, s18
	s_cbranch_vccnz .LBB18_405
; %bb.404:
	v_cvt_i32_f32_e32 v1, v0
	global_store_dword v[2:3], v1, off
.LBB18_405:
	s_mov_b32 s18, 0
.LBB18_406:
	s_andn2_b32 vcc_lo, exec_lo, s18
	s_cbranch_vccnz .LBB18_408
; %bb.407:
	v_cvt_i32_f32_e32 v1, v0
	global_store_short v[2:3], v1, off
.LBB18_408:
	s_mov_b32 s18, 0
.LBB18_409:
	s_andn2_b32 vcc_lo, exec_lo, s18
	s_cbranch_vccnz .LBB18_414
; %bb.410:
	s_cmp_gt_i32 s16, 0
	s_mov_b32 s16, -1
	s_cbranch_scc0 .LBB18_412
; %bb.411:
	v_cvt_i32_f32_e32 v1, v0
	s_mov_b32 s16, 0
	global_store_byte v[2:3], v1, off
.LBB18_412:
	s_andn2_b32 vcc_lo, exec_lo, s16
	s_cbranch_vccnz .LBB18_414
; %bb.413:
	v_trunc_f32_e32 v0, v0
	v_mul_f32_e64 v1, 0x2f800000, |v0|
	v_floor_f32_e32 v1, v1
	v_fma_f32 v1, 0xcf800000, v1, |v0|
	v_ashrrev_i32_e32 v0, 31, v0
	v_cvt_u32_f32_e32 v1, v1
	v_xor_b32_e32 v1, v1, v0
	v_sub_nc_u32_e32 v0, v1, v0
	global_store_byte v[2:3], v0, off
.LBB18_414:
	s_mov_b32 s19, -1
.LBB18_415:
	s_andn2_b32 vcc_lo, exec_lo, s19
	s_cbranch_vccnz .LBB18_417
; %bb.416:
	v_add_nc_u32_e32 v7, 0x80, v7
	s_mov_b32 s18, -1
	s_branch .LBB18_530
.LBB18_417:
	s_mov_b32 s18, 0
	s_branch .LBB18_529
.LBB18_418:
	s_mov_b32 s15, -1
                                        ; implicit-def: $vgpr2
.LBB18_419:
	s_mov_b32 s18, 0
.LBB18_420:
	s_and_b32 vcc_lo, exec_lo, s18
	s_cbranch_vccz .LBB18_424
; %bb.421:
	s_cmp_eq_u32 s0, 29
	s_cbranch_scc0 .LBB18_423
; %bb.422:
	global_load_dwordx2 v[2:3], v[0:1], off
	s_mov_b32 s16, -1
	s_mov_b32 s15, 0
	s_mov_b32 s18, 0
	s_waitcnt vmcnt(0)
	v_ffbh_u32_e32 v4, v3
	v_min_u32_e32 v4, 32, v4
	v_lshlrev_b64 v[2:3], v4, v[2:3]
	v_min_u32_e32 v2, 1, v2
	v_or_b32_e32 v2, v3, v2
	v_sub_nc_u32_e32 v3, 32, v4
	v_cvt_f32_u32_e32 v2, v2
	v_ldexp_f32 v2, v2, v3
	s_branch .LBB18_425
.LBB18_423:
	s_mov_b32 s15, -1
                                        ; implicit-def: $vgpr2
.LBB18_424:
	s_mov_b32 s18, 0
.LBB18_425:
	s_and_b32 vcc_lo, exec_lo, s18
	s_cbranch_vccz .LBB18_443
; %bb.426:
	s_cmp_lt_i32 s0, 27
	s_cbranch_scc1 .LBB18_429
; %bb.427:
	s_cmp_gt_i32 s0, 27
	s_cbranch_scc0 .LBB18_430
; %bb.428:
	global_load_dword v2, v[0:1], off
	s_mov_b32 s16, 0
	s_waitcnt vmcnt(0)
	v_cvt_f32_u32_e32 v2, v2
	s_branch .LBB18_431
.LBB18_429:
	s_mov_b32 s16, -1
                                        ; implicit-def: $vgpr2
	s_branch .LBB18_434
.LBB18_430:
	s_mov_b32 s16, -1
                                        ; implicit-def: $vgpr2
.LBB18_431:
	s_andn2_b32 vcc_lo, exec_lo, s16
	s_cbranch_vccnz .LBB18_433
; %bb.432:
	global_load_ushort v2, v[0:1], off
	s_waitcnt vmcnt(0)
	v_cvt_f32_u32_e32 v2, v2
.LBB18_433:
	s_mov_b32 s16, 0
.LBB18_434:
	s_andn2_b32 vcc_lo, exec_lo, s16
	s_cbranch_vccnz .LBB18_442
; %bb.435:
	global_load_ubyte v3, v[0:1], off
	s_mov_b32 s16, 0
	s_mov_b32 s18, exec_lo
	s_waitcnt vmcnt(0)
	v_cmpx_lt_i16_e32 0x7f, v3
	s_xor_b32 s18, exec_lo, s18
	s_cbranch_execz .LBB18_456
; %bb.436:
	s_mov_b32 s16, -1
	s_mov_b32 s19, exec_lo
	v_cmpx_eq_u16_e32 0x80, v3
; %bb.437:
	s_xor_b32 s16, exec_lo, -1
; %bb.438:
	s_or_b32 exec_lo, exec_lo, s19
	s_and_b32 s16, s16, exec_lo
	s_or_saveexec_b32 s18, s18
	v_mov_b32_e32 v2, 0x7f800001
	s_xor_b32 exec_lo, exec_lo, s18
	s_cbranch_execnz .LBB18_457
.LBB18_439:
	s_or_b32 exec_lo, exec_lo, s18
	s_and_saveexec_b32 s18, s16
	s_cbranch_execz .LBB18_441
.LBB18_440:
	v_and_b32_e32 v2, 0xffff, v3
	v_lshlrev_b32_e32 v3, 24, v3
	v_and_b32_e32 v4, 7, v2
	v_bfe_u32 v8, v2, 3, 4
	v_and_b32_e32 v3, 0x80000000, v3
	v_ffbh_u32_e32 v5, v4
	v_cmp_eq_u32_e32 vcc_lo, 0, v8
	v_min_u32_e32 v5, 32, v5
	v_subrev_nc_u32_e32 v6, 28, v5
	v_sub_nc_u32_e32 v5, 29, v5
	v_lshlrev_b32_e32 v2, v6, v2
	v_cndmask_b32_e32 v5, v8, v5, vcc_lo
	v_and_b32_e32 v2, 7, v2
	v_cndmask_b32_e32 v2, v4, v2, vcc_lo
	v_lshl_add_u32 v4, v5, 23, 0x3b800000
	v_lshlrev_b32_e32 v2, 20, v2
	v_or3_b32 v2, v3, v4, v2
.LBB18_441:
	s_or_b32 exec_lo, exec_lo, s18
.LBB18_442:
	s_mov_b32 s16, -1
.LBB18_443:
	s_mov_b32 s18, 0
.LBB18_444:
	s_and_b32 vcc_lo, exec_lo, s18
	s_cbranch_vccz .LBB18_479
; %bb.445:
	s_cmp_gt_i32 s0, 22
	s_cbranch_scc0 .LBB18_455
; %bb.446:
	s_cmp_lt_i32 s0, 24
	s_cbranch_scc1 .LBB18_458
; %bb.447:
	s_cmp_gt_i32 s0, 24
	s_cbranch_scc0 .LBB18_459
; %bb.448:
	global_load_ubyte v3, v[0:1], off
	s_mov_b32 s16, 0
	s_mov_b32 s18, exec_lo
	s_waitcnt vmcnt(0)
	v_cmpx_lt_i16_e32 0x7f, v3
	s_xor_b32 s18, exec_lo, s18
	s_cbranch_execz .LBB18_471
; %bb.449:
	s_mov_b32 s16, -1
	s_mov_b32 s19, exec_lo
	v_cmpx_eq_u16_e32 0x80, v3
; %bb.450:
	s_xor_b32 s16, exec_lo, -1
; %bb.451:
	s_or_b32 exec_lo, exec_lo, s19
	s_and_b32 s16, s16, exec_lo
	s_or_saveexec_b32 s18, s18
	v_mov_b32_e32 v2, 0x7f800001
	s_xor_b32 exec_lo, exec_lo, s18
	s_cbranch_execnz .LBB18_472
.LBB18_452:
	s_or_b32 exec_lo, exec_lo, s18
	s_and_saveexec_b32 s18, s16
	s_cbranch_execz .LBB18_454
.LBB18_453:
	v_and_b32_e32 v2, 0xffff, v3
	v_lshlrev_b32_e32 v3, 24, v3
	v_and_b32_e32 v4, 3, v2
	v_bfe_u32 v8, v2, 2, 5
	v_and_b32_e32 v3, 0x80000000, v3
	v_ffbh_u32_e32 v5, v4
	v_cmp_eq_u32_e32 vcc_lo, 0, v8
	v_min_u32_e32 v5, 32, v5
	v_subrev_nc_u32_e32 v6, 29, v5
	v_sub_nc_u32_e32 v5, 30, v5
	v_lshlrev_b32_e32 v2, v6, v2
	v_cndmask_b32_e32 v5, v8, v5, vcc_lo
	v_and_b32_e32 v2, 3, v2
	v_cndmask_b32_e32 v2, v4, v2, vcc_lo
	v_lshl_add_u32 v4, v5, 23, 0x37800000
	v_lshlrev_b32_e32 v2, 21, v2
	v_or3_b32 v2, v3, v4, v2
.LBB18_454:
	s_or_b32 exec_lo, exec_lo, s18
	s_mov_b32 s16, 0
	s_branch .LBB18_460
.LBB18_455:
	s_mov_b32 s18, -1
                                        ; implicit-def: $vgpr2
	s_branch .LBB18_466
.LBB18_456:
	s_or_saveexec_b32 s18, s18
	v_mov_b32_e32 v2, 0x7f800001
	s_xor_b32 exec_lo, exec_lo, s18
	s_cbranch_execz .LBB18_439
.LBB18_457:
	v_cmp_ne_u16_e32 vcc_lo, 0, v3
	v_mov_b32_e32 v2, 0
	s_andn2_b32 s16, s16, exec_lo
	s_and_b32 s19, vcc_lo, exec_lo
	s_or_b32 s16, s16, s19
	s_or_b32 exec_lo, exec_lo, s18
	s_and_saveexec_b32 s18, s16
	s_cbranch_execnz .LBB18_440
	s_branch .LBB18_441
.LBB18_458:
	s_mov_b32 s16, -1
                                        ; implicit-def: $vgpr2
	s_branch .LBB18_463
.LBB18_459:
	s_mov_b32 s16, -1
                                        ; implicit-def: $vgpr2
.LBB18_460:
	s_and_b32 vcc_lo, exec_lo, s16
	s_cbranch_vccz .LBB18_462
; %bb.461:
	global_load_ubyte v2, v[0:1], off
	s_waitcnt vmcnt(0)
	v_lshlrev_b32_e32 v2, 24, v2
	v_and_b32_e32 v3, 0x7f000000, v2
	v_ffbh_u32_e32 v4, v3
	v_add_nc_u32_e32 v6, 0x1000000, v3
	v_cmp_ne_u32_e32 vcc_lo, 0, v3
	v_min_u32_e32 v4, 32, v4
	v_sub_nc_u32_e64 v4, v4, 4 clamp
	v_lshlrev_b32_e32 v5, v4, v3
	v_lshlrev_b32_e32 v4, 23, v4
	v_lshrrev_b32_e32 v5, 4, v5
	v_sub_nc_u32_e32 v4, v5, v4
	v_ashrrev_i32_e32 v5, 8, v6
	v_add_nc_u32_e32 v4, 0x3c000000, v4
	v_and_or_b32 v4, 0x7f800000, v5, v4
	v_cndmask_b32_e32 v3, 0, v4, vcc_lo
	v_and_or_b32 v2, 0x80000000, v2, v3
.LBB18_462:
	s_mov_b32 s16, 0
.LBB18_463:
	s_andn2_b32 vcc_lo, exec_lo, s16
	s_cbranch_vccnz .LBB18_465
; %bb.464:
	global_load_ubyte v2, v[0:1], off
	s_waitcnt vmcnt(0)
	v_lshlrev_b32_e32 v3, 25, v2
	v_lshlrev_b16 v2, 8, v2
	v_lshrrev_b32_e32 v4, 4, v3
	v_and_or_b32 v5, 0x7f00, v2, 0.5
	v_cmp_gt_u32_e32 vcc_lo, 0x8000000, v3
	v_bfe_i32 v2, v2, 0, 16
	v_or_b32_e32 v4, 0x70000000, v4
	v_add_f32_e32 v5, -0.5, v5
	v_mul_f32_e32 v4, 0x7800000, v4
	v_cndmask_b32_e32 v3, v4, v5, vcc_lo
	v_and_or_b32 v2, 0x80000000, v2, v3
.LBB18_465:
	s_mov_b32 s18, 0
	s_mov_b32 s16, -1
.LBB18_466:
	s_andn2_b32 vcc_lo, exec_lo, s18
	s_cbranch_vccnz .LBB18_479
; %bb.467:
	s_cmp_gt_i32 s0, 14
	s_cbranch_scc0 .LBB18_470
; %bb.468:
	s_cmp_eq_u32 s0, 15
	s_cbranch_scc0 .LBB18_473
; %bb.469:
	global_load_ushort v2, v[0:1], off
	s_mov_b32 s16, -1
	s_mov_b32 s15, 0
	s_waitcnt vmcnt(0)
	v_lshlrev_b32_e32 v2, 16, v2
	s_branch .LBB18_474
.LBB18_470:
	s_mov_b32 s18, -1
                                        ; implicit-def: $vgpr2
	s_branch .LBB18_475
.LBB18_471:
	s_or_saveexec_b32 s18, s18
	v_mov_b32_e32 v2, 0x7f800001
	s_xor_b32 exec_lo, exec_lo, s18
	s_cbranch_execz .LBB18_452
.LBB18_472:
	v_cmp_ne_u16_e32 vcc_lo, 0, v3
	v_mov_b32_e32 v2, 0
	s_andn2_b32 s16, s16, exec_lo
	s_and_b32 s19, vcc_lo, exec_lo
	s_or_b32 s16, s16, s19
	s_or_b32 exec_lo, exec_lo, s18
	s_and_saveexec_b32 s18, s16
	s_cbranch_execnz .LBB18_453
	s_branch .LBB18_454
.LBB18_473:
	s_mov_b32 s15, -1
                                        ; implicit-def: $vgpr2
.LBB18_474:
	s_mov_b32 s18, 0
.LBB18_475:
	s_and_b32 vcc_lo, exec_lo, s18
	s_cbranch_vccz .LBB18_479
; %bb.476:
	s_cmp_eq_u32 s0, 11
	s_cbranch_scc0 .LBB18_478
; %bb.477:
	global_load_ubyte v2, v[0:1], off
	s_mov_b32 s15, 0
	s_mov_b32 s16, -1
	s_waitcnt vmcnt(0)
	v_cmp_ne_u16_e32 vcc_lo, 0, v2
	v_cndmask_b32_e64 v2, 0, 1.0, vcc_lo
	s_branch .LBB18_479
.LBB18_478:
	s_mov_b32 s15, -1
                                        ; implicit-def: $vgpr2
.LBB18_479:
	s_branch .LBB18_273
.LBB18_480:
	s_cmp_lt_i32 s0, 5
	s_cbranch_scc1 .LBB18_485
; %bb.481:
	s_cmp_lt_i32 s0, 8
	s_cbranch_scc1 .LBB18_486
; %bb.482:
	;; [unrolled: 3-line block ×3, first 2 shown]
	s_cmp_gt_i32 s0, 9
	s_cbranch_scc0 .LBB18_488
; %bb.484:
	global_load_dwordx2 v[2:3], v[0:1], off
	s_mov_b32 s16, 0
	s_waitcnt vmcnt(0)
	v_cvt_f32_f64_e32 v2, v[2:3]
	s_branch .LBB18_489
.LBB18_485:
	s_mov_b32 s16, -1
                                        ; implicit-def: $vgpr2
	s_branch .LBB18_507
.LBB18_486:
	s_mov_b32 s16, -1
                                        ; implicit-def: $vgpr2
	s_branch .LBB18_495
.LBB18_487:
	s_mov_b32 s16, -1
                                        ; implicit-def: $vgpr2
	s_branch .LBB18_492
.LBB18_488:
	s_mov_b32 s16, -1
                                        ; implicit-def: $vgpr2
.LBB18_489:
	s_andn2_b32 vcc_lo, exec_lo, s16
	s_cbranch_vccnz .LBB18_491
; %bb.490:
	global_load_dword v2, v[0:1], off
.LBB18_491:
	s_mov_b32 s16, 0
.LBB18_492:
	s_andn2_b32 vcc_lo, exec_lo, s16
	s_cbranch_vccnz .LBB18_494
; %bb.493:
	global_load_dword v2, v[0:1], off
	s_waitcnt vmcnt(0)
	v_cvt_f32_f16_e32 v2, v2
.LBB18_494:
	s_mov_b32 s16, 0
.LBB18_495:
	s_andn2_b32 vcc_lo, exec_lo, s16
	s_cbranch_vccnz .LBB18_506
; %bb.496:
	s_cmp_lt_i32 s0, 6
	s_cbranch_scc1 .LBB18_499
; %bb.497:
	s_cmp_gt_i32 s0, 6
	s_cbranch_scc0 .LBB18_500
; %bb.498:
	global_load_dwordx2 v[2:3], v[0:1], off
	s_mov_b32 s16, 0
	s_waitcnt vmcnt(0)
	v_cvt_f32_f64_e32 v2, v[2:3]
	s_branch .LBB18_501
.LBB18_499:
	s_mov_b32 s16, -1
                                        ; implicit-def: $vgpr2
	s_branch .LBB18_504
.LBB18_500:
	s_mov_b32 s16, -1
                                        ; implicit-def: $vgpr2
.LBB18_501:
	s_andn2_b32 vcc_lo, exec_lo, s16
	s_cbranch_vccnz .LBB18_503
; %bb.502:
	global_load_dword v2, v[0:1], off
.LBB18_503:
	s_mov_b32 s16, 0
.LBB18_504:
	s_andn2_b32 vcc_lo, exec_lo, s16
	s_cbranch_vccnz .LBB18_506
; %bb.505:
	global_load_ushort v2, v[0:1], off
	s_waitcnt vmcnt(0)
	v_cvt_f32_f16_e32 v2, v2
.LBB18_506:
	s_mov_b32 s16, 0
.LBB18_507:
	s_andn2_b32 vcc_lo, exec_lo, s16
	s_cbranch_vccnz .LBB18_527
; %bb.508:
	s_cmp_lt_i32 s0, 2
	s_cbranch_scc1 .LBB18_512
; %bb.509:
	s_cmp_lt_i32 s0, 3
	s_cbranch_scc1 .LBB18_513
; %bb.510:
	s_cmp_gt_i32 s0, 3
	s_cbranch_scc0 .LBB18_514
; %bb.511:
	global_load_dwordx2 v[2:3], v[0:1], off
	s_mov_b32 s16, 0
	s_waitcnt vmcnt(0)
	v_xor_b32_e32 v4, v2, v3
	v_ffbh_i32_e32 v5, v3
	v_ashrrev_i32_e32 v4, 31, v4
	v_add_nc_u32_e32 v5, -1, v5
	v_add_nc_u32_e32 v4, 32, v4
	v_min_u32_e32 v4, v5, v4
	v_lshlrev_b64 v[2:3], v4, v[2:3]
	v_min_u32_e32 v2, 1, v2
	v_or_b32_e32 v2, v3, v2
	v_sub_nc_u32_e32 v3, 32, v4
	v_cvt_f32_i32_e32 v2, v2
	v_ldexp_f32 v2, v2, v3
	s_branch .LBB18_515
.LBB18_512:
	s_mov_b32 s16, -1
                                        ; implicit-def: $vgpr2
	s_branch .LBB18_521
.LBB18_513:
	s_mov_b32 s16, -1
                                        ; implicit-def: $vgpr2
	s_branch .LBB18_518
.LBB18_514:
	s_mov_b32 s16, -1
                                        ; implicit-def: $vgpr2
.LBB18_515:
	s_andn2_b32 vcc_lo, exec_lo, s16
	s_cbranch_vccnz .LBB18_517
; %bb.516:
	global_load_dword v2, v[0:1], off
	s_waitcnt vmcnt(0)
	v_cvt_f32_i32_e32 v2, v2
.LBB18_517:
	s_mov_b32 s16, 0
.LBB18_518:
	s_andn2_b32 vcc_lo, exec_lo, s16
	s_cbranch_vccnz .LBB18_520
; %bb.519:
	global_load_sshort v2, v[0:1], off
	s_waitcnt vmcnt(0)
	v_cvt_f32_i32_e32 v2, v2
.LBB18_520:
	s_mov_b32 s16, 0
.LBB18_521:
	s_andn2_b32 vcc_lo, exec_lo, s16
	s_cbranch_vccnz .LBB18_527
; %bb.522:
	s_cmp_gt_i32 s0, 0
	s_mov_b32 s0, 0
	s_cbranch_scc0 .LBB18_524
; %bb.523:
	global_load_sbyte v2, v[0:1], off
	s_waitcnt vmcnt(0)
	v_cvt_f32_i32_e32 v2, v2
	s_branch .LBB18_525
.LBB18_524:
	s_mov_b32 s0, -1
                                        ; implicit-def: $vgpr2
.LBB18_525:
	s_andn2_b32 vcc_lo, exec_lo, s0
	s_cbranch_vccnz .LBB18_527
; %bb.526:
	global_load_ubyte v0, v[0:1], off
	s_waitcnt vmcnt(0)
	v_cvt_f32_ubyte0_e32 v2, v0
.LBB18_527:
	s_branch .LBB18_274
.LBB18_528:
	s_mov_b32 s18, 0
	s_mov_b32 s0, s7
.LBB18_529:
                                        ; implicit-def: $vgpr7
.LBB18_530:
	s_andn2_b32 s16, s7, exec_lo
	s_and_b32 s0, s0, exec_lo
	s_andn2_b32 s19, s13, exec_lo
	s_and_b32 s15, s15, exec_lo
	s_or_b32 s16, s16, s0
	s_or_b32 s15, s19, s15
	s_orn2_b32 s0, s18, exec_lo
.LBB18_531:
	s_or_b32 exec_lo, exec_lo, s17
	s_mov_b32 s18, 0
	s_mov_b32 s19, 0
	;; [unrolled: 1-line block ×3, first 2 shown]
                                        ; implicit-def: $vgpr0_vgpr1
                                        ; implicit-def: $vgpr4
	s_and_saveexec_b32 s17, s0
	s_cbranch_execz .LBB18_886
; %bb.532:
	s_mov_b32 s20, -1
	s_mov_b32 s0, s15
	s_mov_b32 s19, s16
	s_mov_b32 s18, exec_lo
	v_cmpx_gt_i32_e64 s12, v7
	s_cbranch_execz .LBB18_800
; %bb.533:
	v_mul_lo_u32 v0, v7, s3
	s_and_b32 s0, 0xffff, s5
	s_cmp_lt_i32 s0, 11
	v_ashrrev_i32_e32 v1, 31, v0
	v_add_co_u32 v0, vcc_lo, s10, v0
	v_add_co_ci_u32_e64 v1, null, s11, v1, vcc_lo
	s_cbranch_scc1 .LBB18_540
; %bb.534:
	s_cmp_gt_i32 s0, 25
	s_cbranch_scc0 .LBB18_541
; %bb.535:
	s_cmp_gt_i32 s0, 28
	s_cbranch_scc0 .LBB18_542
	;; [unrolled: 3-line block ×4, first 2 shown]
; %bb.538:
	s_cmp_eq_u32 s0, 46
	s_mov_b32 s21, 0
	s_cbranch_scc0 .LBB18_549
; %bb.539:
	global_load_dword v2, v[0:1], off
	s_mov_b32 s19, 0
	s_waitcnt vmcnt(0)
	v_lshlrev_b32_e32 v2, 16, v2
	s_branch .LBB18_551
.LBB18_540:
	s_mov_b32 s21, -1
	s_mov_b32 s20, 0
	s_mov_b32 s19, s15
                                        ; implicit-def: $vgpr2
	s_branch .LBB18_616
.LBB18_541:
	s_mov_b32 s21, -1
	s_mov_b32 s20, 0
	s_mov_b32 s19, s15
                                        ; implicit-def: $vgpr2
	s_branch .LBB18_580
.LBB18_542:
	s_mov_b32 s21, -1
	s_mov_b32 s20, 0
	s_mov_b32 s19, s15
                                        ; implicit-def: $vgpr2
	s_branch .LBB18_561
.LBB18_543:
	s_mov_b32 s21, -1
	s_mov_b32 s20, 0
	s_mov_b32 s19, s15
                                        ; implicit-def: $vgpr2
	s_branch .LBB18_556
.LBB18_544:
	s_andn2_saveexec_b32 s21, s21
	s_cbranch_execz .LBB18_328
.LBB18_545:
	v_add_f32_e64 v1, 0x46000000, |v0|
	s_andn2_b32 s20, s20, exec_lo
	v_and_b32_e32 v1, 0xff, v1
	v_cmp_ne_u32_e32 vcc_lo, 0, v1
	s_and_b32 s22, vcc_lo, exec_lo
	s_or_b32 s20, s20, s22
	s_or_b32 exec_lo, exec_lo, s21
	v_mov_b32_e32 v4, 0
	s_and_saveexec_b32 s21, s20
	s_cbranch_execnz .LBB18_329
	s_branch .LBB18_330
.LBB18_546:
	s_mov_b32 s21, -1
	s_mov_b32 s20, 0
	s_mov_b32 s19, s15
	s_branch .LBB18_550
.LBB18_547:
	s_andn2_saveexec_b32 s21, s21
	s_cbranch_execz .LBB18_341
.LBB18_548:
	v_add_f32_e64 v1, 0x42800000, |v0|
	s_andn2_b32 s20, s20, exec_lo
	v_and_b32_e32 v1, 0xff, v1
	v_cmp_ne_u32_e32 vcc_lo, 0, v1
	s_and_b32 s22, vcc_lo, exec_lo
	s_or_b32 s20, s20, s22
	s_or_b32 exec_lo, exec_lo, s21
	v_mov_b32_e32 v4, 0
	s_and_saveexec_b32 s21, s20
	s_cbranch_execnz .LBB18_342
	s_branch .LBB18_343
.LBB18_549:
	s_mov_b32 s19, -1
	s_mov_b32 s20, 0
.LBB18_550:
                                        ; implicit-def: $vgpr2
.LBB18_551:
	s_and_b32 vcc_lo, exec_lo, s21
	s_cbranch_vccz .LBB18_555
; %bb.552:
	s_cmp_eq_u32 s0, 44
	s_cbranch_scc0 .LBB18_554
; %bb.553:
	global_load_ubyte v2, v[0:1], off
	s_mov_b32 s19, 0
	s_mov_b32 s20, -1
	s_waitcnt vmcnt(0)
	v_lshlrev_b32_e32 v3, 23, v2
	v_cmp_ne_u32_e32 vcc_lo, 0xff, v2
	v_cndmask_b32_e32 v3, 0x7f800001, v3, vcc_lo
	v_cmp_ne_u32_e32 vcc_lo, 0, v2
	v_cndmask_b32_e32 v2, 0x400000, v3, vcc_lo
	s_branch .LBB18_555
.LBB18_554:
	s_mov_b32 s19, -1
                                        ; implicit-def: $vgpr2
.LBB18_555:
	s_mov_b32 s21, 0
.LBB18_556:
	s_and_b32 vcc_lo, exec_lo, s21
	s_cbranch_vccz .LBB18_560
; %bb.557:
	s_cmp_eq_u32 s0, 29
	s_cbranch_scc0 .LBB18_559
; %bb.558:
	global_load_dwordx2 v[2:3], v[0:1], off
	s_mov_b32 s20, -1
	s_mov_b32 s19, 0
	s_mov_b32 s21, 0
	s_waitcnt vmcnt(0)
	v_ffbh_u32_e32 v4, v3
	v_min_u32_e32 v4, 32, v4
	v_lshlrev_b64 v[2:3], v4, v[2:3]
	v_min_u32_e32 v2, 1, v2
	v_or_b32_e32 v2, v3, v2
	v_sub_nc_u32_e32 v3, 32, v4
	v_cvt_f32_u32_e32 v2, v2
	v_ldexp_f32 v2, v2, v3
	s_branch .LBB18_561
.LBB18_559:
	s_mov_b32 s19, -1
                                        ; implicit-def: $vgpr2
.LBB18_560:
	s_mov_b32 s21, 0
.LBB18_561:
	s_and_b32 vcc_lo, exec_lo, s21
	s_cbranch_vccz .LBB18_579
; %bb.562:
	s_cmp_lt_i32 s0, 27
	s_cbranch_scc1 .LBB18_565
; %bb.563:
	s_cmp_gt_i32 s0, 27
	s_cbranch_scc0 .LBB18_566
; %bb.564:
	global_load_dword v2, v[0:1], off
	s_mov_b32 s20, 0
	s_waitcnt vmcnt(0)
	v_cvt_f32_u32_e32 v2, v2
	s_branch .LBB18_567
.LBB18_565:
	s_mov_b32 s20, -1
                                        ; implicit-def: $vgpr2
	s_branch .LBB18_570
.LBB18_566:
	s_mov_b32 s20, -1
                                        ; implicit-def: $vgpr2
.LBB18_567:
	s_andn2_b32 vcc_lo, exec_lo, s20
	s_cbranch_vccnz .LBB18_569
; %bb.568:
	global_load_ushort v2, v[0:1], off
	s_waitcnt vmcnt(0)
	v_cvt_f32_u32_e32 v2, v2
.LBB18_569:
	s_mov_b32 s20, 0
.LBB18_570:
	s_andn2_b32 vcc_lo, exec_lo, s20
	s_cbranch_vccnz .LBB18_578
; %bb.571:
	global_load_ubyte v3, v[0:1], off
	s_mov_b32 s20, 0
	s_mov_b32 s21, exec_lo
	s_waitcnt vmcnt(0)
	v_cmpx_lt_i16_e32 0x7f, v3
	s_xor_b32 s21, exec_lo, s21
	s_cbranch_execz .LBB18_592
; %bb.572:
	s_mov_b32 s20, -1
	s_mov_b32 s22, exec_lo
	v_cmpx_eq_u16_e32 0x80, v3
; %bb.573:
	s_xor_b32 s20, exec_lo, -1
; %bb.574:
	s_or_b32 exec_lo, exec_lo, s22
	s_and_b32 s20, s20, exec_lo
	s_or_saveexec_b32 s21, s21
	v_mov_b32_e32 v2, 0x7f800001
	s_xor_b32 exec_lo, exec_lo, s21
	s_cbranch_execnz .LBB18_593
.LBB18_575:
	s_or_b32 exec_lo, exec_lo, s21
	s_and_saveexec_b32 s21, s20
	s_cbranch_execz .LBB18_577
.LBB18_576:
	v_and_b32_e32 v2, 0xffff, v3
	v_lshlrev_b32_e32 v3, 24, v3
	v_and_b32_e32 v4, 7, v2
	v_bfe_u32 v8, v2, 3, 4
	v_and_b32_e32 v3, 0x80000000, v3
	v_ffbh_u32_e32 v5, v4
	v_cmp_eq_u32_e32 vcc_lo, 0, v8
	v_min_u32_e32 v5, 32, v5
	v_subrev_nc_u32_e32 v6, 28, v5
	v_sub_nc_u32_e32 v5, 29, v5
	v_lshlrev_b32_e32 v2, v6, v2
	v_cndmask_b32_e32 v5, v8, v5, vcc_lo
	v_and_b32_e32 v2, 7, v2
	v_cndmask_b32_e32 v2, v4, v2, vcc_lo
	v_lshl_add_u32 v4, v5, 23, 0x3b800000
	v_lshlrev_b32_e32 v2, 20, v2
	v_or3_b32 v2, v3, v4, v2
.LBB18_577:
	s_or_b32 exec_lo, exec_lo, s21
.LBB18_578:
	s_mov_b32 s20, -1
.LBB18_579:
	s_mov_b32 s21, 0
.LBB18_580:
	s_and_b32 vcc_lo, exec_lo, s21
	s_cbranch_vccz .LBB18_615
; %bb.581:
	s_cmp_gt_i32 s0, 22
	s_cbranch_scc0 .LBB18_591
; %bb.582:
	s_cmp_lt_i32 s0, 24
	s_cbranch_scc1 .LBB18_594
; %bb.583:
	s_cmp_gt_i32 s0, 24
	s_cbranch_scc0 .LBB18_595
; %bb.584:
	global_load_ubyte v3, v[0:1], off
	s_mov_b32 s20, 0
	s_mov_b32 s21, exec_lo
	s_waitcnt vmcnt(0)
	v_cmpx_lt_i16_e32 0x7f, v3
	s_xor_b32 s21, exec_lo, s21
	s_cbranch_execz .LBB18_607
; %bb.585:
	s_mov_b32 s20, -1
	s_mov_b32 s22, exec_lo
	v_cmpx_eq_u16_e32 0x80, v3
; %bb.586:
	s_xor_b32 s20, exec_lo, -1
; %bb.587:
	s_or_b32 exec_lo, exec_lo, s22
	s_and_b32 s20, s20, exec_lo
	s_or_saveexec_b32 s21, s21
	v_mov_b32_e32 v2, 0x7f800001
	s_xor_b32 exec_lo, exec_lo, s21
	s_cbranch_execnz .LBB18_608
.LBB18_588:
	s_or_b32 exec_lo, exec_lo, s21
	s_and_saveexec_b32 s21, s20
	s_cbranch_execz .LBB18_590
.LBB18_589:
	v_and_b32_e32 v2, 0xffff, v3
	v_lshlrev_b32_e32 v3, 24, v3
	v_and_b32_e32 v4, 3, v2
	v_bfe_u32 v8, v2, 2, 5
	v_and_b32_e32 v3, 0x80000000, v3
	v_ffbh_u32_e32 v5, v4
	v_cmp_eq_u32_e32 vcc_lo, 0, v8
	v_min_u32_e32 v5, 32, v5
	v_subrev_nc_u32_e32 v6, 29, v5
	v_sub_nc_u32_e32 v5, 30, v5
	v_lshlrev_b32_e32 v2, v6, v2
	v_cndmask_b32_e32 v5, v8, v5, vcc_lo
	v_and_b32_e32 v2, 3, v2
	v_cndmask_b32_e32 v2, v4, v2, vcc_lo
	v_lshl_add_u32 v4, v5, 23, 0x37800000
	v_lshlrev_b32_e32 v2, 21, v2
	v_or3_b32 v2, v3, v4, v2
.LBB18_590:
	s_or_b32 exec_lo, exec_lo, s21
	s_mov_b32 s20, 0
	s_branch .LBB18_596
.LBB18_591:
	s_mov_b32 s21, -1
                                        ; implicit-def: $vgpr2
	s_branch .LBB18_602
.LBB18_592:
	s_or_saveexec_b32 s21, s21
	v_mov_b32_e32 v2, 0x7f800001
	s_xor_b32 exec_lo, exec_lo, s21
	s_cbranch_execz .LBB18_575
.LBB18_593:
	v_cmp_ne_u16_e32 vcc_lo, 0, v3
	v_mov_b32_e32 v2, 0
	s_andn2_b32 s20, s20, exec_lo
	s_and_b32 s22, vcc_lo, exec_lo
	s_or_b32 s20, s20, s22
	s_or_b32 exec_lo, exec_lo, s21
	s_and_saveexec_b32 s21, s20
	s_cbranch_execnz .LBB18_576
	s_branch .LBB18_577
.LBB18_594:
	s_mov_b32 s20, -1
                                        ; implicit-def: $vgpr2
	s_branch .LBB18_599
.LBB18_595:
	s_mov_b32 s20, -1
                                        ; implicit-def: $vgpr2
.LBB18_596:
	s_and_b32 vcc_lo, exec_lo, s20
	s_cbranch_vccz .LBB18_598
; %bb.597:
	global_load_ubyte v2, v[0:1], off
	s_waitcnt vmcnt(0)
	v_lshlrev_b32_e32 v2, 24, v2
	v_and_b32_e32 v3, 0x7f000000, v2
	v_ffbh_u32_e32 v4, v3
	v_add_nc_u32_e32 v6, 0x1000000, v3
	v_cmp_ne_u32_e32 vcc_lo, 0, v3
	v_min_u32_e32 v4, 32, v4
	v_sub_nc_u32_e64 v4, v4, 4 clamp
	v_lshlrev_b32_e32 v5, v4, v3
	v_lshlrev_b32_e32 v4, 23, v4
	v_lshrrev_b32_e32 v5, 4, v5
	v_sub_nc_u32_e32 v4, v5, v4
	v_ashrrev_i32_e32 v5, 8, v6
	v_add_nc_u32_e32 v4, 0x3c000000, v4
	v_and_or_b32 v4, 0x7f800000, v5, v4
	v_cndmask_b32_e32 v3, 0, v4, vcc_lo
	v_and_or_b32 v2, 0x80000000, v2, v3
.LBB18_598:
	s_mov_b32 s20, 0
.LBB18_599:
	s_andn2_b32 vcc_lo, exec_lo, s20
	s_cbranch_vccnz .LBB18_601
; %bb.600:
	global_load_ubyte v2, v[0:1], off
	s_waitcnt vmcnt(0)
	v_lshlrev_b32_e32 v3, 25, v2
	v_lshlrev_b16 v2, 8, v2
	v_lshrrev_b32_e32 v4, 4, v3
	v_and_or_b32 v5, 0x7f00, v2, 0.5
	v_cmp_gt_u32_e32 vcc_lo, 0x8000000, v3
	v_bfe_i32 v2, v2, 0, 16
	v_or_b32_e32 v4, 0x70000000, v4
	v_add_f32_e32 v5, -0.5, v5
	v_mul_f32_e32 v4, 0x7800000, v4
	v_cndmask_b32_e32 v3, v4, v5, vcc_lo
	v_and_or_b32 v2, 0x80000000, v2, v3
.LBB18_601:
	s_mov_b32 s21, 0
	s_mov_b32 s20, -1
.LBB18_602:
	s_andn2_b32 vcc_lo, exec_lo, s21
	s_cbranch_vccnz .LBB18_615
; %bb.603:
	s_cmp_gt_i32 s0, 14
	s_cbranch_scc0 .LBB18_606
; %bb.604:
	s_cmp_eq_u32 s0, 15
	s_cbranch_scc0 .LBB18_609
; %bb.605:
	global_load_ushort v2, v[0:1], off
	s_mov_b32 s20, -1
	s_mov_b32 s19, 0
	s_waitcnt vmcnt(0)
	v_lshlrev_b32_e32 v2, 16, v2
	s_branch .LBB18_610
.LBB18_606:
	s_mov_b32 s21, -1
                                        ; implicit-def: $vgpr2
	s_branch .LBB18_611
.LBB18_607:
	s_or_saveexec_b32 s21, s21
	v_mov_b32_e32 v2, 0x7f800001
	s_xor_b32 exec_lo, exec_lo, s21
	s_cbranch_execz .LBB18_588
.LBB18_608:
	v_cmp_ne_u16_e32 vcc_lo, 0, v3
	v_mov_b32_e32 v2, 0
	s_andn2_b32 s20, s20, exec_lo
	s_and_b32 s22, vcc_lo, exec_lo
	s_or_b32 s20, s20, s22
	s_or_b32 exec_lo, exec_lo, s21
	s_and_saveexec_b32 s21, s20
	s_cbranch_execnz .LBB18_589
	s_branch .LBB18_590
.LBB18_609:
	s_mov_b32 s19, -1
                                        ; implicit-def: $vgpr2
.LBB18_610:
	s_mov_b32 s21, 0
.LBB18_611:
	s_and_b32 vcc_lo, exec_lo, s21
	s_cbranch_vccz .LBB18_615
; %bb.612:
	s_cmp_eq_u32 s0, 11
	s_cbranch_scc0 .LBB18_614
; %bb.613:
	global_load_ubyte v2, v[0:1], off
	s_mov_b32 s19, 0
	s_mov_b32 s20, -1
	s_waitcnt vmcnt(0)
	v_cmp_ne_u16_e32 vcc_lo, 0, v2
	v_cndmask_b32_e64 v2, 0, 1.0, vcc_lo
	s_branch .LBB18_615
.LBB18_614:
	s_mov_b32 s19, -1
                                        ; implicit-def: $vgpr2
.LBB18_615:
	s_mov_b32 s21, 0
.LBB18_616:
	s_and_b32 vcc_lo, exec_lo, s21
	s_cbranch_vccz .LBB18_665
; %bb.617:
	s_cmp_lt_i32 s0, 5
	s_cbranch_scc1 .LBB18_622
; %bb.618:
	s_cmp_lt_i32 s0, 8
	s_cbranch_scc1 .LBB18_623
	;; [unrolled: 3-line block ×3, first 2 shown]
; %bb.620:
	s_cmp_gt_i32 s0, 9
	s_cbranch_scc0 .LBB18_625
; %bb.621:
	global_load_dwordx2 v[2:3], v[0:1], off
	s_mov_b32 s20, 0
	s_waitcnt vmcnt(0)
	v_cvt_f32_f64_e32 v2, v[2:3]
	s_branch .LBB18_626
.LBB18_622:
	s_mov_b32 s20, -1
                                        ; implicit-def: $vgpr2
	s_branch .LBB18_644
.LBB18_623:
	s_mov_b32 s20, -1
                                        ; implicit-def: $vgpr2
	s_branch .LBB18_632
.LBB18_624:
	s_mov_b32 s20, -1
                                        ; implicit-def: $vgpr2
	s_branch .LBB18_629
.LBB18_625:
	s_mov_b32 s20, -1
                                        ; implicit-def: $vgpr2
.LBB18_626:
	s_andn2_b32 vcc_lo, exec_lo, s20
	s_cbranch_vccnz .LBB18_628
; %bb.627:
	global_load_dword v2, v[0:1], off
.LBB18_628:
	s_mov_b32 s20, 0
.LBB18_629:
	s_andn2_b32 vcc_lo, exec_lo, s20
	s_cbranch_vccnz .LBB18_631
; %bb.630:
	global_load_dword v2, v[0:1], off
	s_waitcnt vmcnt(0)
	v_cvt_f32_f16_e32 v2, v2
.LBB18_631:
	s_mov_b32 s20, 0
.LBB18_632:
	s_andn2_b32 vcc_lo, exec_lo, s20
	s_cbranch_vccnz .LBB18_643
; %bb.633:
	s_cmp_lt_i32 s0, 6
	s_cbranch_scc1 .LBB18_636
; %bb.634:
	s_cmp_gt_i32 s0, 6
	s_cbranch_scc0 .LBB18_637
; %bb.635:
	global_load_dwordx2 v[2:3], v[0:1], off
	s_mov_b32 s20, 0
	s_waitcnt vmcnt(0)
	v_cvt_f32_f64_e32 v2, v[2:3]
	s_branch .LBB18_638
.LBB18_636:
	s_mov_b32 s20, -1
                                        ; implicit-def: $vgpr2
	s_branch .LBB18_641
.LBB18_637:
	s_mov_b32 s20, -1
                                        ; implicit-def: $vgpr2
.LBB18_638:
	s_andn2_b32 vcc_lo, exec_lo, s20
	s_cbranch_vccnz .LBB18_640
; %bb.639:
	global_load_dword v2, v[0:1], off
.LBB18_640:
	s_mov_b32 s20, 0
.LBB18_641:
	s_andn2_b32 vcc_lo, exec_lo, s20
	s_cbranch_vccnz .LBB18_643
; %bb.642:
	global_load_ushort v2, v[0:1], off
	s_waitcnt vmcnt(0)
	v_cvt_f32_f16_e32 v2, v2
.LBB18_643:
	s_mov_b32 s20, 0
.LBB18_644:
	s_andn2_b32 vcc_lo, exec_lo, s20
	s_cbranch_vccnz .LBB18_664
; %bb.645:
	s_cmp_lt_i32 s0, 2
	s_cbranch_scc1 .LBB18_649
; %bb.646:
	s_cmp_lt_i32 s0, 3
	s_cbranch_scc1 .LBB18_650
; %bb.647:
	s_cmp_gt_i32 s0, 3
	s_cbranch_scc0 .LBB18_651
; %bb.648:
	global_load_dwordx2 v[2:3], v[0:1], off
	s_mov_b32 s20, 0
	s_waitcnt vmcnt(0)
	v_xor_b32_e32 v4, v2, v3
	v_ffbh_i32_e32 v5, v3
	v_ashrrev_i32_e32 v4, 31, v4
	v_add_nc_u32_e32 v5, -1, v5
	v_add_nc_u32_e32 v4, 32, v4
	v_min_u32_e32 v4, v5, v4
	v_lshlrev_b64 v[2:3], v4, v[2:3]
	v_min_u32_e32 v2, 1, v2
	v_or_b32_e32 v2, v3, v2
	v_sub_nc_u32_e32 v3, 32, v4
	v_cvt_f32_i32_e32 v2, v2
	v_ldexp_f32 v2, v2, v3
	s_branch .LBB18_652
.LBB18_649:
	s_mov_b32 s20, -1
                                        ; implicit-def: $vgpr2
	s_branch .LBB18_658
.LBB18_650:
	s_mov_b32 s20, -1
                                        ; implicit-def: $vgpr2
	s_branch .LBB18_655
.LBB18_651:
	s_mov_b32 s20, -1
                                        ; implicit-def: $vgpr2
.LBB18_652:
	s_andn2_b32 vcc_lo, exec_lo, s20
	s_cbranch_vccnz .LBB18_654
; %bb.653:
	global_load_dword v2, v[0:1], off
	s_waitcnt vmcnt(0)
	v_cvt_f32_i32_e32 v2, v2
.LBB18_654:
	s_mov_b32 s20, 0
.LBB18_655:
	s_andn2_b32 vcc_lo, exec_lo, s20
	s_cbranch_vccnz .LBB18_657
; %bb.656:
	global_load_sshort v2, v[0:1], off
	s_waitcnt vmcnt(0)
	v_cvt_f32_i32_e32 v2, v2
.LBB18_657:
	s_mov_b32 s20, 0
.LBB18_658:
	s_andn2_b32 vcc_lo, exec_lo, s20
	s_cbranch_vccnz .LBB18_664
; %bb.659:
	s_cmp_gt_i32 s0, 0
	s_mov_b32 s0, 0
	s_cbranch_scc0 .LBB18_661
; %bb.660:
	global_load_sbyte v2, v[0:1], off
	s_waitcnt vmcnt(0)
	v_cvt_f32_i32_e32 v2, v2
	s_branch .LBB18_662
.LBB18_661:
	s_mov_b32 s0, -1
                                        ; implicit-def: $vgpr2
.LBB18_662:
	s_andn2_b32 vcc_lo, exec_lo, s0
	s_cbranch_vccnz .LBB18_664
; %bb.663:
	global_load_ubyte v0, v[0:1], off
	s_waitcnt vmcnt(0)
	v_cvt_f32_ubyte0_e32 v2, v0
.LBB18_664:
	s_mov_b32 s20, -1
.LBB18_665:
	s_andn2_b32 vcc_lo, exec_lo, s20
	s_cbranch_vccnz .LBB18_681
; %bb.666:
	v_mov_b32_e32 v0, 0x7f800000
	s_mov_b32 s20, exec_lo
	s_waitcnt vmcnt(0)
	v_cmpx_neq_f32_e32 0, v2
	s_cbranch_execz .LBB18_674
; %bb.667:
	v_mov_b32_e32 v0, 0x7fc00000
	s_mov_b32 s21, exec_lo
	v_cmpx_ngt_f32_e32 0, v2
	s_cbranch_execz .LBB18_673
; %bb.668:
                                        ; implicit-def: $vgpr0
	s_mov_b32 s0, exec_lo
	v_cmpx_ge_f32_e32 2.0, v2
	s_xor_b32 s22, exec_lo, s0
	s_cbranch_execz .LBB18_670
; %bb.669:
	v_fma_f32 v0, v2, 0.5, -2.0
	s_mov_b32 s0, 0x224cf950
	v_fma_f32 v4, v2, v2, -2.0
	v_fmaak_f32 v1, s0, v0, 0xa3c2be86
	s_mov_b32 s0, 0xa3019142
	v_fmaak_f32 v5, s0, v4, 0xa72eea8c
	v_fmaak_f32 v3, v0, v1, 0xa24cf950
	;; [unrolled: 1-line block ×3, first 2 shown]
	v_add_f32_e32 v3, 0x25331f1f, v3
	v_add_f32_e32 v6, 0xab3ba817, v6
	v_fma_f32 v1, v0, v3, -v1
	v_fma_f32 v5, v4, v6, -v5
	v_add_f32_e32 v1, 0xa69f5554, v1
	v_add_f32_e32 v5, 0xaf1b31de, v5
	v_fma_f32 v3, v0, v1, -v3
	v_fma_f32 v6, v4, v5, -v6
	;; [unrolled: 4-line block ×8, first 2 shown]
	v_mul_f32_e32 v5, 0.5, v2
	v_add_f32_e32 v3, 0x2fc751a6, v3
	v_add_f32_e32 v4, 0x3fc33d0a, v4
	v_cmp_gt_f32_e32 vcc_lo, 0x800000, v5
	v_fma_f32 v1, v0, v3, -v1
	v_sub_f32_e32 v4, v4, v6
	v_mul_f32_e32 v6, 0x3fb8aa3b, v2
	v_add_f32_e32 v1, 0xb101b0d9, v1
	v_cndmask_b32_e64 v8, 0, 32, vcc_lo
	v_cndmask_b32_e64 v13, 0, 0x41b17218, vcc_lo
	v_mul_f32_e32 v4, 0.5, v4
	v_rndne_f32_e32 v9, v6
	v_fma_f32 v3, v0, v1, -v3
	v_fma_f32 v11, 0x3fb8aa3b, v2, -v6
	v_ldexp_f32 v5, v5, v8
	v_div_scale_f32 v10, null, v2, v2, v4
	v_add_f32_e32 v3, 0x32212c70, v3
	v_sub_f32_e32 v6, v6, v9
	v_fmamk_f32 v11, v2, 0x32a5705f, v11
	v_rcp_f32_e32 v8, v10
	v_log_f32_e32 v5, v5
	v_fma_f32 v1, v0, v3, -v1
	v_div_scale_f32 v12, s0, v4, v2, v4
	v_add_f32_e32 v6, v6, v11
	v_cmp_ngt_f32_e32 vcc_lo, 0xc2ce8ed0, v2
	v_add_f32_e32 v1, 0xb33ee9f1, v1
	v_exp_f32_e32 v6, v6
	v_fma_f32 v11, -v10, v8, 1.0
	v_fma_f32 v3, v0, v1, -v3
	v_fmac_f32_e32 v8, v11, v8
	v_add_f32_e32 v3, 0x34571a26, v3
	v_mul_f32_e32 v11, 0x3f317217, v5
	v_fma_f32 v1, v0, v3, -v1
	v_fma_f32 v11, 0x3f317217, v5, -v11
	v_add_f32_e32 v1, 0xb56603cc, v1
	v_fmamk_f32 v11, v5, 0x3377d1cf, v11
	v_fma_f32 v3, v0, v1, -v3
	v_fmac_f32_e32 v11, 0x3f317217, v5
	v_add_f32_e32 v3, 0x3668e277, v3
	v_fma_f32 v1, v0, v3, -v1
	v_add_f32_e32 v1, 0xb75eafce, v1
	v_fma_f32 v3, v0, v1, -v3
	;; [unrolled: 2-line block ×12, first 2 shown]
	v_cvt_i32_f32_e32 v1, v9
	v_mul_f32_e32 v9, v12, v8
	v_add_f32_e32 v0, 0x3e81531c, v0
	v_ldexp_f32 v1, v6, v1
	v_fma_f32 v6, -v10, v9, v12
	v_sub_f32_e32 v0, v0, v3
	v_cndmask_b32_e32 v1, 0, v1, vcc_lo
	v_cmp_nlt_f32_e32 vcc_lo, 0x42b17218, v2
	v_fmac_f32_e32 v9, v6, v8
	v_mul_f32_e32 v0, 0.5, v0
	v_cndmask_b32_e32 v1, 0x7f800000, v1, vcc_lo
	v_cmp_gt_f32_e64 vcc_lo, 0x7f800000, |v5|
	v_fma_f32 v3, -v10, v9, v12
	v_mul_f32_e32 v0, v2, v0
	v_cndmask_b32_e32 v5, v5, v11, vcc_lo
	s_mov_b32 vcc_lo, s0
	v_mul_f32_e32 v1, v1, v0
	v_div_fmas_f32 v3, v3, v8, v9
	v_sub_f32_e32 v5, v5, v13
	v_div_fixup_f32 v0, v3, v2, v4
                                        ; implicit-def: $vgpr2
	v_fmac_f32_e32 v0, v5, v1
.LBB18_670:
	s_andn2_saveexec_b32 s22, s22
	s_cbranch_execz .LBB18_672
; %bb.671:
	v_div_scale_f32 v0, null, v2, v2, 0x41000000
	v_div_scale_f32 v4, vcc_lo, 0x41000000, v2, 0x41000000
	s_mov_b32 s0, 0xa2d462ea
	v_rcp_f32_e32 v1, v0
	v_fma_f32 v3, -v0, v1, 1.0
	v_fmac_f32_e32 v1, v3, v1
	v_mul_f32_e32 v3, v4, v1
	v_fma_f32 v5, -v0, v3, v4
	v_fmac_f32_e32 v3, v5, v1
	v_mul_f32_e32 v5, 0xbfb8aa3b, v2
	v_fma_f32 v0, -v0, v3, v4
	v_mul_f32_e32 v4, 0x4f800000, v2
	v_rndne_f32_e32 v6, v5
	v_fma_f32 v8, 0xbfb8aa3b, v2, -v5
	v_div_fmas_f32 v0, v0, v1, v3
	v_cmp_gt_f32_e32 vcc_lo, 0xf800000, v2
	v_sub_f32_e32 v5, v5, v6
	v_fmamk_f32 v8, v2, 0xb2a5705f, v8
	v_cvt_i32_f32_e32 v6, v6
	v_div_fixup_f32 v0, v0, v2, 0x41000000
	v_cndmask_b32_e32 v4, v2, v4, vcc_lo
	v_add_f32_e32 v5, v5, v8
	v_add_f32_e32 v0, -2.0, v0
	v_sqrt_f32_e32 v9, v4
	v_exp_f32_e32 v5, v5
	v_fmaak_f32 v1, s0, v0, 0x23a578d4
	v_fmaak_f32 v3, v0, v1, 0x22d462ea
	v_add_nc_u32_e32 v8, -1, v9
	v_add_nc_u32_e32 v10, 1, v9
	v_add_f32_e32 v3, 0xa48330a9, v3
	v_fma_f32 v11, -v8, v9, v4
	v_fma_f32 v12, -v10, v9, v4
	v_fma_f32 v1, v0, v3, -v1
	v_cmp_ge_f32_e64 s0, 0, v11
	v_add_f32_e32 v1, 0x2553eaf2, v1
	v_cndmask_b32_e64 v8, v9, v8, s0
	v_cmp_lt_f32_e64 s0, 0, v12
	v_fma_f32 v3, v0, v1, -v3
	v_add_f32_e32 v3, 0xa62e951f, v3
	v_fma_f32 v1, v0, v3, -v1
	v_add_f32_e32 v1, 0x2712e76f, v1
	;; [unrolled: 2-line block ×20, first 2 shown]
	v_fma_f32 v0, v0, v1, -v3
	v_ldexp_f32 v1, v5, v6
	v_cndmask_b32_e64 v5, v8, v10, s0
	v_cmp_nlt_f32_e64 s0, 0x42ce8ed0, v2
	v_add_f32_e32 v0, 0x402e1ebd, v0
	v_mul_f32_e32 v6, 0x37800000, v5
	v_cndmask_b32_e64 v1, 0, v1, s0
	v_cmp_ngt_f32_e64 s0, 0xc2b17218, v2
	v_sub_f32_e32 v0, v0, v3
	v_cndmask_b32_e32 v2, v5, v6, vcc_lo
	v_cmp_class_f32_e64 vcc_lo, v4, 0x260
	v_cndmask_b32_e64 v1, 0x7f800000, v1, s0
	v_mul_f32_e32 v0, 0.5, v0
	v_cndmask_b32_e32 v2, v2, v4, vcc_lo
	v_mul_f32_e32 v0, v1, v0
	v_div_scale_f32 v1, null, v2, v2, v0
	v_rcp_f32_e32 v3, v1
	v_fma_f32 v4, -v1, v3, 1.0
	v_fmac_f32_e32 v3, v4, v3
	v_div_scale_f32 v4, vcc_lo, v0, v2, v0
	v_mul_f32_e32 v5, v4, v3
	v_fma_f32 v6, -v1, v5, v4
	v_fmac_f32_e32 v5, v6, v3
	v_fma_f32 v1, -v1, v5, v4
	v_div_fmas_f32 v1, v1, v3, v5
	v_div_fixup_f32 v0, v1, v2, v0
.LBB18_672:
	s_or_b32 exec_lo, exec_lo, s22
.LBB18_673:
	s_or_b32 exec_lo, exec_lo, s21
.LBB18_674:
	s_or_b32 exec_lo, exec_lo, s20
	v_mul_lo_u32 v1, v7, s2
	s_and_b32 s20, s1, 0xff
	s_cmp_lt_i32 s20, 11
	v_ashrrev_i32_e32 v3, 31, v1
	v_add_co_u32 v2, vcc_lo, s8, v1
	v_add_co_ci_u32_e64 v3, null, s9, v3, vcc_lo
	s_cbranch_scc1 .LBB18_682
; %bb.675:
	s_and_b32 s21, 0xffff, s20
	s_cmp_gt_i32 s21, 25
	s_cbranch_scc0 .LBB18_683
; %bb.676:
	s_cmp_gt_i32 s21, 28
	s_cbranch_scc0 .LBB18_684
; %bb.677:
	;; [unrolled: 3-line block ×4, first 2 shown]
	s_mov_b32 s23, 0
	s_mov_b32 s0, -1
	s_cmp_eq_u32 s21, 46
	s_mov_b32 s22, 0
	s_cbranch_scc0 .LBB18_687
; %bb.680:
	v_bfe_u32 v1, v0, 16, 1
	v_cmp_o_f32_e32 vcc_lo, v0, v0
	v_mov_b32_e32 v4, 0x7fc0
	s_mov_b32 s22, -1
	s_mov_b32 s0, 0
	v_add3_u32 v1, v0, v1, 0x7fff
	v_cndmask_b32_sdwa v1, v4, v1, vcc_lo dst_sel:DWORD dst_unused:UNUSED_PAD src0_sel:DWORD src1_sel:WORD_1
	global_store_dword v[2:3], v1, off
	s_branch .LBB18_687
.LBB18_681:
	s_mov_b32 s20, 0
	s_mov_b32 s0, s16
	s_branch .LBB18_798
.LBB18_682:
	s_mov_b32 s21, -1
	s_mov_b32 s22, 0
	s_mov_b32 s0, s16
	s_branch .LBB18_756
.LBB18_683:
	s_mov_b32 s23, -1
	s_mov_b32 s22, 0
	s_mov_b32 s0, s16
	s_branch .LBB18_714
.LBB18_684:
	s_mov_b32 s23, -1
	s_mov_b32 s22, 0
	s_mov_b32 s0, s16
	s_branch .LBB18_697
.LBB18_685:
	s_mov_b32 s23, -1
	s_mov_b32 s22, 0
	s_mov_b32 s0, s16
	s_branch .LBB18_693
.LBB18_686:
	s_mov_b32 s23, -1
	s_mov_b32 s22, 0
	s_mov_b32 s0, s16
.LBB18_687:
	s_and_b32 vcc_lo, exec_lo, s23
	s_cbranch_vccz .LBB18_692
; %bb.688:
	s_cmp_eq_u32 s21, 44
	s_mov_b32 s0, -1
	s_cbranch_scc0 .LBB18_692
; %bb.689:
	v_bfe_u32 v4, v0, 23, 8
	v_mov_b32_e32 v1, 0xff
	s_mov_b32 s22, exec_lo
	v_cmpx_ne_u32_e32 0xff, v4
	s_cbranch_execz .LBB18_691
; %bb.690:
	v_and_b32_e32 v1, 0x400000, v0
	v_and_or_b32 v4, 0x3fffff, v0, v4
	v_cmp_ne_u32_e32 vcc_lo, 0, v1
	v_cmp_ne_u32_e64 s0, 0, v4
	v_lshrrev_b32_e32 v1, 23, v0
	s_and_b32 s0, vcc_lo, s0
	v_cndmask_b32_e64 v4, 0, 1, s0
	v_add_nc_u32_e32 v1, v1, v4
.LBB18_691:
	s_or_b32 exec_lo, exec_lo, s22
	s_mov_b32 s22, -1
	s_mov_b32 s0, 0
	global_store_byte v[2:3], v1, off
.LBB18_692:
	s_mov_b32 s23, 0
.LBB18_693:
	s_and_b32 vcc_lo, exec_lo, s23
	s_cbranch_vccz .LBB18_696
; %bb.694:
	s_cmp_eq_u32 s21, 29
	s_mov_b32 s0, -1
	s_cbranch_scc0 .LBB18_696
; %bb.695:
	v_trunc_f32_e32 v1, v0
	s_mov_b32 s22, -1
	s_mov_b32 s0, 0
	s_mov_b32 s23, 0
	v_mul_f32_e32 v4, 0x2f800000, v1
	v_floor_f32_e32 v4, v4
	v_fmamk_f32 v1, v4, 0xcf800000, v1
	v_cvt_u32_f32_e32 v5, v4
	v_cvt_u32_f32_e32 v4, v1
	global_store_dwordx2 v[2:3], v[4:5], off
	s_branch .LBB18_697
.LBB18_696:
	s_mov_b32 s23, 0
.LBB18_697:
	s_and_b32 vcc_lo, exec_lo, s23
	s_cbranch_vccz .LBB18_713
; %bb.698:
	s_cmp_lt_i32 s21, 27
	s_mov_b32 s22, -1
	s_cbranch_scc1 .LBB18_704
; %bb.699:
	v_cvt_u32_f32_e32 v1, v0
	s_cmp_gt_i32 s21, 27
	s_cbranch_scc0 .LBB18_701
; %bb.700:
	s_mov_b32 s22, 0
	global_store_dword v[2:3], v1, off
.LBB18_701:
	s_andn2_b32 vcc_lo, exec_lo, s22
	s_cbranch_vccnz .LBB18_703
; %bb.702:
	global_store_short v[2:3], v1, off
.LBB18_703:
	s_mov_b32 s22, 0
.LBB18_704:
	s_andn2_b32 vcc_lo, exec_lo, s22
	s_cbranch_vccnz .LBB18_712
; %bb.705:
	v_and_b32_e32 v1, 0x7fffffff, v0
	v_mov_b32_e32 v4, 0x80
	s_mov_b32 s22, exec_lo
	v_cmpx_gt_u32_e32 0x43800000, v1
	s_cbranch_execz .LBB18_711
; %bb.706:
	v_cmp_lt_u32_e32 vcc_lo, 0x3bffffff, v1
	s_mov_b32 s23, 0
                                        ; implicit-def: $vgpr1
	s_and_saveexec_b32 s24, vcc_lo
	s_xor_b32 s24, exec_lo, s24
	s_cbranch_execz .LBB18_813
; %bb.707:
	v_bfe_u32 v1, v0, 20, 1
	s_mov_b32 s23, exec_lo
	v_add3_u32 v1, v0, v1, 0x487ffff
	v_lshrrev_b32_e32 v1, 20, v1
	s_andn2_saveexec_b32 s24, s24
	s_cbranch_execnz .LBB18_814
.LBB18_708:
	s_or_b32 exec_lo, exec_lo, s24
	v_mov_b32_e32 v4, 0
	s_and_saveexec_b32 s24, s23
.LBB18_709:
	v_lshrrev_b32_e32 v4, 24, v0
	v_and_or_b32 v4, 0x80, v4, v1
.LBB18_710:
	s_or_b32 exec_lo, exec_lo, s24
.LBB18_711:
	s_or_b32 exec_lo, exec_lo, s22
	global_store_byte v[2:3], v4, off
.LBB18_712:
	s_mov_b32 s22, -1
.LBB18_713:
	s_mov_b32 s23, 0
.LBB18_714:
	s_and_b32 vcc_lo, exec_lo, s23
	s_cbranch_vccz .LBB18_755
; %bb.715:
	s_cmp_gt_i32 s21, 22
	s_mov_b32 s23, -1
	s_cbranch_scc0 .LBB18_747
; %bb.716:
	s_cmp_lt_i32 s21, 24
	s_mov_b32 s22, -1
	s_cbranch_scc1 .LBB18_736
; %bb.717:
	s_cmp_gt_i32 s21, 24
	s_cbranch_scc0 .LBB18_725
; %bb.718:
	v_and_b32_e32 v1, 0x7fffffff, v0
	v_mov_b32_e32 v4, 0x80
	s_mov_b32 s22, exec_lo
	v_cmpx_gt_u32_e32 0x47800000, v1
	s_cbranch_execz .LBB18_724
; %bb.719:
	v_cmp_lt_u32_e32 vcc_lo, 0x37ffffff, v1
	s_mov_b32 s23, 0
                                        ; implicit-def: $vgpr1
	s_and_saveexec_b32 s24, vcc_lo
	s_xor_b32 s24, exec_lo, s24
	s_cbranch_execz .LBB18_816
; %bb.720:
	v_bfe_u32 v1, v0, 21, 1
	s_mov_b32 s23, exec_lo
	v_add3_u32 v1, v0, v1, 0x88fffff
	v_lshrrev_b32_e32 v1, 21, v1
	s_andn2_saveexec_b32 s24, s24
	s_cbranch_execnz .LBB18_817
.LBB18_721:
	s_or_b32 exec_lo, exec_lo, s24
	v_mov_b32_e32 v4, 0
	s_and_saveexec_b32 s24, s23
.LBB18_722:
	v_lshrrev_b32_e32 v4, 24, v0
	v_and_or_b32 v4, 0x80, v4, v1
.LBB18_723:
	s_or_b32 exec_lo, exec_lo, s24
.LBB18_724:
	s_or_b32 exec_lo, exec_lo, s22
	s_mov_b32 s22, 0
	global_store_byte v[2:3], v4, off
.LBB18_725:
	s_and_b32 vcc_lo, exec_lo, s22
	s_cbranch_vccz .LBB18_735
; %bb.726:
	v_and_b32_e32 v4, 0x7fffffff, v0
	s_mov_b32 s22, exec_lo
                                        ; implicit-def: $vgpr1
	v_cmpx_gt_u32_e32 0x43f00000, v4
	s_xor_b32 s22, exec_lo, s22
	s_cbranch_execz .LBB18_732
; %bb.727:
	s_mov_b32 s23, exec_lo
                                        ; implicit-def: $vgpr1
	v_cmpx_lt_u32_e32 0x3c7fffff, v4
	s_xor_b32 s23, exec_lo, s23
; %bb.728:
	v_bfe_u32 v1, v0, 20, 1
	v_add3_u32 v1, v0, v1, 0x407ffff
	v_and_b32_e32 v4, 0xff00000, v1
	v_lshrrev_b32_e32 v1, 20, v1
	v_cmp_ne_u32_e32 vcc_lo, 0x7f00000, v4
	v_cndmask_b32_e32 v1, 0x7e, v1, vcc_lo
; %bb.729:
	s_andn2_saveexec_b32 s23, s23
; %bb.730:
	v_add_f32_e64 v1, 0x46800000, |v0|
; %bb.731:
	s_or_b32 exec_lo, exec_lo, s23
                                        ; implicit-def: $vgpr4
.LBB18_732:
	s_andn2_saveexec_b32 s22, s22
; %bb.733:
	v_mov_b32_e32 v1, 0x7f
	v_cmp_lt_u32_e32 vcc_lo, 0x7f800000, v4
	v_cndmask_b32_e32 v1, 0x7e, v1, vcc_lo
; %bb.734:
	s_or_b32 exec_lo, exec_lo, s22
	v_lshrrev_b32_e32 v4, 24, v0
	v_and_or_b32 v1, 0x80, v4, v1
	global_store_byte v[2:3], v1, off
.LBB18_735:
	s_mov_b32 s22, 0
.LBB18_736:
	s_andn2_b32 vcc_lo, exec_lo, s22
	s_cbranch_vccnz .LBB18_746
; %bb.737:
	v_and_b32_e32 v4, 0x7fffffff, v0
	s_mov_b32 s22, exec_lo
                                        ; implicit-def: $vgpr1
	v_cmpx_gt_u32_e32 0x47800000, v4
	s_xor_b32 s22, exec_lo, s22
	s_cbranch_execz .LBB18_743
; %bb.738:
	s_mov_b32 s23, exec_lo
                                        ; implicit-def: $vgpr1
	v_cmpx_lt_u32_e32 0x387fffff, v4
	s_xor_b32 s23, exec_lo, s23
; %bb.739:
	v_bfe_u32 v1, v0, 21, 1
	v_add3_u32 v1, v0, v1, 0x80fffff
	v_lshrrev_b32_e32 v1, 21, v1
; %bb.740:
	s_andn2_saveexec_b32 s23, s23
; %bb.741:
	v_add_f32_e64 v1, 0x43000000, |v0|
; %bb.742:
	s_or_b32 exec_lo, exec_lo, s23
                                        ; implicit-def: $vgpr4
.LBB18_743:
	s_andn2_saveexec_b32 s22, s22
; %bb.744:
	v_mov_b32_e32 v1, 0x7f
	v_cmp_lt_u32_e32 vcc_lo, 0x7f800000, v4
	v_cndmask_b32_e32 v1, 0x7c, v1, vcc_lo
; %bb.745:
	s_or_b32 exec_lo, exec_lo, s22
	v_lshrrev_b32_e32 v4, 24, v0
	v_and_or_b32 v1, 0x80, v4, v1
	global_store_byte v[2:3], v1, off
.LBB18_746:
	s_mov_b32 s23, 0
	s_mov_b32 s22, -1
.LBB18_747:
	s_andn2_b32 vcc_lo, exec_lo, s23
	s_cbranch_vccnz .LBB18_755
; %bb.748:
	s_cmp_gt_i32 s21, 14
	s_mov_b32 s23, -1
	s_cbranch_scc0 .LBB18_752
; %bb.749:
	s_cmp_eq_u32 s21, 15
	s_mov_b32 s0, -1
	s_cbranch_scc0 .LBB18_751
; %bb.750:
	v_bfe_u32 v1, v0, 16, 1
	v_cmp_o_f32_e32 vcc_lo, v0, v0
	v_mov_b32_e32 v4, 0x7fc0
	s_mov_b32 s22, -1
	s_mov_b32 s0, 0
	v_add3_u32 v1, v0, v1, 0x7fff
	v_cndmask_b32_sdwa v1, v4, v1, vcc_lo dst_sel:DWORD dst_unused:UNUSED_PAD src0_sel:DWORD src1_sel:WORD_1
	global_store_short v[2:3], v1, off
.LBB18_751:
	s_mov_b32 s23, 0
.LBB18_752:
	s_and_b32 vcc_lo, exec_lo, s23
	s_cbranch_vccz .LBB18_755
; %bb.753:
	s_cmp_eq_u32 s21, 11
	s_mov_b32 s0, -1
	s_cbranch_scc0 .LBB18_755
; %bb.754:
	v_cmp_neq_f32_e32 vcc_lo, 0, v0
	s_mov_b32 s0, 0
	s_mov_b32 s22, -1
	v_cndmask_b32_e64 v1, 0, 1, vcc_lo
	global_store_byte v[2:3], v1, off
.LBB18_755:
	s_mov_b32 s21, 0
.LBB18_756:
	s_and_b32 vcc_lo, exec_lo, s21
	s_cbranch_vccz .LBB18_795
; %bb.757:
	s_and_b32 s20, 0xffff, s20
	s_mov_b32 s21, -1
	s_cmp_lt_i32 s20, 5
	s_cbranch_scc1 .LBB18_778
; %bb.758:
	s_cmp_lt_i32 s20, 8
	s_cbranch_scc1 .LBB18_768
; %bb.759:
	;; [unrolled: 3-line block ×3, first 2 shown]
	s_cmp_gt_i32 s20, 9
	s_cbranch_scc0 .LBB18_762
; %bb.761:
	v_cvt_f64_f32_e32 v[8:9], v0
	v_mov_b32_e32 v10, 0
	s_mov_b32 s21, 0
	v_mov_b32_e32 v11, v10
	global_store_dwordx4 v[2:3], v[8:11], off
.LBB18_762:
	s_andn2_b32 vcc_lo, exec_lo, s21
	s_cbranch_vccnz .LBB18_764
; %bb.763:
	v_mov_b32_e32 v1, 0
	global_store_dwordx2 v[2:3], v[0:1], off
.LBB18_764:
	s_mov_b32 s21, 0
.LBB18_765:
	s_andn2_b32 vcc_lo, exec_lo, s21
	s_cbranch_vccnz .LBB18_767
; %bb.766:
	v_cvt_f16_f32_e32 v1, v0
	v_and_b32_e32 v1, 0xffff, v1
	global_store_dword v[2:3], v1, off
.LBB18_767:
	s_mov_b32 s21, 0
.LBB18_768:
	s_andn2_b32 vcc_lo, exec_lo, s21
	s_cbranch_vccnz .LBB18_777
; %bb.769:
	s_cmp_lt_i32 s20, 6
	s_mov_b32 s21, -1
	s_cbranch_scc1 .LBB18_775
; %bb.770:
	s_cmp_gt_i32 s20, 6
	s_cbranch_scc0 .LBB18_772
; %bb.771:
	v_cvt_f64_f32_e32 v[4:5], v0
	s_mov_b32 s21, 0
	global_store_dwordx2 v[2:3], v[4:5], off
.LBB18_772:
	s_andn2_b32 vcc_lo, exec_lo, s21
	s_cbranch_vccnz .LBB18_774
; %bb.773:
	global_store_dword v[2:3], v0, off
.LBB18_774:
	s_mov_b32 s21, 0
.LBB18_775:
	s_andn2_b32 vcc_lo, exec_lo, s21
	s_cbranch_vccnz .LBB18_777
; %bb.776:
	v_cvt_f16_f32_e32 v1, v0
	global_store_short v[2:3], v1, off
.LBB18_777:
	s_mov_b32 s21, 0
.LBB18_778:
	s_andn2_b32 vcc_lo, exec_lo, s21
	s_cbranch_vccnz .LBB18_794
; %bb.779:
	s_cmp_lt_i32 s20, 2
	s_mov_b32 s21, -1
	s_cbranch_scc1 .LBB18_789
; %bb.780:
	s_cmp_lt_i32 s20, 3
	s_cbranch_scc1 .LBB18_786
; %bb.781:
	s_cmp_gt_i32 s20, 3
	s_cbranch_scc0 .LBB18_783
; %bb.782:
	v_trunc_f32_e32 v1, v0
	s_mov_b32 s21, 0
	v_mul_f32_e64 v4, 0x2f800000, |v1|
	v_floor_f32_e32 v4, v4
	v_fma_f32 v5, 0xcf800000, v4, |v1|
	v_ashrrev_i32_e32 v1, 31, v1
	v_cvt_u32_f32_e32 v4, v4
	v_cvt_u32_f32_e32 v5, v5
	v_xor_b32_e32 v6, v4, v1
	v_xor_b32_e32 v5, v5, v1
	v_sub_co_u32 v4, vcc_lo, v5, v1
	v_sub_co_ci_u32_e64 v5, null, v6, v1, vcc_lo
	global_store_dwordx2 v[2:3], v[4:5], off
.LBB18_783:
	s_andn2_b32 vcc_lo, exec_lo, s21
	s_cbranch_vccnz .LBB18_785
; %bb.784:
	v_cvt_i32_f32_e32 v1, v0
	global_store_dword v[2:3], v1, off
.LBB18_785:
	s_mov_b32 s21, 0
.LBB18_786:
	s_andn2_b32 vcc_lo, exec_lo, s21
	s_cbranch_vccnz .LBB18_788
; %bb.787:
	v_cvt_i32_f32_e32 v1, v0
	global_store_short v[2:3], v1, off
.LBB18_788:
	s_mov_b32 s21, 0
.LBB18_789:
	s_andn2_b32 vcc_lo, exec_lo, s21
	s_cbranch_vccnz .LBB18_794
; %bb.790:
	s_cmp_gt_i32 s20, 0
	s_mov_b32 s20, -1
	s_cbranch_scc0 .LBB18_792
; %bb.791:
	v_cvt_i32_f32_e32 v1, v0
	s_mov_b32 s20, 0
	global_store_byte v[2:3], v1, off
.LBB18_792:
	s_andn2_b32 vcc_lo, exec_lo, s20
	s_cbranch_vccnz .LBB18_794
; %bb.793:
	v_trunc_f32_e32 v0, v0
	v_mul_f32_e64 v1, 0x2f800000, |v0|
	v_floor_f32_e32 v1, v1
	v_fma_f32 v1, 0xcf800000, v1, |v0|
	v_ashrrev_i32_e32 v0, 31, v0
	v_cvt_u32_f32_e32 v1, v1
	v_xor_b32_e32 v1, v1, v0
	v_sub_nc_u32_e32 v0, v1, v0
	global_store_byte v[2:3], v0, off
.LBB18_794:
	s_mov_b32 s22, -1
.LBB18_795:
	s_andn2_b32 vcc_lo, exec_lo, s22
	s_cbranch_vccnz .LBB18_797
; %bb.796:
	v_add_nc_u32_e32 v7, 0x80, v7
	s_mov_b32 s20, -1
	s_branch .LBB18_799
.LBB18_797:
	s_mov_b32 s20, 0
.LBB18_798:
                                        ; implicit-def: $vgpr7
.LBB18_799:
	s_andn2_b32 s21, s16, exec_lo
	s_and_b32 s0, s0, exec_lo
	s_andn2_b32 s22, s15, exec_lo
	s_and_b32 s23, s19, exec_lo
	s_or_b32 s19, s21, s0
	s_or_b32 s0, s22, s23
	s_orn2_b32 s20, s20, exec_lo
.LBB18_800:
	s_or_b32 exec_lo, exec_lo, s18
	s_mov_b32 s21, 0
	s_mov_b32 s22, 0
	;; [unrolled: 1-line block ×3, first 2 shown]
                                        ; implicit-def: $vgpr0_vgpr1
                                        ; implicit-def: $vgpr4
	s_and_saveexec_b32 s18, s20
	s_cbranch_execz .LBB18_885
; %bb.801:
	v_cmp_gt_i32_e32 vcc_lo, s12, v7
	s_mov_b32 s20, 0
	s_mov_b32 s21, s0
	;; [unrolled: 1-line block ×3, first 2 shown]
                                        ; implicit-def: $vgpr0_vgpr1
                                        ; implicit-def: $vgpr4
	s_and_saveexec_b32 s12, vcc_lo
	s_cbranch_execz .LBB18_884
; %bb.802:
	v_mul_lo_u32 v0, v7, s3
	s_and_b32 s20, 0xffff, s5
	s_cmp_lt_i32 s20, 11
	v_ashrrev_i32_e32 v1, 31, v0
	v_add_co_u32 v0, vcc_lo, s10, v0
	v_add_co_ci_u32_e64 v1, null, s11, v1, vcc_lo
	s_cbranch_scc1 .LBB18_809
; %bb.803:
	s_cmp_gt_i32 s20, 25
	s_cbranch_scc0 .LBB18_810
; %bb.804:
	s_cmp_gt_i32 s20, 28
	s_cbranch_scc0 .LBB18_811
	;; [unrolled: 3-line block ×4, first 2 shown]
; %bb.807:
	s_cmp_eq_u32 s20, 46
	s_cbranch_scc0 .LBB18_818
; %bb.808:
	global_load_dword v2, v[0:1], off
	s_mov_b32 s21, 0
	s_mov_b32 s23, -1
	s_waitcnt vmcnt(0)
	v_lshlrev_b32_e32 v4, 16, v2
	s_branch .LBB18_820
.LBB18_809:
	s_mov_b32 s20, -1
	s_mov_b32 s21, s0
                                        ; implicit-def: $vgpr4
	s_branch .LBB18_883
.LBB18_810:
	s_mov_b32 s24, -1
	s_mov_b32 s21, s0
                                        ; implicit-def: $vgpr4
	s_branch .LBB18_849
.LBB18_811:
	s_mov_b32 s24, -1
	s_mov_b32 s21, s0
                                        ; implicit-def: $vgpr4
	s_branch .LBB18_830
.LBB18_812:
	s_mov_b32 s24, -1
	s_mov_b32 s21, s0
                                        ; implicit-def: $vgpr4
	s_branch .LBB18_825
.LBB18_813:
	s_andn2_saveexec_b32 s24, s24
	s_cbranch_execz .LBB18_708
.LBB18_814:
	v_add_f32_e64 v1, 0x46000000, |v0|
	s_andn2_b32 s23, s23, exec_lo
	v_and_b32_e32 v1, 0xff, v1
	v_cmp_ne_u32_e32 vcc_lo, 0, v1
	s_and_b32 s25, vcc_lo, exec_lo
	s_or_b32 s23, s23, s25
	s_or_b32 exec_lo, exec_lo, s24
	v_mov_b32_e32 v4, 0
	s_and_saveexec_b32 s24, s23
	s_cbranch_execnz .LBB18_709
	s_branch .LBB18_710
.LBB18_815:
	s_mov_b32 s24, -1
	s_mov_b32 s21, s0
	s_branch .LBB18_819
.LBB18_816:
	s_andn2_saveexec_b32 s24, s24
	s_cbranch_execz .LBB18_721
.LBB18_817:
	v_add_f32_e64 v1, 0x42800000, |v0|
	s_andn2_b32 s23, s23, exec_lo
	v_and_b32_e32 v1, 0xff, v1
	v_cmp_ne_u32_e32 vcc_lo, 0, v1
	s_and_b32 s25, vcc_lo, exec_lo
	s_or_b32 s23, s23, s25
	s_or_b32 exec_lo, exec_lo, s24
	v_mov_b32_e32 v4, 0
	s_and_saveexec_b32 s24, s23
	s_cbranch_execnz .LBB18_722
	s_branch .LBB18_723
.LBB18_818:
	s_mov_b32 s21, -1
.LBB18_819:
                                        ; implicit-def: $vgpr4
.LBB18_820:
	s_and_b32 vcc_lo, exec_lo, s24
	s_cbranch_vccz .LBB18_824
; %bb.821:
	s_cmp_eq_u32 s20, 44
	s_cbranch_scc0 .LBB18_823
; %bb.822:
	global_load_ubyte v2, v[0:1], off
	s_mov_b32 s21, 0
	s_mov_b32 s23, -1
	s_waitcnt vmcnt(0)
	v_lshlrev_b32_e32 v3, 23, v2
	v_cmp_ne_u32_e32 vcc_lo, 0xff, v2
	v_cndmask_b32_e32 v3, 0x7f800001, v3, vcc_lo
	v_cmp_ne_u32_e32 vcc_lo, 0, v2
	v_cndmask_b32_e32 v4, 0x400000, v3, vcc_lo
	s_branch .LBB18_824
.LBB18_823:
	s_mov_b32 s21, -1
                                        ; implicit-def: $vgpr4
.LBB18_824:
	s_mov_b32 s24, 0
.LBB18_825:
	s_and_b32 vcc_lo, exec_lo, s24
	s_cbranch_vccz .LBB18_829
; %bb.826:
	s_cmp_eq_u32 s20, 29
	s_cbranch_scc0 .LBB18_828
; %bb.827:
	global_load_dwordx2 v[2:3], v[0:1], off
	s_mov_b32 s21, 0
	s_mov_b32 s23, -1
	s_mov_b32 s24, 0
	s_waitcnt vmcnt(0)
	v_ffbh_u32_e32 v4, v3
	v_min_u32_e32 v4, 32, v4
	v_lshlrev_b64 v[2:3], v4, v[2:3]
	v_min_u32_e32 v2, 1, v2
	v_or_b32_e32 v2, v3, v2
	v_sub_nc_u32_e32 v3, 32, v4
	v_cvt_f32_u32_e32 v2, v2
	v_ldexp_f32 v4, v2, v3
	s_branch .LBB18_830
.LBB18_828:
	s_mov_b32 s21, -1
                                        ; implicit-def: $vgpr4
.LBB18_829:
	s_mov_b32 s24, 0
.LBB18_830:
	s_and_b32 vcc_lo, exec_lo, s24
	s_cbranch_vccz .LBB18_848
; %bb.831:
	s_cmp_lt_i32 s20, 27
	s_cbranch_scc1 .LBB18_834
; %bb.832:
	s_cmp_gt_i32 s20, 27
	s_cbranch_scc0 .LBB18_835
; %bb.833:
	global_load_dword v2, v[0:1], off
	s_mov_b32 s23, 0
	s_waitcnt vmcnt(0)
	v_cvt_f32_u32_e32 v4, v2
	s_branch .LBB18_836
.LBB18_834:
	s_mov_b32 s23, -1
                                        ; implicit-def: $vgpr4
	s_branch .LBB18_839
.LBB18_835:
	s_mov_b32 s23, -1
                                        ; implicit-def: $vgpr4
.LBB18_836:
	s_andn2_b32 vcc_lo, exec_lo, s23
	s_cbranch_vccnz .LBB18_838
; %bb.837:
	global_load_ushort v2, v[0:1], off
	s_waitcnt vmcnt(0)
	v_cvt_f32_u32_e32 v4, v2
.LBB18_838:
	s_mov_b32 s23, 0
.LBB18_839:
	s_andn2_b32 vcc_lo, exec_lo, s23
	s_cbranch_vccnz .LBB18_847
; %bb.840:
	global_load_ubyte v2, v[0:1], off
	s_mov_b32 s23, 0
	s_mov_b32 s24, exec_lo
	s_waitcnt vmcnt(0)
	v_cmpx_lt_i16_e32 0x7f, v2
	s_xor_b32 s24, exec_lo, s24
	s_cbranch_execz .LBB18_861
; %bb.841:
	s_mov_b32 s23, -1
	s_mov_b32 s25, exec_lo
	v_cmpx_eq_u16_e32 0x80, v2
; %bb.842:
	s_xor_b32 s23, exec_lo, -1
; %bb.843:
	s_or_b32 exec_lo, exec_lo, s25
	s_and_b32 s23, s23, exec_lo
	s_or_saveexec_b32 s24, s24
	v_mov_b32_e32 v4, 0x7f800001
	s_xor_b32 exec_lo, exec_lo, s24
	s_cbranch_execnz .LBB18_862
.LBB18_844:
	s_or_b32 exec_lo, exec_lo, s24
	s_and_saveexec_b32 s24, s23
	s_cbranch_execz .LBB18_846
.LBB18_845:
	v_and_b32_e32 v3, 0xffff, v2
	v_lshlrev_b32_e32 v2, 24, v2
	v_and_b32_e32 v4, 7, v3
	v_bfe_u32 v8, v3, 3, 4
	v_and_b32_e32 v2, 0x80000000, v2
	v_ffbh_u32_e32 v5, v4
	v_cmp_eq_u32_e32 vcc_lo, 0, v8
	v_min_u32_e32 v5, 32, v5
	v_subrev_nc_u32_e32 v6, 28, v5
	v_sub_nc_u32_e32 v5, 29, v5
	v_lshlrev_b32_e32 v3, v6, v3
	v_cndmask_b32_e32 v5, v8, v5, vcc_lo
	v_and_b32_e32 v3, 7, v3
	v_cndmask_b32_e32 v3, v4, v3, vcc_lo
	v_lshl_add_u32 v4, v5, 23, 0x3b800000
	v_lshlrev_b32_e32 v3, 20, v3
	v_or3_b32 v4, v2, v4, v3
.LBB18_846:
	s_or_b32 exec_lo, exec_lo, s24
.LBB18_847:
	s_mov_b32 s23, -1
.LBB18_848:
	s_mov_b32 s24, 0
.LBB18_849:
	s_and_b32 vcc_lo, exec_lo, s24
	s_cbranch_vccz .LBB18_882
; %bb.850:
	s_cmp_gt_i32 s20, 22
	s_cbranch_scc0 .LBB18_860
; %bb.851:
	s_cmp_lt_i32 s20, 24
	s_cbranch_scc1 .LBB18_863
; %bb.852:
	s_cmp_gt_i32 s20, 24
	s_cbranch_scc0 .LBB18_864
; %bb.853:
	global_load_ubyte v2, v[0:1], off
	s_mov_b32 s23, exec_lo
	s_waitcnt vmcnt(0)
	v_cmpx_lt_i16_e32 0x7f, v2
	s_xor_b32 s23, exec_lo, s23
	s_cbranch_execz .LBB18_876
; %bb.854:
	s_mov_b32 s22, -1
	s_mov_b32 s24, exec_lo
	v_cmpx_eq_u16_e32 0x80, v2
; %bb.855:
	s_xor_b32 s22, exec_lo, -1
; %bb.856:
	s_or_b32 exec_lo, exec_lo, s24
	s_and_b32 s22, s22, exec_lo
	s_or_saveexec_b32 s23, s23
	v_mov_b32_e32 v4, 0x7f800001
	s_xor_b32 exec_lo, exec_lo, s23
	s_cbranch_execnz .LBB18_877
.LBB18_857:
	s_or_b32 exec_lo, exec_lo, s23
	s_and_saveexec_b32 s23, s22
	s_cbranch_execz .LBB18_859
.LBB18_858:
	v_and_b32_e32 v3, 0xffff, v2
	v_lshlrev_b32_e32 v2, 24, v2
	v_and_b32_e32 v4, 3, v3
	v_bfe_u32 v8, v3, 2, 5
	v_and_b32_e32 v2, 0x80000000, v2
	v_ffbh_u32_e32 v5, v4
	v_cmp_eq_u32_e32 vcc_lo, 0, v8
	v_min_u32_e32 v5, 32, v5
	v_subrev_nc_u32_e32 v6, 29, v5
	v_sub_nc_u32_e32 v5, 30, v5
	v_lshlrev_b32_e32 v3, v6, v3
	v_cndmask_b32_e32 v5, v8, v5, vcc_lo
	v_and_b32_e32 v3, 3, v3
	v_cndmask_b32_e32 v3, v4, v3, vcc_lo
	v_lshl_add_u32 v4, v5, 23, 0x37800000
	v_lshlrev_b32_e32 v3, 21, v3
	v_or3_b32 v4, v2, v4, v3
.LBB18_859:
	s_or_b32 exec_lo, exec_lo, s23
	s_mov_b32 s22, 0
	s_branch .LBB18_865
.LBB18_860:
	s_mov_b32 s22, -1
                                        ; implicit-def: $vgpr4
	s_branch .LBB18_871
.LBB18_861:
	s_or_saveexec_b32 s24, s24
	v_mov_b32_e32 v4, 0x7f800001
	s_xor_b32 exec_lo, exec_lo, s24
	s_cbranch_execz .LBB18_844
.LBB18_862:
	v_cmp_ne_u16_e32 vcc_lo, 0, v2
	v_mov_b32_e32 v4, 0
	s_andn2_b32 s23, s23, exec_lo
	s_and_b32 s25, vcc_lo, exec_lo
	s_or_b32 s23, s23, s25
	s_or_b32 exec_lo, exec_lo, s24
	s_and_saveexec_b32 s24, s23
	s_cbranch_execnz .LBB18_845
	s_branch .LBB18_846
.LBB18_863:
	s_mov_b32 s22, -1
                                        ; implicit-def: $vgpr4
	s_branch .LBB18_868
.LBB18_864:
	s_mov_b32 s22, -1
                                        ; implicit-def: $vgpr4
.LBB18_865:
	s_and_b32 vcc_lo, exec_lo, s22
	s_cbranch_vccz .LBB18_867
; %bb.866:
	global_load_ubyte v2, v[0:1], off
	s_waitcnt vmcnt(0)
	v_lshlrev_b32_e32 v2, 24, v2
	v_and_b32_e32 v3, 0x7f000000, v2
	v_ffbh_u32_e32 v4, v3
	v_add_nc_u32_e32 v6, 0x1000000, v3
	v_cmp_ne_u32_e32 vcc_lo, 0, v3
	v_min_u32_e32 v4, 32, v4
	v_sub_nc_u32_e64 v4, v4, 4 clamp
	v_lshlrev_b32_e32 v5, v4, v3
	v_lshlrev_b32_e32 v4, 23, v4
	v_lshrrev_b32_e32 v5, 4, v5
	v_sub_nc_u32_e32 v4, v5, v4
	v_ashrrev_i32_e32 v5, 8, v6
	v_add_nc_u32_e32 v4, 0x3c000000, v4
	v_and_or_b32 v4, 0x7f800000, v5, v4
	v_cndmask_b32_e32 v3, 0, v4, vcc_lo
	v_and_or_b32 v4, 0x80000000, v2, v3
.LBB18_867:
	s_mov_b32 s22, 0
.LBB18_868:
	s_andn2_b32 vcc_lo, exec_lo, s22
	s_cbranch_vccnz .LBB18_870
; %bb.869:
	global_load_ubyte v2, v[0:1], off
	s_waitcnt vmcnt(0)
	v_lshlrev_b32_e32 v3, 25, v2
	v_lshlrev_b16 v2, 8, v2
	v_lshrrev_b32_e32 v4, 4, v3
	v_and_or_b32 v5, 0x7f00, v2, 0.5
	v_cmp_gt_u32_e32 vcc_lo, 0x8000000, v3
	v_bfe_i32 v2, v2, 0, 16
	v_or_b32_e32 v4, 0x70000000, v4
	v_add_f32_e32 v5, -0.5, v5
	v_mul_f32_e32 v4, 0x7800000, v4
	v_cndmask_b32_e32 v3, v4, v5, vcc_lo
	v_and_or_b32 v4, 0x80000000, v2, v3
.LBB18_870:
	s_mov_b32 s22, 0
	s_mov_b32 s23, -1
.LBB18_871:
	s_andn2_b32 vcc_lo, exec_lo, s22
	s_mov_b32 s22, 0
	s_cbranch_vccnz .LBB18_882
; %bb.872:
	s_cmp_gt_i32 s20, 14
	s_cbranch_scc0 .LBB18_875
; %bb.873:
	s_cmp_eq_u32 s20, 15
	s_cbranch_scc0 .LBB18_878
; %bb.874:
	global_load_ushort v2, v[0:1], off
	s_mov_b32 s21, 0
	s_mov_b32 s23, -1
	s_waitcnt vmcnt(0)
	v_lshlrev_b32_e32 v4, 16, v2
	s_branch .LBB18_880
.LBB18_875:
	s_mov_b32 s22, -1
	s_branch .LBB18_879
.LBB18_876:
	s_or_saveexec_b32 s23, s23
	v_mov_b32_e32 v4, 0x7f800001
	s_xor_b32 exec_lo, exec_lo, s23
	s_cbranch_execz .LBB18_857
.LBB18_877:
	v_cmp_ne_u16_e32 vcc_lo, 0, v2
	v_mov_b32_e32 v4, 0
	s_andn2_b32 s22, s22, exec_lo
	s_and_b32 s24, vcc_lo, exec_lo
	s_or_b32 s22, s22, s24
	s_or_b32 exec_lo, exec_lo, s23
	s_and_saveexec_b32 s23, s22
	s_cbranch_execnz .LBB18_858
	s_branch .LBB18_859
.LBB18_878:
	s_mov_b32 s21, -1
.LBB18_879:
                                        ; implicit-def: $vgpr4
.LBB18_880:
	s_and_b32 vcc_lo, exec_lo, s22
	s_mov_b32 s22, 0
	s_cbranch_vccz .LBB18_882
; %bb.881:
	s_cmp_lg_u32 s20, 11
	s_mov_b32 s22, -1
	s_cselect_b32 s20, -1, 0
	s_andn2_b32 s21, s21, exec_lo
	s_and_b32 s20, s20, exec_lo
	s_or_b32 s21, s21, s20
.LBB18_882:
	s_mov_b32 s20, 0
.LBB18_883:
	s_andn2_b32 s25, s0, exec_lo
	s_and_b32 s21, s21, exec_lo
	s_and_b32 s23, s23, exec_lo
	;; [unrolled: 1-line block ×4, first 2 shown]
	s_or_b32 s21, s25, s21
.LBB18_884:
	s_or_b32 exec_lo, exec_lo, s12
	s_andn2_b32 s0, s0, exec_lo
	s_and_b32 s12, s21, exec_lo
	s_and_b32 s23, s23, exec_lo
	;; [unrolled: 1-line block ×4, first 2 shown]
	s_or_b32 s0, s0, s12
.LBB18_885:
	s_or_b32 exec_lo, exec_lo, s18
	s_andn2_b32 s12, s16, exec_lo
	s_and_b32 s16, s19, exec_lo
	s_and_b32 s0, s0, exec_lo
	s_or_b32 s16, s12, s16
	s_andn2_b32 s12, s15, exec_lo
	s_and_b32 s20, s23, exec_lo
	s_and_b32 s19, s22, exec_lo
	;; [unrolled: 1-line block ×3, first 2 shown]
	s_or_b32 s15, s12, s0
.LBB18_886:
	s_or_b32 exec_lo, exec_lo, s17
	s_andn2_b32 s0, s7, exec_lo
	s_and_b32 s7, s16, exec_lo
	s_andn2_b32 s12, s13, exec_lo
	s_and_b32 s13, s15, exec_lo
	s_or_b32 s7, s0, s7
	s_and_b32 s0, s20, exec_lo
	s_and_b32 s16, s19, exec_lo
	s_and_b32 s15, s18, exec_lo
	s_or_b32 s13, s12, s13
	s_or_b32 exec_lo, exec_lo, s14
	s_mov_b32 s12, 0
	s_and_saveexec_b32 s14, s13
	s_cbranch_execz .LBB18_270
.LBB18_887:
	s_mov_b32 s12, exec_lo
	s_andn2_b32 s15, s15, exec_lo
	s_trap 2
	s_or_b32 exec_lo, exec_lo, s14
	s_and_saveexec_b32 s13, s15
	s_xor_b32 s13, exec_lo, s13
	s_cbranch_execnz .LBB18_271
.LBB18_888:
	s_or_b32 exec_lo, exec_lo, s13
	s_and_saveexec_b32 s13, s16
	s_cbranch_execz .LBB18_934
.LBB18_889:
	s_sext_i32_i16 s14, s5
	s_cmp_lt_i32 s14, 5
	s_cbranch_scc1 .LBB18_894
; %bb.890:
	s_cmp_lt_i32 s14, 8
	s_cbranch_scc1 .LBB18_895
; %bb.891:
	;; [unrolled: 3-line block ×3, first 2 shown]
	s_cmp_gt_i32 s14, 9
	s_cbranch_scc0 .LBB18_897
; %bb.893:
	global_load_dwordx2 v[2:3], v[0:1], off
	s_mov_b32 s14, 0
	s_waitcnt vmcnt(0)
	v_cvt_f32_f64_e32 v4, v[2:3]
	s_branch .LBB18_898
.LBB18_894:
                                        ; implicit-def: $vgpr4
	s_branch .LBB18_915
.LBB18_895:
                                        ; implicit-def: $vgpr4
	s_branch .LBB18_904
.LBB18_896:
	s_mov_b32 s14, -1
                                        ; implicit-def: $vgpr4
	s_branch .LBB18_901
.LBB18_897:
	s_mov_b32 s14, -1
                                        ; implicit-def: $vgpr4
.LBB18_898:
	s_andn2_b32 vcc_lo, exec_lo, s14
	s_cbranch_vccnz .LBB18_900
; %bb.899:
	global_load_dword v4, v[0:1], off
.LBB18_900:
	s_mov_b32 s14, 0
.LBB18_901:
	s_andn2_b32 vcc_lo, exec_lo, s14
	s_cbranch_vccnz .LBB18_903
; %bb.902:
	global_load_dword v2, v[0:1], off
	s_waitcnt vmcnt(0)
	v_cvt_f32_f16_e32 v4, v2
.LBB18_903:
	s_cbranch_execnz .LBB18_914
.LBB18_904:
	s_sext_i32_i16 s14, s5
	s_cmp_lt_i32 s14, 6
	s_cbranch_scc1 .LBB18_907
; %bb.905:
	s_cmp_gt_i32 s14, 6
	s_cbranch_scc0 .LBB18_908
; %bb.906:
	global_load_dwordx2 v[2:3], v[0:1], off
	s_mov_b32 s14, 0
	s_waitcnt vmcnt(0)
	v_cvt_f32_f64_e32 v4, v[2:3]
	s_branch .LBB18_909
.LBB18_907:
	s_mov_b32 s14, -1
                                        ; implicit-def: $vgpr4
	s_branch .LBB18_912
.LBB18_908:
	s_mov_b32 s14, -1
                                        ; implicit-def: $vgpr4
.LBB18_909:
	s_andn2_b32 vcc_lo, exec_lo, s14
	s_cbranch_vccnz .LBB18_911
; %bb.910:
	global_load_dword v4, v[0:1], off
.LBB18_911:
	s_mov_b32 s14, 0
.LBB18_912:
	s_andn2_b32 vcc_lo, exec_lo, s14
	s_cbranch_vccnz .LBB18_914
; %bb.913:
	global_load_ushort v2, v[0:1], off
	s_waitcnt vmcnt(0)
	v_cvt_f32_f16_e32 v4, v2
.LBB18_914:
	s_cbranch_execnz .LBB18_933
.LBB18_915:
	s_sext_i32_i16 s14, s5
	s_cmp_lt_i32 s14, 2
	s_cbranch_scc1 .LBB18_919
; %bb.916:
	s_cmp_lt_i32 s14, 3
	s_cbranch_scc1 .LBB18_920
; %bb.917:
	s_cmp_gt_i32 s14, 3
	s_cbranch_scc0 .LBB18_921
; %bb.918:
	global_load_dwordx2 v[2:3], v[0:1], off
	s_mov_b32 s14, 0
	s_waitcnt vmcnt(0)
	v_xor_b32_e32 v4, v2, v3
	v_ffbh_i32_e32 v5, v3
	v_ashrrev_i32_e32 v4, 31, v4
	v_add_nc_u32_e32 v5, -1, v5
	v_add_nc_u32_e32 v4, 32, v4
	v_min_u32_e32 v4, v5, v4
	v_lshlrev_b64 v[2:3], v4, v[2:3]
	v_min_u32_e32 v2, 1, v2
	v_or_b32_e32 v2, v3, v2
	v_sub_nc_u32_e32 v3, 32, v4
	v_cvt_f32_i32_e32 v2, v2
	v_ldexp_f32 v4, v2, v3
	s_branch .LBB18_922
.LBB18_919:
                                        ; implicit-def: $vgpr4
	s_branch .LBB18_928
.LBB18_920:
	s_mov_b32 s14, -1
                                        ; implicit-def: $vgpr4
	s_branch .LBB18_925
.LBB18_921:
	s_mov_b32 s14, -1
                                        ; implicit-def: $vgpr4
.LBB18_922:
	s_andn2_b32 vcc_lo, exec_lo, s14
	s_cbranch_vccnz .LBB18_924
; %bb.923:
	global_load_dword v2, v[0:1], off
	s_waitcnt vmcnt(0)
	v_cvt_f32_i32_e32 v4, v2
.LBB18_924:
	s_mov_b32 s14, 0
.LBB18_925:
	s_andn2_b32 vcc_lo, exec_lo, s14
	s_cbranch_vccnz .LBB18_927
; %bb.926:
	global_load_sshort v2, v[0:1], off
	s_waitcnt vmcnt(0)
	v_cvt_f32_i32_e32 v4, v2
.LBB18_927:
	s_cbranch_execnz .LBB18_933
.LBB18_928:
	s_sext_i32_i16 s14, s5
	s_cmp_gt_i32 s14, 0
	s_mov_b32 s14, 0
	s_cbranch_scc0 .LBB18_930
; %bb.929:
	global_load_sbyte v2, v[0:1], off
	s_waitcnt vmcnt(0)
	v_cvt_f32_i32_e32 v4, v2
	s_branch .LBB18_931
.LBB18_930:
	s_mov_b32 s14, -1
                                        ; implicit-def: $vgpr4
.LBB18_931:
	s_andn2_b32 vcc_lo, exec_lo, s14
	s_cbranch_vccnz .LBB18_933
; %bb.932:
	global_load_ubyte v0, v[0:1], off
	s_waitcnt vmcnt(0)
	v_cvt_f32_ubyte0_e32 v4, v0
.LBB18_933:
	s_or_b32 s0, s0, exec_lo
.LBB18_934:
	s_or_b32 exec_lo, exec_lo, s13
	s_mov_b32 s16, 0
	s_mov_b32 s15, 0
                                        ; implicit-def: $sgpr14
                                        ; implicit-def: $vgpr2_vgpr3
                                        ; implicit-def: $vgpr0
	s_and_saveexec_b32 s13, s0
	s_cbranch_execz .LBB18_950
; %bb.935:
	v_mov_b32_e32 v0, 0x7f800000
	s_mov_b32 s14, exec_lo
	s_waitcnt vmcnt(0)
	v_cmpx_neq_f32_e32 0, v4
	s_cbranch_execz .LBB18_943
; %bb.936:
	v_mov_b32_e32 v0, 0x7fc00000
	s_mov_b32 s15, exec_lo
	v_cmpx_ngt_f32_e32 0, v4
	s_cbranch_execz .LBB18_942
; %bb.937:
                                        ; implicit-def: $vgpr0
	s_mov_b32 s0, exec_lo
	v_cmpx_ge_f32_e32 2.0, v4
	s_xor_b32 s16, exec_lo, s0
	s_cbranch_execz .LBB18_939
; %bb.938:
	v_fma_f32 v0, v4, 0.5, -2.0
	s_mov_b32 s0, 0x224cf950
	v_fma_f32 v3, v4, v4, -2.0
	v_fmaak_f32 v1, s0, v0, 0xa3c2be86
	s_mov_b32 s0, 0xa3019142
	v_fmaak_f32 v5, s0, v3, 0xa72eea8c
	v_fmaak_f32 v2, v0, v1, 0xa24cf950
	;; [unrolled: 1-line block ×3, first 2 shown]
	v_add_f32_e32 v2, 0x25331f1f, v2
	v_add_f32_e32 v6, 0xab3ba817, v6
	v_fma_f32 v1, v0, v2, -v1
	v_fma_f32 v5, v3, v6, -v5
	v_add_f32_e32 v1, 0xa69f5554, v1
	v_add_f32_e32 v5, 0xaf1b31de, v5
	v_fma_f32 v2, v0, v1, -v2
	v_fma_f32 v6, v3, v5, -v6
	;; [unrolled: 4-line block ×8, first 2 shown]
	v_mul_f32_e32 v5, 0.5, v4
	v_add_f32_e32 v2, 0x2fc751a6, v2
	v_add_f32_e32 v3, 0x3fc33d0a, v3
	v_cmp_gt_f32_e32 vcc_lo, 0x800000, v5
	v_fma_f32 v1, v0, v2, -v1
	v_sub_f32_e32 v3, v3, v6
	v_mul_f32_e32 v6, 0x3fb8aa3b, v4
	v_add_f32_e32 v1, 0xb101b0d9, v1
	v_cndmask_b32_e64 v8, 0, 32, vcc_lo
	v_cndmask_b32_e64 v13, 0, 0x41b17218, vcc_lo
	v_mul_f32_e32 v3, 0.5, v3
	v_rndne_f32_e32 v9, v6
	v_fma_f32 v2, v0, v1, -v2
	v_fma_f32 v11, 0x3fb8aa3b, v4, -v6
	v_ldexp_f32 v5, v5, v8
	v_div_scale_f32 v10, null, v4, v4, v3
	v_add_f32_e32 v2, 0x32212c70, v2
	v_sub_f32_e32 v6, v6, v9
	v_fmamk_f32 v11, v4, 0x32a5705f, v11
	v_rcp_f32_e32 v8, v10
	v_log_f32_e32 v5, v5
	v_fma_f32 v1, v0, v2, -v1
	v_div_scale_f32 v12, s0, v3, v4, v3
	v_add_f32_e32 v6, v6, v11
	v_cmp_ngt_f32_e32 vcc_lo, 0xc2ce8ed0, v4
	v_add_f32_e32 v1, 0xb33ee9f1, v1
	v_exp_f32_e32 v6, v6
	v_fma_f32 v11, -v10, v8, 1.0
	v_fma_f32 v2, v0, v1, -v2
	v_fmac_f32_e32 v8, v11, v8
	v_add_f32_e32 v2, 0x34571a26, v2
	v_mul_f32_e32 v11, 0x3f317217, v5
	v_fma_f32 v1, v0, v2, -v1
	v_fma_f32 v11, 0x3f317217, v5, -v11
	v_add_f32_e32 v1, 0xb56603cc, v1
	v_fmamk_f32 v11, v5, 0x3377d1cf, v11
	v_fma_f32 v2, v0, v1, -v2
	v_fmac_f32_e32 v11, 0x3f317217, v5
	v_add_f32_e32 v2, 0x3668e277, v2
	v_fma_f32 v1, v0, v2, -v1
	v_add_f32_e32 v1, 0xb75eafce, v1
	v_fma_f32 v2, v0, v1, -v2
	;; [unrolled: 2-line block ×12, first 2 shown]
	v_cvt_i32_f32_e32 v1, v9
	v_mul_f32_e32 v9, v12, v8
	v_add_f32_e32 v0, 0x3e81531c, v0
	v_ldexp_f32 v1, v6, v1
	v_fma_f32 v6, -v10, v9, v12
	v_sub_f32_e32 v0, v0, v2
	v_cndmask_b32_e32 v1, 0, v1, vcc_lo
	v_cmp_nlt_f32_e32 vcc_lo, 0x42b17218, v4
	v_fmac_f32_e32 v9, v6, v8
	v_mul_f32_e32 v0, 0.5, v0
	v_cndmask_b32_e32 v1, 0x7f800000, v1, vcc_lo
	v_cmp_gt_f32_e64 vcc_lo, 0x7f800000, |v5|
	v_fma_f32 v2, -v10, v9, v12
	v_mul_f32_e32 v0, v4, v0
	v_cndmask_b32_e32 v5, v5, v11, vcc_lo
	s_mov_b32 vcc_lo, s0
	v_mul_f32_e32 v1, v1, v0
	v_div_fmas_f32 v2, v2, v8, v9
	v_sub_f32_e32 v5, v5, v13
	v_div_fixup_f32 v0, v2, v4, v3
                                        ; implicit-def: $vgpr4
	v_fmac_f32_e32 v0, v5, v1
.LBB18_939:
	s_andn2_saveexec_b32 s16, s16
	s_cbranch_execz .LBB18_941
; %bb.940:
	v_div_scale_f32 v0, null, v4, v4, 0x41000000
	v_div_scale_f32 v3, vcc_lo, 0x41000000, v4, 0x41000000
	s_mov_b32 s0, 0xa2d462ea
	v_rcp_f32_e32 v1, v0
	v_fma_f32 v2, -v0, v1, 1.0
	v_fmac_f32_e32 v1, v2, v1
	v_mul_f32_e32 v2, v3, v1
	v_fma_f32 v5, -v0, v2, v3
	v_fmac_f32_e32 v2, v5, v1
	v_mul_f32_e32 v5, 0xbfb8aa3b, v4
	v_fma_f32 v0, -v0, v2, v3
	v_mul_f32_e32 v3, 0x4f800000, v4
	v_rndne_f32_e32 v6, v5
	v_fma_f32 v8, 0xbfb8aa3b, v4, -v5
	v_div_fmas_f32 v0, v0, v1, v2
	v_cmp_gt_f32_e32 vcc_lo, 0xf800000, v4
	v_sub_f32_e32 v5, v5, v6
	v_fmamk_f32 v8, v4, 0xb2a5705f, v8
	v_cvt_i32_f32_e32 v6, v6
	v_div_fixup_f32 v0, v0, v4, 0x41000000
	v_cndmask_b32_e32 v3, v4, v3, vcc_lo
	v_add_f32_e32 v5, v5, v8
	v_add_f32_e32 v0, -2.0, v0
	v_sqrt_f32_e32 v9, v3
	v_exp_f32_e32 v5, v5
	v_fmaak_f32 v1, s0, v0, 0x23a578d4
	v_fmaak_f32 v2, v0, v1, 0x22d462ea
	v_add_nc_u32_e32 v8, -1, v9
	v_add_nc_u32_e32 v10, 1, v9
	v_add_f32_e32 v2, 0xa48330a9, v2
	v_fma_f32 v11, -v8, v9, v3
	v_fma_f32 v12, -v10, v9, v3
	v_fma_f32 v1, v0, v2, -v1
	v_cmp_ge_f32_e64 s0, 0, v11
	v_add_f32_e32 v1, 0x2553eaf2, v1
	v_cndmask_b32_e64 v8, v9, v8, s0
	v_cmp_lt_f32_e64 s0, 0, v12
	v_fma_f32 v2, v0, v1, -v2
	v_add_f32_e32 v2, 0xa62e951f, v2
	v_fma_f32 v1, v0, v2, -v1
	v_add_f32_e32 v1, 0x2712e76f, v1
	;; [unrolled: 2-line block ×20, first 2 shown]
	v_fma_f32 v0, v0, v1, -v2
	v_ldexp_f32 v1, v5, v6
	v_cndmask_b32_e64 v5, v8, v10, s0
	v_cmp_nlt_f32_e64 s0, 0x42ce8ed0, v4
	v_add_f32_e32 v0, 0x402e1ebd, v0
	v_mul_f32_e32 v6, 0x37800000, v5
	v_cndmask_b32_e64 v1, 0, v1, s0
	v_cmp_ngt_f32_e64 s0, 0xc2b17218, v4
	v_sub_f32_e32 v0, v0, v2
	v_cndmask_b32_e32 v2, v5, v6, vcc_lo
	v_cmp_class_f32_e64 vcc_lo, v3, 0x260
	v_cndmask_b32_e64 v1, 0x7f800000, v1, s0
	v_mul_f32_e32 v0, 0.5, v0
	v_cndmask_b32_e32 v2, v2, v3, vcc_lo
	v_mul_f32_e32 v0, v1, v0
	v_div_scale_f32 v1, null, v2, v2, v0
	v_rcp_f32_e32 v3, v1
	v_fma_f32 v4, -v1, v3, 1.0
	v_fmac_f32_e32 v3, v4, v3
	v_div_scale_f32 v4, vcc_lo, v0, v2, v0
	v_mul_f32_e32 v5, v4, v3
	v_fma_f32 v6, -v1, v5, v4
	v_fmac_f32_e32 v5, v6, v3
	v_fma_f32 v1, -v1, v5, v4
	v_div_fmas_f32 v1, v1, v3, v5
	v_div_fixup_f32 v0, v1, v2, v0
.LBB18_941:
	s_or_b32 exec_lo, exec_lo, s16
.LBB18_942:
	s_or_b32 exec_lo, exec_lo, s15
.LBB18_943:
	s_or_b32 exec_lo, exec_lo, s14
	v_mul_lo_u32 v1, v7, s2
	s_and_b32 s14, s1, 0xff
	s_cmp_lt_i32 s14, 11
	v_ashrrev_i32_e32 v3, 31, v1
	v_add_co_u32 v2, vcc_lo, s8, v1
	v_add_co_ci_u32_e64 v3, null, s9, v3, vcc_lo
	s_cbranch_scc1 .LBB18_953
; %bb.944:
	s_and_b32 s15, 0xffff, s14
	s_mov_b32 s16, -1
	s_cmp_gt_i32 s15, 25
	s_mov_b32 s0, s7
	s_cbranch_scc0 .LBB18_981
; %bb.945:
	s_cmp_gt_i32 s15, 28
	s_mov_b32 s0, s7
	s_cbranch_scc0 .LBB18_965
; %bb.946:
	;; [unrolled: 4-line block ×4, first 2 shown]
	s_cmp_eq_u32 s15, 46
	s_mov_b32 s0, -1
	s_cbranch_scc0 .LBB18_954
; %bb.949:
	v_bfe_u32 v1, v0, 16, 1
	v_cmp_o_f32_e32 vcc_lo, v0, v0
	v_mov_b32_e32 v4, 0x7fc0
	s_mov_b32 s0, 0
	s_mov_b32 s16, 0
	v_add3_u32 v1, v0, v1, 0x7fff
	v_cndmask_b32_sdwa v1, v4, v1, vcc_lo dst_sel:DWORD dst_unused:UNUSED_PAD src0_sel:DWORD src1_sel:WORD_1
	global_store_dword v[2:3], v1, off
	s_branch .LBB18_955
.LBB18_950:
	s_or_b32 exec_lo, exec_lo, s13
	s_and_saveexec_b32 s0, s7
	s_cbranch_execnz .LBB18_1023
.LBB18_951:
	s_or_b32 exec_lo, exec_lo, s0
	s_and_saveexec_b32 s0, s16
	s_xor_b32 s0, exec_lo, s0
	s_cbranch_execz .LBB18_1024
.LBB18_952:
	v_cmp_neq_f32_e32 vcc_lo, 0, v0
	v_cndmask_b32_e64 v1, 0, 1, vcc_lo
	s_waitcnt vmcnt(0)
	global_store_byte v[2:3], v1, off
	s_or_b32 exec_lo, exec_lo, s0
	s_and_saveexec_b32 s0, s15
	s_xor_b32 s0, exec_lo, s0
	s_cbranch_execz .LBB18_1062
	s_branch .LBB18_1025
.LBB18_953:
	s_mov_b32 s17, 0
	s_mov_b32 s16, -1
	s_mov_b32 s0, s7
	s_branch .LBB18_1022
.LBB18_954:
	s_mov_b32 s16, 0
.LBB18_955:
	s_and_b32 vcc_lo, exec_lo, s16
	s_cbranch_vccz .LBB18_960
; %bb.956:
	s_cmp_eq_u32 s15, 44
	s_mov_b32 s0, -1
	s_cbranch_scc0 .LBB18_960
; %bb.957:
	v_bfe_u32 v4, v0, 23, 8
	v_mov_b32_e32 v1, 0xff
	s_mov_b32 s16, exec_lo
	v_cmpx_ne_u32_e32 0xff, v4
	s_cbranch_execz .LBB18_959
; %bb.958:
	v_and_b32_e32 v1, 0x400000, v0
	v_and_or_b32 v4, 0x3fffff, v0, v4
	v_cmp_ne_u32_e32 vcc_lo, 0, v1
	v_cmp_ne_u32_e64 s0, 0, v4
	v_lshrrev_b32_e32 v1, 23, v0
	s_and_b32 s0, vcc_lo, s0
	v_cndmask_b32_e64 v4, 0, 1, s0
	v_add_nc_u32_e32 v1, v1, v4
.LBB18_959:
	s_or_b32 exec_lo, exec_lo, s16
	s_mov_b32 s0, 0
	global_store_byte v[2:3], v1, off
.LBB18_960:
	s_mov_b32 s16, 0
.LBB18_961:
	s_and_b32 vcc_lo, exec_lo, s16
	s_cbranch_vccz .LBB18_964
; %bb.962:
	s_cmp_eq_u32 s15, 29
	s_mov_b32 s0, -1
	s_cbranch_scc0 .LBB18_964
; %bb.963:
	v_trunc_f32_e32 v1, v0
	s_mov_b32 s0, 0
	s_mov_b32 s16, 0
	v_mul_f32_e32 v4, 0x2f800000, v1
	v_floor_f32_e32 v4, v4
	v_fmamk_f32 v1, v4, 0xcf800000, v1
	v_cvt_u32_f32_e32 v5, v4
	v_cvt_u32_f32_e32 v4, v1
	global_store_dwordx2 v[2:3], v[4:5], off
	s_branch .LBB18_965
.LBB18_964:
	s_mov_b32 s16, 0
.LBB18_965:
	s_and_b32 vcc_lo, exec_lo, s16
	s_cbranch_vccz .LBB18_980
; %bb.966:
	s_cmp_lt_i32 s15, 27
	s_mov_b32 s16, -1
	s_cbranch_scc1 .LBB18_972
; %bb.967:
	v_cvt_u32_f32_e32 v1, v0
	s_cmp_gt_i32 s15, 27
	s_cbranch_scc0 .LBB18_969
; %bb.968:
	s_mov_b32 s16, 0
	global_store_dword v[2:3], v1, off
.LBB18_969:
	s_andn2_b32 vcc_lo, exec_lo, s16
	s_cbranch_vccnz .LBB18_971
; %bb.970:
	global_store_short v[2:3], v1, off
.LBB18_971:
	s_mov_b32 s16, 0
.LBB18_972:
	s_andn2_b32 vcc_lo, exec_lo, s16
	s_cbranch_vccnz .LBB18_980
; %bb.973:
	v_and_b32_e32 v1, 0x7fffffff, v0
	v_mov_b32_e32 v4, 0x80
	s_mov_b32 s16, exec_lo
	v_cmpx_gt_u32_e32 0x43800000, v1
	s_cbranch_execz .LBB18_979
; %bb.974:
	v_cmp_lt_u32_e32 vcc_lo, 0x3bffffff, v1
	s_mov_b32 s17, 0
                                        ; implicit-def: $vgpr1
	s_and_saveexec_b32 s18, vcc_lo
	s_xor_b32 s18, exec_lo, s18
	s_cbranch_execz .LBB18_1077
; %bb.975:
	v_bfe_u32 v1, v0, 20, 1
	s_mov_b32 s17, exec_lo
	v_add3_u32 v1, v0, v1, 0x487ffff
	v_lshrrev_b32_e32 v1, 20, v1
	s_andn2_saveexec_b32 s18, s18
	s_cbranch_execnz .LBB18_1078
.LBB18_976:
	s_or_b32 exec_lo, exec_lo, s18
	v_mov_b32_e32 v4, 0
	s_and_saveexec_b32 s18, s17
.LBB18_977:
	v_lshrrev_b32_e32 v4, 24, v0
	v_and_or_b32 v4, 0x80, v4, v1
.LBB18_978:
	s_or_b32 exec_lo, exec_lo, s18
.LBB18_979:
	s_or_b32 exec_lo, exec_lo, s16
	global_store_byte v[2:3], v4, off
.LBB18_980:
	s_mov_b32 s16, 0
.LBB18_981:
	s_and_b32 vcc_lo, exec_lo, s16
	s_mov_b32 s16, 0
	s_cbranch_vccz .LBB18_1021
; %bb.982:
	s_cmp_gt_i32 s15, 22
	s_mov_b32 s17, -1
	s_cbranch_scc0 .LBB18_1014
; %bb.983:
	s_cmp_lt_i32 s15, 24
	s_cbranch_scc1 .LBB18_1003
; %bb.984:
	s_cmp_gt_i32 s15, 24
	s_cbranch_scc0 .LBB18_992
; %bb.985:
	v_and_b32_e32 v1, 0x7fffffff, v0
	v_mov_b32_e32 v4, 0x80
	s_mov_b32 s17, exec_lo
	v_cmpx_gt_u32_e32 0x47800000, v1
	s_cbranch_execz .LBB18_991
; %bb.986:
	v_cmp_lt_u32_e32 vcc_lo, 0x37ffffff, v1
	s_mov_b32 s18, 0
                                        ; implicit-def: $vgpr1
	s_and_saveexec_b32 s19, vcc_lo
	s_xor_b32 s19, exec_lo, s19
	s_cbranch_execz .LBB18_1211
; %bb.987:
	v_bfe_u32 v1, v0, 21, 1
	s_mov_b32 s18, exec_lo
	v_add3_u32 v1, v0, v1, 0x88fffff
	v_lshrrev_b32_e32 v1, 21, v1
	s_andn2_saveexec_b32 s19, s19
	s_cbranch_execnz .LBB18_1212
.LBB18_988:
	s_or_b32 exec_lo, exec_lo, s19
	v_mov_b32_e32 v4, 0
	s_and_saveexec_b32 s19, s18
.LBB18_989:
	v_lshrrev_b32_e32 v4, 24, v0
	v_and_or_b32 v4, 0x80, v4, v1
.LBB18_990:
	s_or_b32 exec_lo, exec_lo, s19
.LBB18_991:
	s_or_b32 exec_lo, exec_lo, s17
	s_mov_b32 s17, 0
	global_store_byte v[2:3], v4, off
.LBB18_992:
	s_and_b32 vcc_lo, exec_lo, s17
	s_cbranch_vccz .LBB18_1002
; %bb.993:
	v_and_b32_e32 v4, 0x7fffffff, v0
	s_mov_b32 s17, exec_lo
                                        ; implicit-def: $vgpr1
	v_cmpx_gt_u32_e32 0x43f00000, v4
	s_xor_b32 s17, exec_lo, s17
	s_cbranch_execz .LBB18_999
; %bb.994:
	s_mov_b32 s18, exec_lo
                                        ; implicit-def: $vgpr1
	v_cmpx_lt_u32_e32 0x3c7fffff, v4
	s_xor_b32 s18, exec_lo, s18
; %bb.995:
	v_bfe_u32 v1, v0, 20, 1
	v_add3_u32 v1, v0, v1, 0x407ffff
	v_and_b32_e32 v4, 0xff00000, v1
	v_lshrrev_b32_e32 v1, 20, v1
	v_cmp_ne_u32_e32 vcc_lo, 0x7f00000, v4
	v_cndmask_b32_e32 v1, 0x7e, v1, vcc_lo
; %bb.996:
	s_andn2_saveexec_b32 s18, s18
; %bb.997:
	v_add_f32_e64 v1, 0x46800000, |v0|
; %bb.998:
	s_or_b32 exec_lo, exec_lo, s18
                                        ; implicit-def: $vgpr4
.LBB18_999:
	s_andn2_saveexec_b32 s17, s17
; %bb.1000:
	v_mov_b32_e32 v1, 0x7f
	v_cmp_lt_u32_e32 vcc_lo, 0x7f800000, v4
	v_cndmask_b32_e32 v1, 0x7e, v1, vcc_lo
; %bb.1001:
	s_or_b32 exec_lo, exec_lo, s17
	v_lshrrev_b32_e32 v4, 24, v0
	v_and_or_b32 v1, 0x80, v4, v1
	global_store_byte v[2:3], v1, off
.LBB18_1002:
	s_mov_b32 s17, 0
.LBB18_1003:
	s_andn2_b32 vcc_lo, exec_lo, s17
	s_cbranch_vccnz .LBB18_1013
; %bb.1004:
	v_and_b32_e32 v4, 0x7fffffff, v0
	s_mov_b32 s17, exec_lo
                                        ; implicit-def: $vgpr1
	v_cmpx_gt_u32_e32 0x47800000, v4
	s_xor_b32 s17, exec_lo, s17
	s_cbranch_execz .LBB18_1010
; %bb.1005:
	s_mov_b32 s18, exec_lo
                                        ; implicit-def: $vgpr1
	v_cmpx_lt_u32_e32 0x387fffff, v4
	s_xor_b32 s18, exec_lo, s18
; %bb.1006:
	v_bfe_u32 v1, v0, 21, 1
	v_add3_u32 v1, v0, v1, 0x80fffff
	v_lshrrev_b32_e32 v1, 21, v1
; %bb.1007:
	s_andn2_saveexec_b32 s18, s18
; %bb.1008:
	v_add_f32_e64 v1, 0x43000000, |v0|
; %bb.1009:
	s_or_b32 exec_lo, exec_lo, s18
                                        ; implicit-def: $vgpr4
.LBB18_1010:
	s_andn2_saveexec_b32 s17, s17
; %bb.1011:
	v_mov_b32_e32 v1, 0x7f
	v_cmp_lt_u32_e32 vcc_lo, 0x7f800000, v4
	v_cndmask_b32_e32 v1, 0x7c, v1, vcc_lo
; %bb.1012:
	s_or_b32 exec_lo, exec_lo, s17
	v_lshrrev_b32_e32 v4, 24, v0
	v_and_or_b32 v1, 0x80, v4, v1
	global_store_byte v[2:3], v1, off
.LBB18_1013:
	s_mov_b32 s17, 0
.LBB18_1014:
	s_andn2_b32 vcc_lo, exec_lo, s17
	s_mov_b32 s17, 0
	s_cbranch_vccnz .LBB18_1022
; %bb.1015:
	s_cmp_gt_i32 s15, 14
	s_mov_b32 s17, -1
	s_cbranch_scc0 .LBB18_1019
; %bb.1016:
	s_cmp_eq_u32 s15, 15
	s_mov_b32 s0, -1
	s_cbranch_scc0 .LBB18_1018
; %bb.1017:
	v_bfe_u32 v1, v0, 16, 1
	v_cmp_o_f32_e32 vcc_lo, v0, v0
	v_mov_b32_e32 v4, 0x7fc0
	s_mov_b32 s0, 0
	v_add3_u32 v1, v0, v1, 0x7fff
	v_cndmask_b32_sdwa v1, v4, v1, vcc_lo dst_sel:DWORD dst_unused:UNUSED_PAD src0_sel:DWORD src1_sel:WORD_1
	global_store_short v[2:3], v1, off
.LBB18_1018:
	s_mov_b32 s17, 0
.LBB18_1019:
	s_and_b32 vcc_lo, exec_lo, s17
	s_mov_b32 s17, 0
	s_cbranch_vccz .LBB18_1022
; %bb.1020:
	s_cmp_lg_u32 s15, 11
	s_mov_b32 s17, -1
	s_cselect_b32 s15, -1, 0
	s_andn2_b32 s0, s0, exec_lo
	s_and_b32 s15, s15, exec_lo
	s_or_b32 s0, s0, s15
	s_branch .LBB18_1022
.LBB18_1021:
	s_mov_b32 s17, 0
.LBB18_1022:
	s_andn2_b32 s7, s7, exec_lo
	s_and_b32 s0, s0, exec_lo
	s_and_b32 s15, s16, exec_lo
	;; [unrolled: 1-line block ×3, first 2 shown]
	s_or_b32 s7, s7, s0
	s_or_b32 exec_lo, exec_lo, s13
	s_and_saveexec_b32 s0, s7
	s_cbranch_execz .LBB18_951
.LBB18_1023:
	s_or_b32 s12, s12, exec_lo
	s_andn2_b32 s16, s16, exec_lo
	s_trap 2
	s_or_b32 exec_lo, exec_lo, s0
	s_and_saveexec_b32 s0, s16
	s_xor_b32 s0, exec_lo, s0
	s_cbranch_execnz .LBB18_952
.LBB18_1024:
	s_or_b32 exec_lo, exec_lo, s0
	s_and_saveexec_b32 s0, s15
	s_xor_b32 s0, exec_lo, s0
	s_cbranch_execz .LBB18_1062
.LBB18_1025:
	s_sext_i32_i16 s13, s14
	s_mov_b32 s7, -1
	s_cmp_lt_i32 s13, 5
	s_cbranch_scc1 .LBB18_1046
; %bb.1026:
	s_cmp_lt_i32 s13, 8
	s_cbranch_scc1 .LBB18_1036
; %bb.1027:
	;; [unrolled: 3-line block ×3, first 2 shown]
	s_cmp_gt_i32 s13, 9
	s_cbranch_scc0 .LBB18_1030
; %bb.1029:
	s_waitcnt vmcnt(0)
	v_cvt_f64_f32_e32 v[4:5], v0
	v_mov_b32_e32 v6, 0
	s_mov_b32 s7, 0
	v_mov_b32_e32 v7, v6
	global_store_dwordx4 v[2:3], v[4:7], off
.LBB18_1030:
	s_andn2_b32 vcc_lo, exec_lo, s7
	s_cbranch_vccnz .LBB18_1032
; %bb.1031:
	v_mov_b32_e32 v1, 0
	s_waitcnt vmcnt(0)
	global_store_dwordx2 v[2:3], v[0:1], off
.LBB18_1032:
	s_mov_b32 s7, 0
.LBB18_1033:
	s_andn2_b32 vcc_lo, exec_lo, s7
	s_cbranch_vccnz .LBB18_1035
; %bb.1034:
	v_cvt_f16_f32_e32 v1, v0
	v_and_b32_e32 v1, 0xffff, v1
	s_waitcnt vmcnt(0)
	global_store_dword v[2:3], v1, off
.LBB18_1035:
	s_mov_b32 s7, 0
.LBB18_1036:
	s_andn2_b32 vcc_lo, exec_lo, s7
	s_cbranch_vccnz .LBB18_1045
; %bb.1037:
	s_sext_i32_i16 s13, s14
	s_mov_b32 s7, -1
	s_cmp_lt_i32 s13, 6
	s_cbranch_scc1 .LBB18_1043
; %bb.1038:
	s_cmp_gt_i32 s13, 6
	s_cbranch_scc0 .LBB18_1040
; %bb.1039:
	s_waitcnt vmcnt(0)
	v_cvt_f64_f32_e32 v[4:5], v0
	s_mov_b32 s7, 0
	global_store_dwordx2 v[2:3], v[4:5], off
.LBB18_1040:
	s_andn2_b32 vcc_lo, exec_lo, s7
	s_cbranch_vccnz .LBB18_1042
; %bb.1041:
	s_waitcnt vmcnt(0)
	global_store_dword v[2:3], v0, off
.LBB18_1042:
	s_mov_b32 s7, 0
.LBB18_1043:
	s_andn2_b32 vcc_lo, exec_lo, s7
	s_cbranch_vccnz .LBB18_1045
; %bb.1044:
	v_cvt_f16_f32_e32 v1, v0
	s_waitcnt vmcnt(0)
	global_store_short v[2:3], v1, off
.LBB18_1045:
	s_mov_b32 s7, 0
.LBB18_1046:
	s_andn2_b32 vcc_lo, exec_lo, s7
	s_cbranch_vccnz .LBB18_1062
; %bb.1047:
	s_sext_i32_i16 s13, s14
	s_mov_b32 s7, -1
	s_cmp_lt_i32 s13, 2
	s_cbranch_scc1 .LBB18_1057
; %bb.1048:
	s_cmp_lt_i32 s13, 3
	s_cbranch_scc1 .LBB18_1054
; %bb.1049:
	s_cmp_gt_i32 s13, 3
	s_cbranch_scc0 .LBB18_1051
; %bb.1050:
	v_trunc_f32_e32 v1, v0
	s_mov_b32 s7, 0
	s_waitcnt vmcnt(0)
	v_mul_f32_e64 v4, 0x2f800000, |v1|
	v_floor_f32_e32 v4, v4
	v_fma_f32 v5, 0xcf800000, v4, |v1|
	v_ashrrev_i32_e32 v1, 31, v1
	v_cvt_u32_f32_e32 v4, v4
	v_cvt_u32_f32_e32 v5, v5
	v_xor_b32_e32 v6, v4, v1
	v_xor_b32_e32 v5, v5, v1
	v_sub_co_u32 v4, vcc_lo, v5, v1
	v_sub_co_ci_u32_e64 v5, null, v6, v1, vcc_lo
	global_store_dwordx2 v[2:3], v[4:5], off
.LBB18_1051:
	s_andn2_b32 vcc_lo, exec_lo, s7
	s_cbranch_vccnz .LBB18_1053
; %bb.1052:
	v_cvt_i32_f32_e32 v1, v0
	s_waitcnt vmcnt(0)
	global_store_dword v[2:3], v1, off
.LBB18_1053:
	s_mov_b32 s7, 0
.LBB18_1054:
	s_andn2_b32 vcc_lo, exec_lo, s7
	s_cbranch_vccnz .LBB18_1056
; %bb.1055:
	v_cvt_i32_f32_e32 v1, v0
	s_waitcnt vmcnt(0)
	global_store_short v[2:3], v1, off
.LBB18_1056:
	s_mov_b32 s7, 0
.LBB18_1057:
	s_andn2_b32 vcc_lo, exec_lo, s7
	s_cbranch_vccnz .LBB18_1062
; %bb.1058:
	s_sext_i32_i16 s7, s14
	s_cmp_gt_i32 s7, 0
	s_mov_b32 s7, -1
	s_cbranch_scc0 .LBB18_1060
; %bb.1059:
	v_cvt_i32_f32_e32 v1, v0
	s_mov_b32 s7, 0
	s_waitcnt vmcnt(0)
	global_store_byte v[2:3], v1, off
.LBB18_1060:
	s_andn2_b32 vcc_lo, exec_lo, s7
	s_cbranch_vccnz .LBB18_1062
; %bb.1061:
	v_trunc_f32_e32 v0, v0
	v_mul_f32_e64 v1, 0x2f800000, |v0|
	v_floor_f32_e32 v1, v1
	v_fma_f32 v1, 0xcf800000, v1, |v0|
	v_ashrrev_i32_e32 v0, 31, v0
	v_cvt_u32_f32_e32 v1, v1
	v_xor_b32_e32 v1, v1, v0
	v_sub_nc_u32_e32 v0, v1, v0
	s_waitcnt vmcnt(0)
	global_store_byte v[2:3], v0, off
.LBB18_1062:
	s_or_b32 exec_lo, exec_lo, s0
	s_and_b32 s7, s12, exec_lo
                                        ; implicit-def: $vgpr7
.LBB18_1063:
	s_or_saveexec_b32 s6, s6
	s_mov_b32 s0, 0
                                        ; implicit-def: $sgpr12
                                        ; implicit-def: $vgpr0_vgpr1
                                        ; implicit-def: $vgpr6
	s_xor_b32 exec_lo, exec_lo, s6
	s_cbranch_execz .LBB18_1692
; %bb.1064:
	s_waitcnt vmcnt(0)
	v_mul_lo_u32 v2, s3, v7
	s_and_b32 s5, 0xffff, s5
	s_cmp_lt_i32 s5, 11
	v_ashrrev_i32_e32 v1, 31, v2
	v_add_co_u32 v0, vcc_lo, s10, v2
	v_add_co_ci_u32_e64 v1, null, s11, v1, vcc_lo
	s_cbranch_scc1 .LBB18_1071
; %bb.1065:
	s_cmp_gt_i32 s5, 25
	s_mov_b32 s12, 0
	s_cbranch_scc0 .LBB18_1073
; %bb.1066:
	s_cmp_gt_i32 s5, 28
	s_cbranch_scc0 .LBB18_1074
; %bb.1067:
	s_cmp_gt_i32 s5, 43
	;; [unrolled: 3-line block ×3, first 2 shown]
	s_cbranch_scc0 .LBB18_1076
; %bb.1069:
	s_cmp_eq_u32 s5, 46
	s_cbranch_scc0 .LBB18_1079
; %bb.1070:
	global_load_dword v3, v[0:1], off
	s_mov_b32 s13, -1
	s_waitcnt vmcnt(0)
	v_lshlrev_b32_e32 v3, 16, v3
	s_branch .LBB18_1081
.LBB18_1071:
	s_mov_b32 s13, 0
	s_mov_b32 s4, s7
                                        ; implicit-def: $vgpr3
	s_cbranch_execnz .LBB18_1144
.LBB18_1072:
	s_andn2_b32 vcc_lo, exec_lo, s13
	s_cbranch_vccz .LBB18_1189
	s_branch .LBB18_1690
.LBB18_1073:
	s_mov_b32 s13, 0
                                        ; implicit-def: $vgpr3
	s_cbranch_execnz .LBB18_1109
	s_branch .LBB18_1140
.LBB18_1074:
	s_mov_b32 s4, -1
	s_mov_b32 s13, 0
                                        ; implicit-def: $vgpr3
	s_branch .LBB18_1090
.LBB18_1075:
	s_mov_b32 s13, 0
                                        ; implicit-def: $vgpr3
	s_cbranch_execnz .LBB18_1086
	s_branch .LBB18_1089
.LBB18_1076:
	s_mov_b32 s4, -1
	s_branch .LBB18_1080
.LBB18_1077:
	s_andn2_saveexec_b32 s18, s18
	s_cbranch_execz .LBB18_976
.LBB18_1078:
	v_add_f32_e64 v1, 0x46000000, |v0|
	s_andn2_b32 s17, s17, exec_lo
	v_and_b32_e32 v1, 0xff, v1
	v_cmp_ne_u32_e32 vcc_lo, 0, v1
	s_and_b32 s19, vcc_lo, exec_lo
	s_or_b32 s17, s17, s19
	s_or_b32 exec_lo, exec_lo, s18
	v_mov_b32_e32 v4, 0
	s_and_saveexec_b32 s18, s17
	s_cbranch_execnz .LBB18_977
	s_branch .LBB18_978
.LBB18_1079:
	s_mov_b32 s0, -1
.LBB18_1080:
	s_mov_b32 s13, 0
                                        ; implicit-def: $vgpr3
.LBB18_1081:
	s_and_b32 vcc_lo, exec_lo, s4
	s_cbranch_vccz .LBB18_1084
; %bb.1082:
	s_cmp_eq_u32 s5, 44
	s_cbranch_scc0 .LBB18_1085
; %bb.1083:
	global_load_ubyte v3, v[0:1], off
	s_mov_b32 s0, 0
	s_mov_b32 s13, -1
	s_waitcnt vmcnt(0)
	v_lshlrev_b32_e32 v4, 23, v3
	v_cmp_ne_u32_e32 vcc_lo, 0xff, v3
	v_cndmask_b32_e32 v4, 0x7f800001, v4, vcc_lo
	v_cmp_ne_u32_e32 vcc_lo, 0, v3
	v_cndmask_b32_e32 v3, 0x400000, v4, vcc_lo
.LBB18_1084:
	s_branch .LBB18_1089
.LBB18_1085:
	s_mov_b32 s0, -1
                                        ; implicit-def: $vgpr3
	s_branch .LBB18_1089
.LBB18_1086:
	s_cmp_eq_u32 s5, 29
	s_cbranch_scc0 .LBB18_1088
; %bb.1087:
	global_load_dwordx2 v[3:4], v[0:1], off
	s_mov_b32 s0, 0
	s_mov_b32 s13, -1
	s_mov_b32 s4, 0
	s_waitcnt vmcnt(0)
	v_ffbh_u32_e32 v5, v4
	v_min_u32_e32 v5, 32, v5
	v_lshlrev_b64 v[3:4], v5, v[3:4]
	v_min_u32_e32 v3, 1, v3
	v_or_b32_e32 v3, v4, v3
	v_sub_nc_u32_e32 v4, 32, v5
	v_cvt_f32_u32_e32 v3, v3
	v_ldexp_f32 v3, v3, v4
	s_branch .LBB18_1090
.LBB18_1088:
	s_mov_b32 s0, -1
                                        ; implicit-def: $vgpr3
.LBB18_1089:
	s_mov_b32 s4, 0
.LBB18_1090:
	s_and_b32 vcc_lo, exec_lo, s4
	s_cbranch_vccz .LBB18_1108
; %bb.1091:
	s_cmp_lt_i32 s5, 27
	s_cbranch_scc1 .LBB18_1094
; %bb.1092:
	s_cmp_gt_i32 s5, 27
	s_cbranch_scc0 .LBB18_1095
; %bb.1093:
	global_load_dword v3, v[0:1], off
	s_mov_b32 s4, 0
	s_waitcnt vmcnt(0)
	v_cvt_f32_u32_e32 v3, v3
	s_branch .LBB18_1096
.LBB18_1094:
	s_mov_b32 s4, -1
                                        ; implicit-def: $vgpr3
	s_branch .LBB18_1099
.LBB18_1095:
	s_mov_b32 s4, -1
                                        ; implicit-def: $vgpr3
.LBB18_1096:
	s_andn2_b32 vcc_lo, exec_lo, s4
	s_cbranch_vccnz .LBB18_1098
; %bb.1097:
	global_load_ushort v3, v[0:1], off
	s_waitcnt vmcnt(0)
	v_cvt_f32_u32_e32 v3, v3
.LBB18_1098:
	s_mov_b32 s4, 0
.LBB18_1099:
	s_andn2_b32 vcc_lo, exec_lo, s4
	s_cbranch_vccnz .LBB18_1107
; %bb.1100:
	global_load_ubyte v4, v[0:1], off
	s_mov_b32 s4, 0
	s_mov_b32 s13, exec_lo
	s_waitcnt vmcnt(0)
	v_cmpx_lt_i16_e32 0x7f, v4
	s_xor_b32 s13, exec_lo, s13
	s_cbranch_execz .LBB18_1120
; %bb.1101:
	s_mov_b32 s4, -1
	s_mov_b32 s14, exec_lo
	v_cmpx_eq_u16_e32 0x80, v4
; %bb.1102:
	s_xor_b32 s4, exec_lo, -1
; %bb.1103:
	s_or_b32 exec_lo, exec_lo, s14
	s_and_b32 s4, s4, exec_lo
	s_or_saveexec_b32 s13, s13
	v_mov_b32_e32 v3, 0x7f800001
	s_xor_b32 exec_lo, exec_lo, s13
	s_cbranch_execnz .LBB18_1121
.LBB18_1104:
	s_or_b32 exec_lo, exec_lo, s13
	s_and_saveexec_b32 s13, s4
	s_cbranch_execz .LBB18_1106
.LBB18_1105:
	v_and_b32_e32 v3, 0xffff, v4
	v_lshlrev_b32_e32 v4, 24, v4
	v_and_b32_e32 v5, 7, v3
	v_bfe_u32 v9, v3, 3, 4
	v_and_b32_e32 v4, 0x80000000, v4
	v_ffbh_u32_e32 v6, v5
	v_cmp_eq_u32_e32 vcc_lo, 0, v9
	v_min_u32_e32 v6, 32, v6
	v_subrev_nc_u32_e32 v8, 28, v6
	v_sub_nc_u32_e32 v6, 29, v6
	v_lshlrev_b32_e32 v3, v8, v3
	v_cndmask_b32_e32 v6, v9, v6, vcc_lo
	v_and_b32_e32 v3, 7, v3
	v_cndmask_b32_e32 v3, v5, v3, vcc_lo
	v_lshl_add_u32 v5, v6, 23, 0x3b800000
	v_lshlrev_b32_e32 v3, 20, v3
	v_or3_b32 v3, v4, v5, v3
.LBB18_1106:
	s_or_b32 exec_lo, exec_lo, s13
.LBB18_1107:
	s_mov_b32 s13, -1
.LBB18_1108:
	s_branch .LBB18_1140
.LBB18_1109:
	s_cmp_gt_i32 s5, 22
	s_cbranch_scc0 .LBB18_1119
; %bb.1110:
	s_cmp_lt_i32 s5, 24
	s_cbranch_scc1 .LBB18_1122
; %bb.1111:
	s_cmp_gt_i32 s5, 24
	s_cbranch_scc0 .LBB18_1123
; %bb.1112:
	global_load_ubyte v4, v[0:1], off
	s_mov_b32 s4, 0
	s_mov_b32 s12, exec_lo
	s_waitcnt vmcnt(0)
	v_cmpx_lt_i16_e32 0x7f, v4
	s_xor_b32 s12, exec_lo, s12
	s_cbranch_execz .LBB18_1134
; %bb.1113:
	s_mov_b32 s4, -1
	s_mov_b32 s13, exec_lo
	v_cmpx_eq_u16_e32 0x80, v4
; %bb.1114:
	s_xor_b32 s4, exec_lo, -1
; %bb.1115:
	s_or_b32 exec_lo, exec_lo, s13
	s_and_b32 s4, s4, exec_lo
	s_or_saveexec_b32 s12, s12
	v_mov_b32_e32 v3, 0x7f800001
	s_xor_b32 exec_lo, exec_lo, s12
	s_cbranch_execnz .LBB18_1135
.LBB18_1116:
	s_or_b32 exec_lo, exec_lo, s12
	s_and_saveexec_b32 s12, s4
	s_cbranch_execz .LBB18_1118
.LBB18_1117:
	v_and_b32_e32 v3, 0xffff, v4
	v_lshlrev_b32_e32 v4, 24, v4
	v_and_b32_e32 v5, 3, v3
	v_bfe_u32 v9, v3, 2, 5
	v_and_b32_e32 v4, 0x80000000, v4
	v_ffbh_u32_e32 v6, v5
	v_cmp_eq_u32_e32 vcc_lo, 0, v9
	v_min_u32_e32 v6, 32, v6
	v_subrev_nc_u32_e32 v8, 29, v6
	v_sub_nc_u32_e32 v6, 30, v6
	v_lshlrev_b32_e32 v3, v8, v3
	v_cndmask_b32_e32 v6, v9, v6, vcc_lo
	v_and_b32_e32 v3, 3, v3
	v_cndmask_b32_e32 v3, v5, v3, vcc_lo
	v_lshl_add_u32 v5, v6, 23, 0x37800000
	v_lshlrev_b32_e32 v3, 21, v3
	v_or3_b32 v3, v4, v5, v3
.LBB18_1118:
	s_or_b32 exec_lo, exec_lo, s12
	s_mov_b32 s4, 0
	s_branch .LBB18_1124
.LBB18_1119:
                                        ; implicit-def: $vgpr3
	s_mov_b32 s12, 0
	s_branch .LBB18_1130
.LBB18_1120:
	s_or_saveexec_b32 s13, s13
	v_mov_b32_e32 v3, 0x7f800001
	s_xor_b32 exec_lo, exec_lo, s13
	s_cbranch_execz .LBB18_1104
.LBB18_1121:
	v_cmp_ne_u16_e32 vcc_lo, 0, v4
	v_mov_b32_e32 v3, 0
	s_andn2_b32 s4, s4, exec_lo
	s_and_b32 s14, vcc_lo, exec_lo
	s_or_b32 s4, s4, s14
	s_or_b32 exec_lo, exec_lo, s13
	s_and_saveexec_b32 s13, s4
	s_cbranch_execnz .LBB18_1105
	s_branch .LBB18_1106
.LBB18_1122:
	s_mov_b32 s4, -1
                                        ; implicit-def: $vgpr3
	s_branch .LBB18_1127
.LBB18_1123:
	s_mov_b32 s4, -1
                                        ; implicit-def: $vgpr3
.LBB18_1124:
	s_and_b32 vcc_lo, exec_lo, s4
	s_cbranch_vccz .LBB18_1126
; %bb.1125:
	global_load_ubyte v3, v[0:1], off
	s_waitcnt vmcnt(0)
	v_lshlrev_b32_e32 v3, 24, v3
	v_and_b32_e32 v4, 0x7f000000, v3
	v_ffbh_u32_e32 v5, v4
	v_add_nc_u32_e32 v8, 0x1000000, v4
	v_cmp_ne_u32_e32 vcc_lo, 0, v4
	v_min_u32_e32 v5, 32, v5
	v_sub_nc_u32_e64 v5, v5, 4 clamp
	v_lshlrev_b32_e32 v6, v5, v4
	v_lshlrev_b32_e32 v5, 23, v5
	v_lshrrev_b32_e32 v6, 4, v6
	v_sub_nc_u32_e32 v5, v6, v5
	v_ashrrev_i32_e32 v6, 8, v8
	v_add_nc_u32_e32 v5, 0x3c000000, v5
	v_and_or_b32 v5, 0x7f800000, v6, v5
	v_cndmask_b32_e32 v4, 0, v5, vcc_lo
	v_and_or_b32 v3, 0x80000000, v3, v4
.LBB18_1126:
	s_mov_b32 s4, 0
.LBB18_1127:
	s_andn2_b32 vcc_lo, exec_lo, s4
	s_cbranch_vccnz .LBB18_1129
; %bb.1128:
	global_load_ubyte v3, v[0:1], off
	s_waitcnt vmcnt(0)
	v_lshlrev_b32_e32 v4, 25, v3
	v_lshlrev_b16 v3, 8, v3
	v_lshrrev_b32_e32 v5, 4, v4
	v_and_or_b32 v6, 0x7f00, v3, 0.5
	v_cmp_gt_u32_e32 vcc_lo, 0x8000000, v4
	v_bfe_i32 v3, v3, 0, 16
	v_or_b32_e32 v5, 0x70000000, v5
	v_add_f32_e32 v6, -0.5, v6
	v_mul_f32_e32 v5, 0x7800000, v5
	v_cndmask_b32_e32 v4, v5, v6, vcc_lo
	v_and_or_b32 v3, 0x80000000, v3, v4
.LBB18_1129:
	s_mov_b32 s13, -1
	s_mov_b32 s12, 0
	s_cbranch_execnz .LBB18_1140
.LBB18_1130:
	s_cmp_gt_i32 s5, 14
	s_cbranch_scc0 .LBB18_1133
; %bb.1131:
	s_cmp_eq_u32 s5, 15
	s_cbranch_scc0 .LBB18_1136
; %bb.1132:
	global_load_ushort v3, v[0:1], off
	s_mov_b32 s0, 0
	s_mov_b32 s13, -1
	s_waitcnt vmcnt(0)
	v_lshlrev_b32_e32 v3, 16, v3
	s_branch .LBB18_1137
.LBB18_1133:
	s_mov_b32 s4, -1
                                        ; implicit-def: $vgpr3
	s_branch .LBB18_1138
.LBB18_1134:
	s_or_saveexec_b32 s12, s12
	v_mov_b32_e32 v3, 0x7f800001
	s_xor_b32 exec_lo, exec_lo, s12
	s_cbranch_execz .LBB18_1116
.LBB18_1135:
	v_cmp_ne_u16_e32 vcc_lo, 0, v4
	v_mov_b32_e32 v3, 0
	s_andn2_b32 s4, s4, exec_lo
	s_and_b32 s13, vcc_lo, exec_lo
	s_or_b32 s4, s4, s13
	s_or_b32 exec_lo, exec_lo, s12
	s_and_saveexec_b32 s12, s4
	s_cbranch_execnz .LBB18_1117
	s_branch .LBB18_1118
.LBB18_1136:
	s_mov_b32 s0, -1
                                        ; implicit-def: $vgpr3
.LBB18_1137:
	s_mov_b32 s4, 0
.LBB18_1138:
	s_and_b32 vcc_lo, exec_lo, s4
	s_cbranch_vccz .LBB18_1140
; %bb.1139:
	s_cmp_lg_u32 s5, 11
	s_mov_b32 s12, -1
	s_cselect_b32 s0, -1, 0
.LBB18_1140:
	s_and_b32 vcc_lo, exec_lo, s0
	s_mov_b32 s4, s7
	s_cbranch_vccnz .LBB18_1209
; %bb.1141:
	s_andn2_b32 vcc_lo, exec_lo, s12
	s_cbranch_vccnz .LBB18_1143
.LBB18_1142:
	global_load_ubyte v3, v[0:1], off
	s_mov_b32 s13, -1
	s_waitcnt vmcnt(0)
	v_cmp_ne_u16_e32 vcc_lo, 0, v3
	v_cndmask_b32_e64 v3, 0, 1.0, vcc_lo
.LBB18_1143:
	s_branch .LBB18_1072
.LBB18_1144:
	s_cmp_lt_i32 s5, 5
	s_cbranch_scc1 .LBB18_1149
; %bb.1145:
	s_cmp_lt_i32 s5, 8
	s_cbranch_scc1 .LBB18_1150
; %bb.1146:
	;; [unrolled: 3-line block ×3, first 2 shown]
	s_cmp_gt_i32 s5, 9
	s_cbranch_scc0 .LBB18_1152
; %bb.1148:
	global_load_dwordx2 v[3:4], v[0:1], off
	s_mov_b32 s0, 0
	s_waitcnt vmcnt(0)
	v_cvt_f32_f64_e32 v3, v[3:4]
	s_branch .LBB18_1153
.LBB18_1149:
                                        ; implicit-def: $vgpr3
	s_branch .LBB18_1170
.LBB18_1150:
                                        ; implicit-def: $vgpr3
	s_branch .LBB18_1159
.LBB18_1151:
	s_mov_b32 s0, -1
                                        ; implicit-def: $vgpr3
	s_branch .LBB18_1156
.LBB18_1152:
	s_mov_b32 s0, -1
                                        ; implicit-def: $vgpr3
.LBB18_1153:
	s_andn2_b32 vcc_lo, exec_lo, s0
	s_cbranch_vccnz .LBB18_1155
; %bb.1154:
	global_load_dword v3, v[0:1], off
.LBB18_1155:
	s_mov_b32 s0, 0
.LBB18_1156:
	s_andn2_b32 vcc_lo, exec_lo, s0
	s_cbranch_vccnz .LBB18_1158
; %bb.1157:
	global_load_dword v3, v[0:1], off
	s_waitcnt vmcnt(0)
	v_cvt_f32_f16_e32 v3, v3
.LBB18_1158:
	s_cbranch_execnz .LBB18_1169
.LBB18_1159:
	s_cmp_lt_i32 s5, 6
	s_cbranch_scc1 .LBB18_1162
; %bb.1160:
	s_cmp_gt_i32 s5, 6
	s_cbranch_scc0 .LBB18_1163
; %bb.1161:
	global_load_dwordx2 v[3:4], v[0:1], off
	s_mov_b32 s0, 0
	s_waitcnt vmcnt(0)
	v_cvt_f32_f64_e32 v3, v[3:4]
	s_branch .LBB18_1164
.LBB18_1162:
	s_mov_b32 s0, -1
                                        ; implicit-def: $vgpr3
	s_branch .LBB18_1167
.LBB18_1163:
	s_mov_b32 s0, -1
                                        ; implicit-def: $vgpr3
.LBB18_1164:
	s_andn2_b32 vcc_lo, exec_lo, s0
	s_cbranch_vccnz .LBB18_1166
; %bb.1165:
	global_load_dword v3, v[0:1], off
.LBB18_1166:
	s_mov_b32 s0, 0
.LBB18_1167:
	s_andn2_b32 vcc_lo, exec_lo, s0
	s_cbranch_vccnz .LBB18_1169
; %bb.1168:
	global_load_ushort v3, v[0:1], off
	s_waitcnt vmcnt(0)
	v_cvt_f32_f16_e32 v3, v3
.LBB18_1169:
	s_cbranch_execnz .LBB18_1188
.LBB18_1170:
	s_cmp_lt_i32 s5, 2
	s_cbranch_scc1 .LBB18_1174
; %bb.1171:
	s_cmp_lt_i32 s5, 3
	s_cbranch_scc1 .LBB18_1175
; %bb.1172:
	s_cmp_gt_i32 s5, 3
	s_cbranch_scc0 .LBB18_1176
; %bb.1173:
	global_load_dwordx2 v[3:4], v[0:1], off
	s_mov_b32 s0, 0
	s_waitcnt vmcnt(0)
	v_xor_b32_e32 v5, v3, v4
	v_ffbh_i32_e32 v6, v4
	v_ashrrev_i32_e32 v5, 31, v5
	v_add_nc_u32_e32 v6, -1, v6
	v_add_nc_u32_e32 v5, 32, v5
	v_min_u32_e32 v5, v6, v5
	v_lshlrev_b64 v[3:4], v5, v[3:4]
	v_min_u32_e32 v3, 1, v3
	v_or_b32_e32 v3, v4, v3
	v_sub_nc_u32_e32 v4, 32, v5
	v_cvt_f32_i32_e32 v3, v3
	v_ldexp_f32 v3, v3, v4
	s_branch .LBB18_1177
.LBB18_1174:
                                        ; implicit-def: $vgpr3
	s_branch .LBB18_1183
.LBB18_1175:
	s_mov_b32 s0, -1
                                        ; implicit-def: $vgpr3
	s_branch .LBB18_1180
.LBB18_1176:
	s_mov_b32 s0, -1
                                        ; implicit-def: $vgpr3
.LBB18_1177:
	s_andn2_b32 vcc_lo, exec_lo, s0
	s_cbranch_vccnz .LBB18_1179
; %bb.1178:
	global_load_dword v3, v[0:1], off
	s_waitcnt vmcnt(0)
	v_cvt_f32_i32_e32 v3, v3
.LBB18_1179:
	s_mov_b32 s0, 0
.LBB18_1180:
	s_andn2_b32 vcc_lo, exec_lo, s0
	s_cbranch_vccnz .LBB18_1182
; %bb.1181:
	global_load_sshort v3, v[0:1], off
	s_waitcnt vmcnt(0)
	v_cvt_f32_i32_e32 v3, v3
.LBB18_1182:
	s_cbranch_execnz .LBB18_1188
.LBB18_1183:
	s_cmp_gt_i32 s5, 0
	s_mov_b32 s0, 0
	s_cbranch_scc0 .LBB18_1185
; %bb.1184:
	global_load_sbyte v3, v[0:1], off
	s_waitcnt vmcnt(0)
	v_cvt_f32_i32_e32 v3, v3
	s_branch .LBB18_1186
.LBB18_1185:
	s_mov_b32 s0, -1
                                        ; implicit-def: $vgpr3
.LBB18_1186:
	s_andn2_b32 vcc_lo, exec_lo, s0
	s_cbranch_vccnz .LBB18_1188
; %bb.1187:
	global_load_ubyte v0, v[0:1], off
	s_waitcnt vmcnt(0)
	v_cvt_f32_ubyte0_e32 v3, v0
.LBB18_1188:
.LBB18_1189:
	v_mov_b32_e32 v0, 0x7f800000
	s_mov_b32 s12, exec_lo
	s_waitcnt vmcnt(0)
	v_cmpx_neq_f32_e32 0, v3
	s_cbranch_execz .LBB18_1197
; %bb.1190:
	v_mov_b32_e32 v0, 0x7fc00000
	s_mov_b32 s13, exec_lo
	v_cmpx_ngt_f32_e32 0, v3
	s_cbranch_execz .LBB18_1196
; %bb.1191:
                                        ; implicit-def: $vgpr0
	s_mov_b32 s0, exec_lo
	v_cmpx_ge_f32_e32 2.0, v3
	s_xor_b32 s14, exec_lo, s0
	s_cbranch_execz .LBB18_1193
; %bb.1192:
	v_fma_f32 v0, v3, 0.5, -2.0
	s_mov_b32 s0, 0x224cf950
	v_fma_f32 v5, v3, v3, -2.0
	v_fmaak_f32 v1, s0, v0, 0xa3c2be86
	s_mov_b32 s0, 0xa3019142
	v_fmaak_f32 v6, s0, v5, 0xa72eea8c
	v_fmaak_f32 v4, v0, v1, 0xa24cf950
	;; [unrolled: 1-line block ×3, first 2 shown]
	v_add_f32_e32 v4, 0x25331f1f, v4
	v_add_f32_e32 v8, 0xab3ba817, v8
	v_fma_f32 v1, v0, v4, -v1
	v_fma_f32 v6, v5, v8, -v6
	v_add_f32_e32 v1, 0xa69f5554, v1
	v_add_f32_e32 v6, 0xaf1b31de, v6
	v_fma_f32 v4, v0, v1, -v4
	v_fma_f32 v8, v5, v6, -v8
	;; [unrolled: 4-line block ×8, first 2 shown]
	v_mul_f32_e32 v6, 0.5, v3
	v_add_f32_e32 v4, 0x2fc751a6, v4
	v_add_f32_e32 v5, 0x3fc33d0a, v5
	v_cmp_gt_f32_e32 vcc_lo, 0x800000, v6
	v_fma_f32 v1, v0, v4, -v1
	v_sub_f32_e32 v5, v5, v8
	v_mul_f32_e32 v8, 0x3fb8aa3b, v3
	v_add_f32_e32 v1, 0xb101b0d9, v1
	v_cndmask_b32_e64 v9, 0, 32, vcc_lo
	v_cndmask_b32_e64 v14, 0, 0x41b17218, vcc_lo
	v_mul_f32_e32 v5, 0.5, v5
	v_rndne_f32_e32 v10, v8
	v_fma_f32 v4, v0, v1, -v4
	v_fma_f32 v12, 0x3fb8aa3b, v3, -v8
	v_ldexp_f32 v6, v6, v9
	v_div_scale_f32 v11, null, v3, v3, v5
	v_add_f32_e32 v4, 0x32212c70, v4
	v_sub_f32_e32 v8, v8, v10
	v_fmamk_f32 v12, v3, 0x32a5705f, v12
	v_rcp_f32_e32 v9, v11
	v_log_f32_e32 v6, v6
	v_fma_f32 v1, v0, v4, -v1
	v_div_scale_f32 v13, s0, v5, v3, v5
	v_add_f32_e32 v8, v8, v12
	v_cmp_ngt_f32_e32 vcc_lo, 0xc2ce8ed0, v3
	v_add_f32_e32 v1, 0xb33ee9f1, v1
	v_exp_f32_e32 v8, v8
	v_fma_f32 v12, -v11, v9, 1.0
	v_fma_f32 v4, v0, v1, -v4
	v_fmac_f32_e32 v9, v12, v9
	v_add_f32_e32 v4, 0x34571a26, v4
	v_mul_f32_e32 v12, 0x3f317217, v6
	v_fma_f32 v1, v0, v4, -v1
	v_fma_f32 v12, 0x3f317217, v6, -v12
	v_add_f32_e32 v1, 0xb56603cc, v1
	v_fmamk_f32 v12, v6, 0x3377d1cf, v12
	v_fma_f32 v4, v0, v1, -v4
	v_fmac_f32_e32 v12, 0x3f317217, v6
	v_add_f32_e32 v4, 0x3668e277, v4
	v_fma_f32 v1, v0, v4, -v1
	v_add_f32_e32 v1, 0xb75eafce, v1
	v_fma_f32 v4, v0, v1, -v4
	;; [unrolled: 2-line block ×12, first 2 shown]
	v_cvt_i32_f32_e32 v1, v10
	v_mul_f32_e32 v10, v13, v9
	v_add_f32_e32 v0, 0x3e81531c, v0
	v_ldexp_f32 v1, v8, v1
	v_fma_f32 v8, -v11, v10, v13
	v_sub_f32_e32 v0, v0, v4
	v_cndmask_b32_e32 v1, 0, v1, vcc_lo
	v_cmp_nlt_f32_e32 vcc_lo, 0x42b17218, v3
	v_fmac_f32_e32 v10, v8, v9
	v_mul_f32_e32 v0, 0.5, v0
	v_cndmask_b32_e32 v1, 0x7f800000, v1, vcc_lo
	v_cmp_gt_f32_e64 vcc_lo, 0x7f800000, |v6|
	v_fma_f32 v4, -v11, v10, v13
	v_mul_f32_e32 v0, v3, v0
	v_cndmask_b32_e32 v6, v6, v12, vcc_lo
	s_mov_b32 vcc_lo, s0
	v_mul_f32_e32 v1, v1, v0
	v_div_fmas_f32 v4, v4, v9, v10
	v_sub_f32_e32 v6, v6, v14
	v_div_fixup_f32 v0, v4, v3, v5
                                        ; implicit-def: $vgpr3
	v_fmac_f32_e32 v0, v6, v1
.LBB18_1193:
	s_andn2_saveexec_b32 s14, s14
	s_cbranch_execz .LBB18_1195
; %bb.1194:
	v_div_scale_f32 v0, null, v3, v3, 0x41000000
	v_div_scale_f32 v5, vcc_lo, 0x41000000, v3, 0x41000000
	s_mov_b32 s0, 0xa2d462ea
	v_rcp_f32_e32 v1, v0
	v_fma_f32 v4, -v0, v1, 1.0
	v_fmac_f32_e32 v1, v4, v1
	v_mul_f32_e32 v4, v5, v1
	v_fma_f32 v6, -v0, v4, v5
	v_fmac_f32_e32 v4, v6, v1
	v_mul_f32_e32 v6, 0xbfb8aa3b, v3
	v_fma_f32 v0, -v0, v4, v5
	v_mul_f32_e32 v5, 0x4f800000, v3
	v_rndne_f32_e32 v8, v6
	v_fma_f32 v9, 0xbfb8aa3b, v3, -v6
	v_div_fmas_f32 v0, v0, v1, v4
	v_cmp_gt_f32_e32 vcc_lo, 0xf800000, v3
	v_sub_f32_e32 v6, v6, v8
	v_fmamk_f32 v9, v3, 0xb2a5705f, v9
	v_cvt_i32_f32_e32 v8, v8
	v_div_fixup_f32 v0, v0, v3, 0x41000000
	v_cndmask_b32_e32 v5, v3, v5, vcc_lo
	v_add_f32_e32 v6, v6, v9
	v_add_f32_e32 v0, -2.0, v0
	v_sqrt_f32_e32 v10, v5
	v_exp_f32_e32 v6, v6
	v_fmaak_f32 v1, s0, v0, 0x23a578d4
	v_fmaak_f32 v4, v0, v1, 0x22d462ea
	v_add_nc_u32_e32 v9, -1, v10
	v_add_nc_u32_e32 v11, 1, v10
	v_add_f32_e32 v4, 0xa48330a9, v4
	v_fma_f32 v12, -v9, v10, v5
	v_fma_f32 v13, -v11, v10, v5
	v_fma_f32 v1, v0, v4, -v1
	v_cmp_ge_f32_e64 s0, 0, v12
	v_add_f32_e32 v1, 0x2553eaf2, v1
	v_cndmask_b32_e64 v9, v10, v9, s0
	v_cmp_lt_f32_e64 s0, 0, v13
	v_fma_f32 v4, v0, v1, -v4
	v_add_f32_e32 v4, 0xa62e951f, v4
	v_fma_f32 v1, v0, v4, -v1
	v_add_f32_e32 v1, 0x2712e76f, v1
	;; [unrolled: 2-line block ×20, first 2 shown]
	v_fma_f32 v0, v0, v1, -v4
	v_ldexp_f32 v1, v6, v8
	v_cndmask_b32_e64 v6, v9, v11, s0
	v_cmp_nlt_f32_e64 s0, 0x42ce8ed0, v3
	v_add_f32_e32 v0, 0x402e1ebd, v0
	v_mul_f32_e32 v8, 0x37800000, v6
	v_cndmask_b32_e64 v1, 0, v1, s0
	v_cmp_ngt_f32_e64 s0, 0xc2b17218, v3
	v_sub_f32_e32 v0, v0, v4
	v_cndmask_b32_e32 v3, v6, v8, vcc_lo
	v_cmp_class_f32_e64 vcc_lo, v5, 0x260
	v_cndmask_b32_e64 v1, 0x7f800000, v1, s0
	v_mul_f32_e32 v0, 0.5, v0
	v_cndmask_b32_e32 v3, v3, v5, vcc_lo
	v_mul_f32_e32 v0, v1, v0
	v_div_scale_f32 v1, null, v3, v3, v0
	v_rcp_f32_e32 v4, v1
	v_fma_f32 v5, -v1, v4, 1.0
	v_fmac_f32_e32 v4, v5, v4
	v_div_scale_f32 v5, vcc_lo, v0, v3, v0
	v_mul_f32_e32 v6, v5, v4
	v_fma_f32 v8, -v1, v6, v5
	v_fmac_f32_e32 v6, v8, v4
	v_fma_f32 v1, -v1, v6, v5
	v_div_fmas_f32 v1, v1, v4, v6
	v_div_fixup_f32 v0, v1, v3, v0
.LBB18_1195:
	s_or_b32 exec_lo, exec_lo, s14
.LBB18_1196:
	s_or_b32 exec_lo, exec_lo, s13
.LBB18_1197:
	s_or_b32 exec_lo, exec_lo, s12
	s_lshl_b32 s3, s3, 7
	s_cmp_lt_i32 s5, 11
	v_add_nc_u32_e32 v3, s3, v2
	v_ashrrev_i32_e32 v2, 31, v3
	v_add_co_u32 v1, vcc_lo, s10, v3
	v_add_co_ci_u32_e64 v2, null, s11, v2, vcc_lo
	s_cbranch_scc1 .LBB18_1204
; %bb.1198:
	s_cmp_gt_i32 s5, 25
	s_mov_b32 s12, 0
	s_cbranch_scc0 .LBB18_1206
; %bb.1199:
	s_cmp_gt_i32 s5, 28
	s_cbranch_scc0 .LBB18_1207
; %bb.1200:
	s_cmp_gt_i32 s5, 43
	;; [unrolled: 3-line block ×3, first 2 shown]
	s_cbranch_scc0 .LBB18_1210
; %bb.1202:
	s_cmp_eq_u32 s5, 46
	s_mov_b32 s14, 0
	s_cbranch_scc0 .LBB18_1213
; %bb.1203:
	global_load_dword v4, v[1:2], off
	s_mov_b32 s0, 0
	s_mov_b32 s13, -1
	s_waitcnt vmcnt(0)
	v_lshlrev_b32_e32 v4, 16, v4
	s_branch .LBB18_1215
.LBB18_1204:
	s_mov_b32 s13, 0
                                        ; implicit-def: $vgpr4
	s_cbranch_execnz .LBB18_1280
.LBB18_1205:
	s_andn2_b32 vcc_lo, exec_lo, s13
	s_cbranch_vccnz .LBB18_1690
	s_branch .LBB18_1327
.LBB18_1206:
	s_mov_b32 s13, 0
	s_mov_b32 s0, 0
                                        ; implicit-def: $vgpr4
	s_cbranch_execnz .LBB18_1244
	s_branch .LBB18_1276
.LBB18_1207:
	s_mov_b32 s14, -1
	s_mov_b32 s13, 0
	s_mov_b32 s0, 0
                                        ; implicit-def: $vgpr4
	s_branch .LBB18_1225
.LBB18_1208:
	s_mov_b32 s14, -1
	s_mov_b32 s13, 0
	s_mov_b32 s0, 0
                                        ; implicit-def: $vgpr4
	s_branch .LBB18_1220
.LBB18_1209:
	s_or_b32 s4, s7, exec_lo
	s_trap 2
	s_cbranch_execz .LBB18_1142
	s_branch .LBB18_1143
.LBB18_1210:
	s_mov_b32 s14, -1
	s_mov_b32 s13, 0
	s_mov_b32 s0, 0
	s_branch .LBB18_1214
.LBB18_1211:
	s_andn2_saveexec_b32 s19, s19
	s_cbranch_execz .LBB18_988
.LBB18_1212:
	v_add_f32_e64 v1, 0x42800000, |v0|
	s_andn2_b32 s18, s18, exec_lo
	v_and_b32_e32 v1, 0xff, v1
	v_cmp_ne_u32_e32 vcc_lo, 0, v1
	s_and_b32 s20, vcc_lo, exec_lo
	s_or_b32 s18, s18, s20
	s_or_b32 exec_lo, exec_lo, s19
	v_mov_b32_e32 v4, 0
	s_and_saveexec_b32 s19, s18
	s_cbranch_execnz .LBB18_989
	s_branch .LBB18_990
.LBB18_1213:
	s_mov_b32 s0, -1
	s_mov_b32 s13, 0
.LBB18_1214:
                                        ; implicit-def: $vgpr4
.LBB18_1215:
	s_and_b32 vcc_lo, exec_lo, s14
	s_cbranch_vccz .LBB18_1219
; %bb.1216:
	s_cmp_eq_u32 s5, 44
	s_cbranch_scc0 .LBB18_1218
; %bb.1217:
	global_load_ubyte v4, v[1:2], off
	s_mov_b32 s0, 0
	s_mov_b32 s13, -1
	s_waitcnt vmcnt(0)
	v_lshlrev_b32_e32 v5, 23, v4
	v_cmp_ne_u32_e32 vcc_lo, 0xff, v4
	v_cndmask_b32_e32 v5, 0x7f800001, v5, vcc_lo
	v_cmp_ne_u32_e32 vcc_lo, 0, v4
	v_cndmask_b32_e32 v4, 0x400000, v5, vcc_lo
	s_branch .LBB18_1219
.LBB18_1218:
	s_mov_b32 s0, -1
                                        ; implicit-def: $vgpr4
.LBB18_1219:
	s_mov_b32 s14, 0
.LBB18_1220:
	s_and_b32 vcc_lo, exec_lo, s14
	s_cbranch_vccz .LBB18_1224
; %bb.1221:
	s_cmp_eq_u32 s5, 29
	s_cbranch_scc0 .LBB18_1223
; %bb.1222:
	global_load_dwordx2 v[4:5], v[1:2], off
	s_mov_b32 s0, 0
	s_mov_b32 s13, -1
	s_mov_b32 s14, 0
	s_waitcnt vmcnt(0)
	v_ffbh_u32_e32 v6, v5
	v_min_u32_e32 v6, 32, v6
	v_lshlrev_b64 v[4:5], v6, v[4:5]
	v_min_u32_e32 v4, 1, v4
	v_or_b32_e32 v4, v5, v4
	v_sub_nc_u32_e32 v5, 32, v6
	v_cvt_f32_u32_e32 v4, v4
	v_ldexp_f32 v4, v4, v5
	s_branch .LBB18_1225
.LBB18_1223:
	s_mov_b32 s0, -1
                                        ; implicit-def: $vgpr4
.LBB18_1224:
	s_mov_b32 s14, 0
.LBB18_1225:
	s_and_b32 vcc_lo, exec_lo, s14
	s_cbranch_vccz .LBB18_1243
; %bb.1226:
	s_cmp_lt_i32 s5, 27
	s_cbranch_scc1 .LBB18_1229
; %bb.1227:
	s_cmp_gt_i32 s5, 27
	s_cbranch_scc0 .LBB18_1230
; %bb.1228:
	global_load_dword v4, v[1:2], off
	s_mov_b32 s13, 0
	s_waitcnt vmcnt(0)
	v_cvt_f32_u32_e32 v4, v4
	s_branch .LBB18_1231
.LBB18_1229:
	s_mov_b32 s13, -1
                                        ; implicit-def: $vgpr4
	s_branch .LBB18_1234
.LBB18_1230:
	s_mov_b32 s13, -1
                                        ; implicit-def: $vgpr4
.LBB18_1231:
	s_andn2_b32 vcc_lo, exec_lo, s13
	s_cbranch_vccnz .LBB18_1233
; %bb.1232:
	global_load_ushort v4, v[1:2], off
	s_waitcnt vmcnt(0)
	v_cvt_f32_u32_e32 v4, v4
.LBB18_1233:
	s_mov_b32 s13, 0
.LBB18_1234:
	s_andn2_b32 vcc_lo, exec_lo, s13
	s_cbranch_vccnz .LBB18_1242
; %bb.1235:
	global_load_ubyte v5, v[1:2], off
	s_mov_b32 s13, 0
	s_mov_b32 s14, exec_lo
	s_waitcnt vmcnt(0)
	v_cmpx_lt_i16_e32 0x7f, v5
	s_xor_b32 s14, exec_lo, s14
	s_cbranch_execz .LBB18_1255
; %bb.1236:
	s_mov_b32 s13, -1
	s_mov_b32 s15, exec_lo
	v_cmpx_eq_u16_e32 0x80, v5
; %bb.1237:
	s_xor_b32 s13, exec_lo, -1
; %bb.1238:
	s_or_b32 exec_lo, exec_lo, s15
	s_and_b32 s13, s13, exec_lo
	s_or_saveexec_b32 s14, s14
	v_mov_b32_e32 v4, 0x7f800001
	s_xor_b32 exec_lo, exec_lo, s14
	s_cbranch_execnz .LBB18_1256
.LBB18_1239:
	s_or_b32 exec_lo, exec_lo, s14
	s_and_saveexec_b32 s14, s13
	s_cbranch_execz .LBB18_1241
.LBB18_1240:
	v_and_b32_e32 v4, 0xffff, v5
	v_lshlrev_b32_e32 v5, 24, v5
	v_and_b32_e32 v6, 7, v4
	v_bfe_u32 v10, v4, 3, 4
	v_and_b32_e32 v5, 0x80000000, v5
	v_ffbh_u32_e32 v8, v6
	v_cmp_eq_u32_e32 vcc_lo, 0, v10
	v_min_u32_e32 v8, 32, v8
	v_subrev_nc_u32_e32 v9, 28, v8
	v_sub_nc_u32_e32 v8, 29, v8
	v_lshlrev_b32_e32 v4, v9, v4
	v_cndmask_b32_e32 v8, v10, v8, vcc_lo
	v_and_b32_e32 v4, 7, v4
	v_cndmask_b32_e32 v4, v6, v4, vcc_lo
	v_lshl_add_u32 v6, v8, 23, 0x3b800000
	v_lshlrev_b32_e32 v4, 20, v4
	v_or3_b32 v4, v5, v6, v4
.LBB18_1241:
	s_or_b32 exec_lo, exec_lo, s14
.LBB18_1242:
	s_mov_b32 s13, -1
.LBB18_1243:
	s_branch .LBB18_1276
.LBB18_1244:
	s_cmp_gt_i32 s5, 22
	s_cbranch_scc0 .LBB18_1254
; %bb.1245:
	s_cmp_lt_i32 s5, 24
	s_cbranch_scc1 .LBB18_1257
; %bb.1246:
	s_cmp_gt_i32 s5, 24
	s_cbranch_scc0 .LBB18_1258
; %bb.1247:
	global_load_ubyte v5, v[1:2], off
	s_mov_b32 s13, exec_lo
	s_waitcnt vmcnt(0)
	v_cmpx_lt_i16_e32 0x7f, v5
	s_xor_b32 s13, exec_lo, s13
	s_cbranch_execz .LBB18_1270
; %bb.1248:
	s_mov_b32 s12, -1
	s_mov_b32 s14, exec_lo
	v_cmpx_eq_u16_e32 0x80, v5
; %bb.1249:
	s_xor_b32 s12, exec_lo, -1
; %bb.1250:
	s_or_b32 exec_lo, exec_lo, s14
	s_and_b32 s12, s12, exec_lo
	s_or_saveexec_b32 s13, s13
	v_mov_b32_e32 v4, 0x7f800001
	s_xor_b32 exec_lo, exec_lo, s13
	s_cbranch_execnz .LBB18_1271
.LBB18_1251:
	s_or_b32 exec_lo, exec_lo, s13
	s_and_saveexec_b32 s13, s12
	s_cbranch_execz .LBB18_1253
.LBB18_1252:
	v_and_b32_e32 v4, 0xffff, v5
	v_lshlrev_b32_e32 v5, 24, v5
	v_and_b32_e32 v6, 3, v4
	v_bfe_u32 v10, v4, 2, 5
	v_and_b32_e32 v5, 0x80000000, v5
	v_ffbh_u32_e32 v8, v6
	v_cmp_eq_u32_e32 vcc_lo, 0, v10
	v_min_u32_e32 v8, 32, v8
	v_subrev_nc_u32_e32 v9, 29, v8
	v_sub_nc_u32_e32 v8, 30, v8
	v_lshlrev_b32_e32 v4, v9, v4
	v_cndmask_b32_e32 v8, v10, v8, vcc_lo
	v_and_b32_e32 v4, 3, v4
	v_cndmask_b32_e32 v4, v6, v4, vcc_lo
	v_lshl_add_u32 v6, v8, 23, 0x37800000
	v_lshlrev_b32_e32 v4, 21, v4
	v_or3_b32 v4, v5, v6, v4
.LBB18_1253:
	s_or_b32 exec_lo, exec_lo, s13
	s_mov_b32 s12, 0
	s_branch .LBB18_1259
.LBB18_1254:
	s_mov_b32 s12, -1
                                        ; implicit-def: $vgpr4
	s_branch .LBB18_1265
.LBB18_1255:
	s_or_saveexec_b32 s14, s14
	v_mov_b32_e32 v4, 0x7f800001
	s_xor_b32 exec_lo, exec_lo, s14
	s_cbranch_execz .LBB18_1239
.LBB18_1256:
	v_cmp_ne_u16_e32 vcc_lo, 0, v5
	v_mov_b32_e32 v4, 0
	s_andn2_b32 s13, s13, exec_lo
	s_and_b32 s15, vcc_lo, exec_lo
	s_or_b32 s13, s13, s15
	s_or_b32 exec_lo, exec_lo, s14
	s_and_saveexec_b32 s14, s13
	s_cbranch_execnz .LBB18_1240
	s_branch .LBB18_1241
.LBB18_1257:
	s_mov_b32 s12, -1
                                        ; implicit-def: $vgpr4
	s_branch .LBB18_1262
.LBB18_1258:
	s_mov_b32 s12, -1
                                        ; implicit-def: $vgpr4
.LBB18_1259:
	s_and_b32 vcc_lo, exec_lo, s12
	s_cbranch_vccz .LBB18_1261
; %bb.1260:
	global_load_ubyte v4, v[1:2], off
	s_waitcnt vmcnt(0)
	v_lshlrev_b32_e32 v4, 24, v4
	v_and_b32_e32 v5, 0x7f000000, v4
	v_ffbh_u32_e32 v6, v5
	v_add_nc_u32_e32 v9, 0x1000000, v5
	v_cmp_ne_u32_e32 vcc_lo, 0, v5
	v_min_u32_e32 v6, 32, v6
	v_sub_nc_u32_e64 v6, v6, 4 clamp
	v_lshlrev_b32_e32 v8, v6, v5
	v_lshlrev_b32_e32 v6, 23, v6
	v_lshrrev_b32_e32 v8, 4, v8
	v_sub_nc_u32_e32 v6, v8, v6
	v_ashrrev_i32_e32 v8, 8, v9
	v_add_nc_u32_e32 v6, 0x3c000000, v6
	v_and_or_b32 v6, 0x7f800000, v8, v6
	v_cndmask_b32_e32 v5, 0, v6, vcc_lo
	v_and_or_b32 v4, 0x80000000, v4, v5
.LBB18_1261:
	s_mov_b32 s12, 0
.LBB18_1262:
	s_andn2_b32 vcc_lo, exec_lo, s12
	s_cbranch_vccnz .LBB18_1264
; %bb.1263:
	global_load_ubyte v4, v[1:2], off
	s_waitcnt vmcnt(0)
	v_lshlrev_b32_e32 v5, 25, v4
	v_lshlrev_b16 v4, 8, v4
	v_lshrrev_b32_e32 v6, 4, v5
	v_and_or_b32 v8, 0x7f00, v4, 0.5
	v_cmp_gt_u32_e32 vcc_lo, 0x8000000, v5
	v_bfe_i32 v4, v4, 0, 16
	v_or_b32_e32 v6, 0x70000000, v6
	v_add_f32_e32 v8, -0.5, v8
	v_mul_f32_e32 v6, 0x7800000, v6
	v_cndmask_b32_e32 v5, v6, v8, vcc_lo
	v_and_or_b32 v4, 0x80000000, v4, v5
.LBB18_1264:
	s_mov_b32 s12, 0
	s_mov_b32 s13, -1
.LBB18_1265:
	s_andn2_b32 vcc_lo, exec_lo, s12
	s_mov_b32 s12, 0
	s_cbranch_vccnz .LBB18_1276
; %bb.1266:
	s_cmp_gt_i32 s5, 14
	s_cbranch_scc0 .LBB18_1269
; %bb.1267:
	s_cmp_eq_u32 s5, 15
	s_cbranch_scc0 .LBB18_1272
; %bb.1268:
	global_load_ushort v4, v[1:2], off
	s_mov_b32 s0, 0
	s_mov_b32 s13, -1
	s_waitcnt vmcnt(0)
	v_lshlrev_b32_e32 v4, 16, v4
	s_branch .LBB18_1274
.LBB18_1269:
	s_mov_b32 s12, -1
	s_branch .LBB18_1273
.LBB18_1270:
	s_or_saveexec_b32 s13, s13
	v_mov_b32_e32 v4, 0x7f800001
	s_xor_b32 exec_lo, exec_lo, s13
	s_cbranch_execz .LBB18_1251
.LBB18_1271:
	v_cmp_ne_u16_e32 vcc_lo, 0, v5
	v_mov_b32_e32 v4, 0
	s_andn2_b32 s12, s12, exec_lo
	s_and_b32 s14, vcc_lo, exec_lo
	s_or_b32 s12, s12, s14
	s_or_b32 exec_lo, exec_lo, s13
	s_and_saveexec_b32 s13, s12
	s_cbranch_execnz .LBB18_1252
	s_branch .LBB18_1253
.LBB18_1272:
	s_mov_b32 s0, -1
.LBB18_1273:
                                        ; implicit-def: $vgpr4
.LBB18_1274:
	s_and_b32 vcc_lo, exec_lo, s12
	s_mov_b32 s12, 0
	s_cbranch_vccz .LBB18_1276
; %bb.1275:
	s_cmp_lg_u32 s5, 11
	s_mov_b32 s12, -1
	s_cselect_b32 s0, -1, 0
.LBB18_1276:
	s_and_b32 vcc_lo, exec_lo, s0
	s_cbranch_vccnz .LBB18_1347
; %bb.1277:
	s_andn2_b32 vcc_lo, exec_lo, s12
	s_cbranch_vccnz .LBB18_1279
.LBB18_1278:
	global_load_ubyte v4, v[1:2], off
	s_mov_b32 s13, -1
	s_waitcnt vmcnt(0)
	v_cmp_ne_u16_e32 vcc_lo, 0, v4
	v_cndmask_b32_e64 v4, 0, 1.0, vcc_lo
.LBB18_1279:
	s_branch .LBB18_1205
.LBB18_1280:
	s_cmp_lt_i32 s5, 5
	s_cbranch_scc1 .LBB18_1285
; %bb.1281:
	s_cmp_lt_i32 s5, 8
	s_cbranch_scc1 .LBB18_1286
; %bb.1282:
	;; [unrolled: 3-line block ×3, first 2 shown]
	s_cmp_gt_i32 s5, 9
	s_cbranch_scc0 .LBB18_1288
; %bb.1284:
	global_load_dwordx2 v[4:5], v[1:2], off
	s_mov_b32 s0, 0
	s_waitcnt vmcnt(0)
	v_cvt_f32_f64_e32 v4, v[4:5]
	s_branch .LBB18_1289
.LBB18_1285:
                                        ; implicit-def: $vgpr4
	s_branch .LBB18_1307
.LBB18_1286:
	s_mov_b32 s0, -1
                                        ; implicit-def: $vgpr4
	s_branch .LBB18_1295
.LBB18_1287:
	s_mov_b32 s0, -1
                                        ; implicit-def: $vgpr4
	s_branch .LBB18_1292
.LBB18_1288:
	s_mov_b32 s0, -1
                                        ; implicit-def: $vgpr4
.LBB18_1289:
	s_andn2_b32 vcc_lo, exec_lo, s0
	s_cbranch_vccnz .LBB18_1291
; %bb.1290:
	global_load_dword v4, v[1:2], off
.LBB18_1291:
	s_mov_b32 s0, 0
.LBB18_1292:
	s_andn2_b32 vcc_lo, exec_lo, s0
	s_cbranch_vccnz .LBB18_1294
; %bb.1293:
	global_load_dword v4, v[1:2], off
	s_waitcnt vmcnt(0)
	v_cvt_f32_f16_e32 v4, v4
.LBB18_1294:
	s_mov_b32 s0, 0
.LBB18_1295:
	s_andn2_b32 vcc_lo, exec_lo, s0
	s_cbranch_vccnz .LBB18_1306
; %bb.1296:
	s_cmp_lt_i32 s5, 6
	s_cbranch_scc1 .LBB18_1299
; %bb.1297:
	s_cmp_gt_i32 s5, 6
	s_cbranch_scc0 .LBB18_1300
; %bb.1298:
	global_load_dwordx2 v[4:5], v[1:2], off
	s_mov_b32 s0, 0
	s_waitcnt vmcnt(0)
	v_cvt_f32_f64_e32 v4, v[4:5]
	s_branch .LBB18_1301
.LBB18_1299:
	s_mov_b32 s0, -1
                                        ; implicit-def: $vgpr4
	s_branch .LBB18_1304
.LBB18_1300:
	s_mov_b32 s0, -1
                                        ; implicit-def: $vgpr4
.LBB18_1301:
	s_andn2_b32 vcc_lo, exec_lo, s0
	s_cbranch_vccnz .LBB18_1303
; %bb.1302:
	global_load_dword v4, v[1:2], off
.LBB18_1303:
	s_mov_b32 s0, 0
.LBB18_1304:
	s_andn2_b32 vcc_lo, exec_lo, s0
	s_cbranch_vccnz .LBB18_1306
; %bb.1305:
	global_load_ushort v4, v[1:2], off
	s_waitcnt vmcnt(0)
	v_cvt_f32_f16_e32 v4, v4
.LBB18_1306:
	s_cbranch_execnz .LBB18_1326
.LBB18_1307:
	s_cmp_lt_i32 s5, 2
	s_cbranch_scc1 .LBB18_1311
; %bb.1308:
	s_cmp_lt_i32 s5, 3
	s_cbranch_scc1 .LBB18_1312
; %bb.1309:
	s_cmp_gt_i32 s5, 3
	s_cbranch_scc0 .LBB18_1313
; %bb.1310:
	global_load_dwordx2 v[4:5], v[1:2], off
	s_mov_b32 s0, 0
	s_waitcnt vmcnt(0)
	v_xor_b32_e32 v6, v4, v5
	v_ffbh_i32_e32 v8, v5
	v_ashrrev_i32_e32 v6, 31, v6
	v_add_nc_u32_e32 v8, -1, v8
	v_add_nc_u32_e32 v6, 32, v6
	v_min_u32_e32 v6, v8, v6
	v_lshlrev_b64 v[4:5], v6, v[4:5]
	v_min_u32_e32 v4, 1, v4
	v_or_b32_e32 v4, v5, v4
	v_sub_nc_u32_e32 v5, 32, v6
	v_cvt_f32_i32_e32 v4, v4
	v_ldexp_f32 v4, v4, v5
	s_branch .LBB18_1314
.LBB18_1311:
	s_mov_b32 s0, -1
                                        ; implicit-def: $vgpr4
	s_branch .LBB18_1320
.LBB18_1312:
	s_mov_b32 s0, -1
                                        ; implicit-def: $vgpr4
	s_branch .LBB18_1317
.LBB18_1313:
	s_mov_b32 s0, -1
                                        ; implicit-def: $vgpr4
.LBB18_1314:
	s_andn2_b32 vcc_lo, exec_lo, s0
	s_cbranch_vccnz .LBB18_1316
; %bb.1315:
	global_load_dword v4, v[1:2], off
	s_waitcnt vmcnt(0)
	v_cvt_f32_i32_e32 v4, v4
.LBB18_1316:
	s_mov_b32 s0, 0
.LBB18_1317:
	s_andn2_b32 vcc_lo, exec_lo, s0
	s_cbranch_vccnz .LBB18_1319
; %bb.1318:
	global_load_sshort v4, v[1:2], off
	s_waitcnt vmcnt(0)
	v_cvt_f32_i32_e32 v4, v4
.LBB18_1319:
	s_mov_b32 s0, 0
.LBB18_1320:
	s_andn2_b32 vcc_lo, exec_lo, s0
	s_cbranch_vccnz .LBB18_1326
; %bb.1321:
	s_cmp_gt_i32 s5, 0
	s_mov_b32 s0, 0
	s_cbranch_scc0 .LBB18_1323
; %bb.1322:
	global_load_sbyte v4, v[1:2], off
	s_waitcnt vmcnt(0)
	v_cvt_f32_i32_e32 v4, v4
	s_branch .LBB18_1324
.LBB18_1323:
	s_mov_b32 s0, -1
                                        ; implicit-def: $vgpr4
.LBB18_1324:
	s_andn2_b32 vcc_lo, exec_lo, s0
	s_cbranch_vccnz .LBB18_1326
; %bb.1325:
	global_load_ubyte v1, v[1:2], off
	s_waitcnt vmcnt(0)
	v_cvt_f32_ubyte0_e32 v4, v1
.LBB18_1326:
.LBB18_1327:
	v_mov_b32_e32 v2, 0x7f800000
	s_mov_b32 s12, exec_lo
	s_waitcnt vmcnt(0)
	v_cmpx_neq_f32_e32 0, v4
	s_cbranch_execz .LBB18_1335
; %bb.1328:
	v_mov_b32_e32 v2, 0x7fc00000
	s_mov_b32 s13, exec_lo
	v_cmpx_ngt_f32_e32 0, v4
	s_cbranch_execz .LBB18_1334
; %bb.1329:
                                        ; implicit-def: $vgpr2
	s_mov_b32 s0, exec_lo
	v_cmpx_ge_f32_e32 2.0, v4
	s_xor_b32 s14, exec_lo, s0
	s_cbranch_execz .LBB18_1331
; %bb.1330:
	v_fma_f32 v1, v4, 0.5, -2.0
	s_mov_b32 s0, 0x224cf950
	v_fma_f32 v6, v4, v4, -2.0
	v_fmaak_f32 v2, s0, v1, 0xa3c2be86
	s_mov_b32 s0, 0xa3019142
	v_fmaak_f32 v8, s0, v6, 0xa72eea8c
	v_fmaak_f32 v5, v1, v2, 0xa24cf950
	;; [unrolled: 1-line block ×3, first 2 shown]
	v_add_f32_e32 v5, 0x25331f1f, v5
	v_add_f32_e32 v9, 0xab3ba817, v9
	v_fma_f32 v2, v1, v5, -v2
	v_fma_f32 v8, v6, v9, -v8
	v_add_f32_e32 v2, 0xa69f5554, v2
	v_add_f32_e32 v8, 0xaf1b31de, v8
	v_fma_f32 v5, v1, v2, -v5
	v_fma_f32 v9, v6, v8, -v9
	;; [unrolled: 4-line block ×8, first 2 shown]
	v_mul_f32_e32 v8, 0.5, v4
	v_add_f32_e32 v5, 0x2fc751a6, v5
	v_add_f32_e32 v6, 0x3fc33d0a, v6
	v_cmp_gt_f32_e32 vcc_lo, 0x800000, v8
	v_fma_f32 v2, v1, v5, -v2
	v_sub_f32_e32 v6, v6, v9
	v_mul_f32_e32 v9, 0x3fb8aa3b, v4
	v_add_f32_e32 v2, 0xb101b0d9, v2
	v_cndmask_b32_e64 v10, 0, 32, vcc_lo
	v_cndmask_b32_e64 v15, 0, 0x41b17218, vcc_lo
	v_mul_f32_e32 v6, 0.5, v6
	v_rndne_f32_e32 v11, v9
	v_fma_f32 v5, v1, v2, -v5
	v_fma_f32 v13, 0x3fb8aa3b, v4, -v9
	v_ldexp_f32 v8, v8, v10
	v_div_scale_f32 v12, null, v4, v4, v6
	v_add_f32_e32 v5, 0x32212c70, v5
	v_sub_f32_e32 v9, v9, v11
	v_fmamk_f32 v13, v4, 0x32a5705f, v13
	v_rcp_f32_e32 v10, v12
	v_log_f32_e32 v8, v8
	v_fma_f32 v2, v1, v5, -v2
	v_div_scale_f32 v14, s0, v6, v4, v6
	v_add_f32_e32 v9, v9, v13
	v_cmp_ngt_f32_e32 vcc_lo, 0xc2ce8ed0, v4
	v_add_f32_e32 v2, 0xb33ee9f1, v2
	v_exp_f32_e32 v9, v9
	v_fma_f32 v13, -v12, v10, 1.0
	v_fma_f32 v5, v1, v2, -v5
	v_fmac_f32_e32 v10, v13, v10
	v_add_f32_e32 v5, 0x34571a26, v5
	v_mul_f32_e32 v13, 0x3f317217, v8
	v_fma_f32 v2, v1, v5, -v2
	v_fma_f32 v13, 0x3f317217, v8, -v13
	v_add_f32_e32 v2, 0xb56603cc, v2
	v_fmamk_f32 v13, v8, 0x3377d1cf, v13
	v_fma_f32 v5, v1, v2, -v5
	v_fmac_f32_e32 v13, 0x3f317217, v8
	v_add_f32_e32 v5, 0x3668e277, v5
	v_fma_f32 v2, v1, v5, -v2
	v_add_f32_e32 v2, 0xb75eafce, v2
	v_fma_f32 v5, v1, v2, -v5
	v_add_f32_e32 v5, 0x38488daa, v5
	v_fma_f32 v2, v1, v5, -v2
	v_add_f32_e32 v2, 0xb9299e57, v2
	v_fma_f32 v5, v1, v2, -v5
	v_add_f32_e32 v5, 0x3a064aee, v5
	v_fma_f32 v2, v1, v5, -v2
	v_add_f32_e32 v2, 0xbac66310, v2
	v_fma_f32 v5, v1, v2, -v5
	v_add_f32_e32 v5, 0x3b88329a, v5
	v_fma_f32 v2, v1, v5, -v2
	v_add_f32_e32 v2, 0xbc2d14fc, v2
	v_fma_f32 v5, v1, v2, -v5
	v_add_f32_e32 v5, 0x3cca8f1f, v5
	v_fma_f32 v2, v1, v5, -v2
	v_add_f32_e32 v2, 0xbd58dde3, v2
	v_fma_f32 v5, v1, v2, -v5
	v_add_f32_e32 v5, 0x3dd236d7, v5
	v_fma_f32 v2, v1, v5, -v2
	v_add_f32_e32 v2, 0xbe34a688, v2
	v_fma_f32 v1, v1, v2, -v5
	v_cvt_i32_f32_e32 v2, v11
	v_mul_f32_e32 v11, v14, v10
	v_add_f32_e32 v1, 0x3e81531c, v1
	v_ldexp_f32 v2, v9, v2
	v_fma_f32 v9, -v12, v11, v14
	v_sub_f32_e32 v1, v1, v5
	v_cndmask_b32_e32 v2, 0, v2, vcc_lo
	v_cmp_nlt_f32_e32 vcc_lo, 0x42b17218, v4
	v_fmac_f32_e32 v11, v9, v10
	v_mul_f32_e32 v1, 0.5, v1
	v_cndmask_b32_e32 v2, 0x7f800000, v2, vcc_lo
	v_cmp_gt_f32_e64 vcc_lo, 0x7f800000, |v8|
	v_fma_f32 v5, -v12, v11, v14
	v_mul_f32_e32 v1, v4, v1
	v_cndmask_b32_e32 v8, v8, v13, vcc_lo
	s_mov_b32 vcc_lo, s0
	v_mul_f32_e32 v1, v2, v1
	v_div_fmas_f32 v5, v5, v10, v11
	v_sub_f32_e32 v8, v8, v15
	v_div_fixup_f32 v2, v5, v4, v6
                                        ; implicit-def: $vgpr4
	v_fmac_f32_e32 v2, v8, v1
.LBB18_1331:
	s_andn2_saveexec_b32 s14, s14
	s_cbranch_execz .LBB18_1333
; %bb.1332:
	v_div_scale_f32 v1, null, v4, v4, 0x41000000
	v_div_scale_f32 v6, vcc_lo, 0x41000000, v4, 0x41000000
	s_mov_b32 s0, 0xa2d462ea
	v_rcp_f32_e32 v2, v1
	v_fma_f32 v5, -v1, v2, 1.0
	v_fmac_f32_e32 v2, v5, v2
	v_mul_f32_e32 v5, v6, v2
	v_fma_f32 v8, -v1, v5, v6
	v_fmac_f32_e32 v5, v8, v2
	v_mul_f32_e32 v8, 0xbfb8aa3b, v4
	v_fma_f32 v1, -v1, v5, v6
	v_mul_f32_e32 v6, 0x4f800000, v4
	v_rndne_f32_e32 v9, v8
	v_fma_f32 v10, 0xbfb8aa3b, v4, -v8
	v_div_fmas_f32 v1, v1, v2, v5
	v_cmp_gt_f32_e32 vcc_lo, 0xf800000, v4
	v_sub_f32_e32 v8, v8, v9
	v_fmamk_f32 v10, v4, 0xb2a5705f, v10
	v_cvt_i32_f32_e32 v9, v9
	v_div_fixup_f32 v1, v1, v4, 0x41000000
	v_cndmask_b32_e32 v6, v4, v6, vcc_lo
	v_add_f32_e32 v8, v8, v10
	v_add_f32_e32 v1, -2.0, v1
	v_sqrt_f32_e32 v11, v6
	v_exp_f32_e32 v8, v8
	v_fmaak_f32 v2, s0, v1, 0x23a578d4
	v_fmaak_f32 v5, v1, v2, 0x22d462ea
	v_add_nc_u32_e32 v10, -1, v11
	v_add_nc_u32_e32 v12, 1, v11
	v_add_f32_e32 v5, 0xa48330a9, v5
	v_fma_f32 v13, -v10, v11, v6
	v_fma_f32 v14, -v12, v11, v6
	v_fma_f32 v2, v1, v5, -v2
	v_cmp_ge_f32_e64 s0, 0, v13
	v_add_f32_e32 v2, 0x2553eaf2, v2
	v_cndmask_b32_e64 v10, v11, v10, s0
	v_cmp_lt_f32_e64 s0, 0, v14
	v_fma_f32 v5, v1, v2, -v5
	v_add_f32_e32 v5, 0xa62e951f, v5
	v_fma_f32 v2, v1, v5, -v2
	v_add_f32_e32 v2, 0x2712e76f, v2
	;; [unrolled: 2-line block ×20, first 2 shown]
	v_fma_f32 v1, v1, v2, -v5
	v_ldexp_f32 v2, v8, v9
	v_cndmask_b32_e64 v8, v10, v12, s0
	v_cmp_nlt_f32_e64 s0, 0x42ce8ed0, v4
	v_add_f32_e32 v1, 0x402e1ebd, v1
	v_mul_f32_e32 v9, 0x37800000, v8
	v_cndmask_b32_e64 v2, 0, v2, s0
	v_cmp_ngt_f32_e64 s0, 0xc2b17218, v4
	v_sub_f32_e32 v1, v1, v5
	v_cndmask_b32_e32 v4, v8, v9, vcc_lo
	v_cmp_class_f32_e64 vcc_lo, v6, 0x260
	v_cndmask_b32_e64 v2, 0x7f800000, v2, s0
	v_mul_f32_e32 v1, 0.5, v1
	v_cndmask_b32_e32 v4, v4, v6, vcc_lo
	v_mul_f32_e32 v1, v2, v1
	v_div_scale_f32 v2, null, v4, v4, v1
	v_rcp_f32_e32 v5, v2
	v_fma_f32 v6, -v2, v5, 1.0
	v_fmac_f32_e32 v5, v6, v5
	v_div_scale_f32 v6, vcc_lo, v1, v4, v1
	v_mul_f32_e32 v8, v6, v5
	v_fma_f32 v9, -v2, v8, v6
	v_fmac_f32_e32 v8, v9, v5
	v_fma_f32 v2, -v2, v8, v6
	v_div_fmas_f32 v2, v2, v5, v8
	v_div_fixup_f32 v2, v2, v4, v1
.LBB18_1333:
	s_or_b32 exec_lo, exec_lo, s14
.LBB18_1334:
	s_or_b32 exec_lo, exec_lo, s13
.LBB18_1335:
	s_or_b32 exec_lo, exec_lo, s12
	v_add_nc_u32_e32 v1, s3, v3
	s_cmp_lt_i32 s5, 11
	v_ashrrev_i32_e32 v4, 31, v1
	v_add_co_u32 v3, vcc_lo, s10, v1
	v_add_co_ci_u32_e64 v4, null, s11, v4, vcc_lo
	s_cbranch_scc1 .LBB18_1342
; %bb.1336:
	s_cmp_gt_i32 s5, 25
	s_mov_b32 s12, 0
	s_cbranch_scc0 .LBB18_1344
; %bb.1337:
	s_cmp_gt_i32 s5, 28
	s_cbranch_scc0 .LBB18_1345
; %bb.1338:
	s_cmp_gt_i32 s5, 43
	;; [unrolled: 3-line block ×3, first 2 shown]
	s_cbranch_scc0 .LBB18_1348
; %bb.1340:
	s_cmp_eq_u32 s5, 46
	s_mov_b32 s14, 0
	s_cbranch_scc0 .LBB18_1349
; %bb.1341:
	global_load_dword v5, v[3:4], off
	s_mov_b32 s0, 0
	s_mov_b32 s13, -1
	s_waitcnt vmcnt(0)
	v_lshlrev_b32_e32 v5, 16, v5
	s_branch .LBB18_1351
.LBB18_1342:
	s_mov_b32 s13, 0
                                        ; implicit-def: $vgpr5
	s_cbranch_execnz .LBB18_1417
.LBB18_1343:
	s_andn2_b32 vcc_lo, exec_lo, s13
	s_cbranch_vccnz .LBB18_1690
	s_branch .LBB18_1465
.LBB18_1344:
	s_mov_b32 s14, -1
	s_mov_b32 s13, 0
	s_mov_b32 s0, 0
                                        ; implicit-def: $vgpr5
	s_branch .LBB18_1380
.LBB18_1345:
	s_mov_b32 s14, -1
	s_mov_b32 s13, 0
	s_mov_b32 s0, 0
                                        ; implicit-def: $vgpr5
	s_branch .LBB18_1361
.LBB18_1346:
	s_mov_b32 s14, -1
	s_mov_b32 s13, 0
	s_mov_b32 s0, 0
                                        ; implicit-def: $vgpr5
	s_branch .LBB18_1356
.LBB18_1347:
	s_or_b32 s4, s4, exec_lo
	s_trap 2
	s_cbranch_execz .LBB18_1278
	s_branch .LBB18_1279
.LBB18_1348:
	s_mov_b32 s14, -1
	s_mov_b32 s13, 0
	s_mov_b32 s0, 0
	s_branch .LBB18_1350
.LBB18_1349:
	s_mov_b32 s0, -1
	s_mov_b32 s13, 0
.LBB18_1350:
                                        ; implicit-def: $vgpr5
.LBB18_1351:
	s_and_b32 vcc_lo, exec_lo, s14
	s_cbranch_vccz .LBB18_1355
; %bb.1352:
	s_cmp_eq_u32 s5, 44
	s_cbranch_scc0 .LBB18_1354
; %bb.1353:
	global_load_ubyte v5, v[3:4], off
	s_mov_b32 s0, 0
	s_mov_b32 s13, -1
	s_waitcnt vmcnt(0)
	v_lshlrev_b32_e32 v6, 23, v5
	v_cmp_ne_u32_e32 vcc_lo, 0xff, v5
	v_cndmask_b32_e32 v6, 0x7f800001, v6, vcc_lo
	v_cmp_ne_u32_e32 vcc_lo, 0, v5
	v_cndmask_b32_e32 v5, 0x400000, v6, vcc_lo
	s_branch .LBB18_1355
.LBB18_1354:
	s_mov_b32 s0, -1
                                        ; implicit-def: $vgpr5
.LBB18_1355:
	s_mov_b32 s14, 0
.LBB18_1356:
	s_and_b32 vcc_lo, exec_lo, s14
	s_cbranch_vccz .LBB18_1360
; %bb.1357:
	s_cmp_eq_u32 s5, 29
	s_cbranch_scc0 .LBB18_1359
; %bb.1358:
	global_load_dwordx2 v[5:6], v[3:4], off
	s_mov_b32 s0, 0
	s_mov_b32 s13, -1
	s_mov_b32 s14, 0
	s_waitcnt vmcnt(0)
	v_ffbh_u32_e32 v8, v6
	v_min_u32_e32 v8, 32, v8
	v_lshlrev_b64 v[5:6], v8, v[5:6]
	v_min_u32_e32 v5, 1, v5
	v_or_b32_e32 v5, v6, v5
	v_sub_nc_u32_e32 v6, 32, v8
	v_cvt_f32_u32_e32 v5, v5
	v_ldexp_f32 v5, v5, v6
	s_branch .LBB18_1361
.LBB18_1359:
	s_mov_b32 s0, -1
                                        ; implicit-def: $vgpr5
.LBB18_1360:
	s_mov_b32 s14, 0
.LBB18_1361:
	s_and_b32 vcc_lo, exec_lo, s14
	s_cbranch_vccz .LBB18_1379
; %bb.1362:
	s_cmp_lt_i32 s5, 27
	s_cbranch_scc1 .LBB18_1365
; %bb.1363:
	s_cmp_gt_i32 s5, 27
	s_cbranch_scc0 .LBB18_1366
; %bb.1364:
	global_load_dword v5, v[3:4], off
	s_mov_b32 s13, 0
	s_waitcnt vmcnt(0)
	v_cvt_f32_u32_e32 v5, v5
	s_branch .LBB18_1367
.LBB18_1365:
	s_mov_b32 s13, -1
                                        ; implicit-def: $vgpr5
	s_branch .LBB18_1370
.LBB18_1366:
	s_mov_b32 s13, -1
                                        ; implicit-def: $vgpr5
.LBB18_1367:
	s_andn2_b32 vcc_lo, exec_lo, s13
	s_cbranch_vccnz .LBB18_1369
; %bb.1368:
	global_load_ushort v5, v[3:4], off
	s_waitcnt vmcnt(0)
	v_cvt_f32_u32_e32 v5, v5
.LBB18_1369:
	s_mov_b32 s13, 0
.LBB18_1370:
	s_andn2_b32 vcc_lo, exec_lo, s13
	s_cbranch_vccnz .LBB18_1378
; %bb.1371:
	global_load_ubyte v6, v[3:4], off
	s_mov_b32 s13, 0
	s_mov_b32 s14, exec_lo
	s_waitcnt vmcnt(0)
	v_cmpx_lt_i16_e32 0x7f, v6
	s_xor_b32 s14, exec_lo, s14
	s_cbranch_execz .LBB18_1392
; %bb.1372:
	s_mov_b32 s13, -1
	s_mov_b32 s15, exec_lo
	v_cmpx_eq_u16_e32 0x80, v6
; %bb.1373:
	s_xor_b32 s13, exec_lo, -1
; %bb.1374:
	s_or_b32 exec_lo, exec_lo, s15
	s_and_b32 s13, s13, exec_lo
	s_or_saveexec_b32 s14, s14
	v_mov_b32_e32 v5, 0x7f800001
	s_xor_b32 exec_lo, exec_lo, s14
	s_cbranch_execnz .LBB18_1393
.LBB18_1375:
	s_or_b32 exec_lo, exec_lo, s14
	s_and_saveexec_b32 s14, s13
	s_cbranch_execz .LBB18_1377
.LBB18_1376:
	v_and_b32_e32 v5, 0xffff, v6
	v_lshlrev_b32_e32 v6, 24, v6
	v_and_b32_e32 v8, 7, v5
	v_bfe_u32 v11, v5, 3, 4
	v_and_b32_e32 v6, 0x80000000, v6
	v_ffbh_u32_e32 v9, v8
	v_cmp_eq_u32_e32 vcc_lo, 0, v11
	v_min_u32_e32 v9, 32, v9
	v_subrev_nc_u32_e32 v10, 28, v9
	v_sub_nc_u32_e32 v9, 29, v9
	v_lshlrev_b32_e32 v5, v10, v5
	v_cndmask_b32_e32 v9, v11, v9, vcc_lo
	v_and_b32_e32 v5, 7, v5
	v_cndmask_b32_e32 v5, v8, v5, vcc_lo
	v_lshl_add_u32 v8, v9, 23, 0x3b800000
	v_lshlrev_b32_e32 v5, 20, v5
	v_or3_b32 v5, v6, v8, v5
.LBB18_1377:
	s_or_b32 exec_lo, exec_lo, s14
.LBB18_1378:
	s_mov_b32 s13, -1
.LBB18_1379:
	s_mov_b32 s14, 0
.LBB18_1380:
	s_and_b32 vcc_lo, exec_lo, s14
	s_cbranch_vccz .LBB18_1413
; %bb.1381:
	s_cmp_gt_i32 s5, 22
	s_cbranch_scc0 .LBB18_1391
; %bb.1382:
	s_cmp_lt_i32 s5, 24
	s_cbranch_scc1 .LBB18_1394
; %bb.1383:
	s_cmp_gt_i32 s5, 24
	s_cbranch_scc0 .LBB18_1395
; %bb.1384:
	global_load_ubyte v6, v[3:4], off
	s_mov_b32 s13, exec_lo
	s_waitcnt vmcnt(0)
	v_cmpx_lt_i16_e32 0x7f, v6
	s_xor_b32 s13, exec_lo, s13
	s_cbranch_execz .LBB18_1407
; %bb.1385:
	s_mov_b32 s12, -1
	s_mov_b32 s14, exec_lo
	v_cmpx_eq_u16_e32 0x80, v6
; %bb.1386:
	s_xor_b32 s12, exec_lo, -1
; %bb.1387:
	s_or_b32 exec_lo, exec_lo, s14
	s_and_b32 s12, s12, exec_lo
	s_or_saveexec_b32 s13, s13
	v_mov_b32_e32 v5, 0x7f800001
	s_xor_b32 exec_lo, exec_lo, s13
	s_cbranch_execnz .LBB18_1408
.LBB18_1388:
	s_or_b32 exec_lo, exec_lo, s13
	s_and_saveexec_b32 s13, s12
	s_cbranch_execz .LBB18_1390
.LBB18_1389:
	v_and_b32_e32 v5, 0xffff, v6
	v_lshlrev_b32_e32 v6, 24, v6
	v_and_b32_e32 v8, 3, v5
	v_bfe_u32 v11, v5, 2, 5
	v_and_b32_e32 v6, 0x80000000, v6
	v_ffbh_u32_e32 v9, v8
	v_cmp_eq_u32_e32 vcc_lo, 0, v11
	v_min_u32_e32 v9, 32, v9
	v_subrev_nc_u32_e32 v10, 29, v9
	v_sub_nc_u32_e32 v9, 30, v9
	v_lshlrev_b32_e32 v5, v10, v5
	v_cndmask_b32_e32 v9, v11, v9, vcc_lo
	v_and_b32_e32 v5, 3, v5
	v_cndmask_b32_e32 v5, v8, v5, vcc_lo
	v_lshl_add_u32 v8, v9, 23, 0x37800000
	v_lshlrev_b32_e32 v5, 21, v5
	v_or3_b32 v5, v6, v8, v5
.LBB18_1390:
	s_or_b32 exec_lo, exec_lo, s13
	s_mov_b32 s12, 0
	s_branch .LBB18_1396
.LBB18_1391:
	s_mov_b32 s12, -1
                                        ; implicit-def: $vgpr5
	s_branch .LBB18_1402
.LBB18_1392:
	s_or_saveexec_b32 s14, s14
	v_mov_b32_e32 v5, 0x7f800001
	s_xor_b32 exec_lo, exec_lo, s14
	s_cbranch_execz .LBB18_1375
.LBB18_1393:
	v_cmp_ne_u16_e32 vcc_lo, 0, v6
	v_mov_b32_e32 v5, 0
	s_andn2_b32 s13, s13, exec_lo
	s_and_b32 s15, vcc_lo, exec_lo
	s_or_b32 s13, s13, s15
	s_or_b32 exec_lo, exec_lo, s14
	s_and_saveexec_b32 s14, s13
	s_cbranch_execnz .LBB18_1376
	s_branch .LBB18_1377
.LBB18_1394:
	s_mov_b32 s12, -1
                                        ; implicit-def: $vgpr5
	s_branch .LBB18_1399
.LBB18_1395:
	s_mov_b32 s12, -1
                                        ; implicit-def: $vgpr5
.LBB18_1396:
	s_and_b32 vcc_lo, exec_lo, s12
	s_cbranch_vccz .LBB18_1398
; %bb.1397:
	global_load_ubyte v5, v[3:4], off
	s_waitcnt vmcnt(0)
	v_lshlrev_b32_e32 v5, 24, v5
	v_and_b32_e32 v6, 0x7f000000, v5
	v_ffbh_u32_e32 v8, v6
	v_add_nc_u32_e32 v10, 0x1000000, v6
	v_cmp_ne_u32_e32 vcc_lo, 0, v6
	v_min_u32_e32 v8, 32, v8
	v_sub_nc_u32_e64 v8, v8, 4 clamp
	v_lshlrev_b32_e32 v9, v8, v6
	v_lshlrev_b32_e32 v8, 23, v8
	v_lshrrev_b32_e32 v9, 4, v9
	v_sub_nc_u32_e32 v8, v9, v8
	v_ashrrev_i32_e32 v9, 8, v10
	v_add_nc_u32_e32 v8, 0x3c000000, v8
	v_and_or_b32 v8, 0x7f800000, v9, v8
	v_cndmask_b32_e32 v6, 0, v8, vcc_lo
	v_and_or_b32 v5, 0x80000000, v5, v6
.LBB18_1398:
	s_mov_b32 s12, 0
.LBB18_1399:
	s_andn2_b32 vcc_lo, exec_lo, s12
	s_cbranch_vccnz .LBB18_1401
; %bb.1400:
	global_load_ubyte v5, v[3:4], off
	s_waitcnt vmcnt(0)
	v_lshlrev_b32_e32 v6, 25, v5
	v_lshlrev_b16 v5, 8, v5
	v_lshrrev_b32_e32 v8, 4, v6
	v_and_or_b32 v9, 0x7f00, v5, 0.5
	v_cmp_gt_u32_e32 vcc_lo, 0x8000000, v6
	v_bfe_i32 v5, v5, 0, 16
	v_or_b32_e32 v8, 0x70000000, v8
	v_add_f32_e32 v9, -0.5, v9
	v_mul_f32_e32 v8, 0x7800000, v8
	v_cndmask_b32_e32 v6, v8, v9, vcc_lo
	v_and_or_b32 v5, 0x80000000, v5, v6
.LBB18_1401:
	s_mov_b32 s12, 0
	s_mov_b32 s13, -1
.LBB18_1402:
	s_andn2_b32 vcc_lo, exec_lo, s12
	s_mov_b32 s12, 0
	s_cbranch_vccnz .LBB18_1413
; %bb.1403:
	s_cmp_gt_i32 s5, 14
	s_cbranch_scc0 .LBB18_1406
; %bb.1404:
	s_cmp_eq_u32 s5, 15
	s_cbranch_scc0 .LBB18_1409
; %bb.1405:
	global_load_ushort v5, v[3:4], off
	s_mov_b32 s0, 0
	s_mov_b32 s13, -1
	s_waitcnt vmcnt(0)
	v_lshlrev_b32_e32 v5, 16, v5
	s_branch .LBB18_1411
.LBB18_1406:
	s_mov_b32 s12, -1
	s_branch .LBB18_1410
.LBB18_1407:
	s_or_saveexec_b32 s13, s13
	v_mov_b32_e32 v5, 0x7f800001
	s_xor_b32 exec_lo, exec_lo, s13
	s_cbranch_execz .LBB18_1388
.LBB18_1408:
	v_cmp_ne_u16_e32 vcc_lo, 0, v6
	v_mov_b32_e32 v5, 0
	s_andn2_b32 s12, s12, exec_lo
	s_and_b32 s14, vcc_lo, exec_lo
	s_or_b32 s12, s12, s14
	s_or_b32 exec_lo, exec_lo, s13
	s_and_saveexec_b32 s13, s12
	s_cbranch_execnz .LBB18_1389
	s_branch .LBB18_1390
.LBB18_1409:
	s_mov_b32 s0, -1
.LBB18_1410:
                                        ; implicit-def: $vgpr5
.LBB18_1411:
	s_and_b32 vcc_lo, exec_lo, s12
	s_mov_b32 s12, 0
	s_cbranch_vccz .LBB18_1413
; %bb.1412:
	s_cmp_lg_u32 s5, 11
	s_mov_b32 s12, -1
	s_cselect_b32 s0, -1, 0
.LBB18_1413:
	s_and_b32 vcc_lo, exec_lo, s0
	s_cbranch_vccnz .LBB18_1484
; %bb.1414:
	s_andn2_b32 vcc_lo, exec_lo, s12
	s_cbranch_vccnz .LBB18_1416
.LBB18_1415:
	global_load_ubyte v5, v[3:4], off
	s_mov_b32 s13, -1
	s_waitcnt vmcnt(0)
	v_cmp_ne_u16_e32 vcc_lo, 0, v5
	v_cndmask_b32_e64 v5, 0, 1.0, vcc_lo
.LBB18_1416:
	s_branch .LBB18_1343
.LBB18_1417:
	s_cmp_lt_i32 s5, 5
	s_cbranch_scc1 .LBB18_1422
; %bb.1418:
	s_cmp_lt_i32 s5, 8
	s_cbranch_scc1 .LBB18_1423
; %bb.1419:
	;; [unrolled: 3-line block ×3, first 2 shown]
	s_cmp_gt_i32 s5, 9
	s_cbranch_scc0 .LBB18_1425
; %bb.1421:
	global_load_dwordx2 v[5:6], v[3:4], off
	s_mov_b32 s0, 0
	s_waitcnt vmcnt(0)
	v_cvt_f32_f64_e32 v5, v[5:6]
	s_branch .LBB18_1426
.LBB18_1422:
	s_mov_b32 s0, -1
                                        ; implicit-def: $vgpr5
	s_branch .LBB18_1444
.LBB18_1423:
	s_mov_b32 s0, -1
                                        ; implicit-def: $vgpr5
	s_branch .LBB18_1432
.LBB18_1424:
	s_mov_b32 s0, -1
                                        ; implicit-def: $vgpr5
	s_branch .LBB18_1429
.LBB18_1425:
	s_mov_b32 s0, -1
                                        ; implicit-def: $vgpr5
.LBB18_1426:
	s_andn2_b32 vcc_lo, exec_lo, s0
	s_cbranch_vccnz .LBB18_1428
; %bb.1427:
	global_load_dword v5, v[3:4], off
.LBB18_1428:
	s_mov_b32 s0, 0
.LBB18_1429:
	s_andn2_b32 vcc_lo, exec_lo, s0
	s_cbranch_vccnz .LBB18_1431
; %bb.1430:
	global_load_dword v5, v[3:4], off
	s_waitcnt vmcnt(0)
	v_cvt_f32_f16_e32 v5, v5
.LBB18_1431:
	s_mov_b32 s0, 0
.LBB18_1432:
	s_andn2_b32 vcc_lo, exec_lo, s0
	s_cbranch_vccnz .LBB18_1443
; %bb.1433:
	s_cmp_lt_i32 s5, 6
	s_cbranch_scc1 .LBB18_1436
; %bb.1434:
	s_cmp_gt_i32 s5, 6
	s_cbranch_scc0 .LBB18_1437
; %bb.1435:
	global_load_dwordx2 v[5:6], v[3:4], off
	s_mov_b32 s0, 0
	s_waitcnt vmcnt(0)
	v_cvt_f32_f64_e32 v5, v[5:6]
	s_branch .LBB18_1438
.LBB18_1436:
	s_mov_b32 s0, -1
                                        ; implicit-def: $vgpr5
	s_branch .LBB18_1441
.LBB18_1437:
	s_mov_b32 s0, -1
                                        ; implicit-def: $vgpr5
.LBB18_1438:
	s_andn2_b32 vcc_lo, exec_lo, s0
	s_cbranch_vccnz .LBB18_1440
; %bb.1439:
	global_load_dword v5, v[3:4], off
.LBB18_1440:
	s_mov_b32 s0, 0
.LBB18_1441:
	s_andn2_b32 vcc_lo, exec_lo, s0
	s_cbranch_vccnz .LBB18_1443
; %bb.1442:
	global_load_ushort v5, v[3:4], off
	s_waitcnt vmcnt(0)
	v_cvt_f32_f16_e32 v5, v5
.LBB18_1443:
	s_mov_b32 s0, 0
.LBB18_1444:
	s_andn2_b32 vcc_lo, exec_lo, s0
	s_cbranch_vccnz .LBB18_1464
; %bb.1445:
	s_cmp_lt_i32 s5, 2
	s_cbranch_scc1 .LBB18_1449
; %bb.1446:
	s_cmp_lt_i32 s5, 3
	s_cbranch_scc1 .LBB18_1450
; %bb.1447:
	s_cmp_gt_i32 s5, 3
	s_cbranch_scc0 .LBB18_1451
; %bb.1448:
	global_load_dwordx2 v[5:6], v[3:4], off
	s_mov_b32 s0, 0
	s_waitcnt vmcnt(0)
	v_xor_b32_e32 v8, v5, v6
	v_ffbh_i32_e32 v9, v6
	v_ashrrev_i32_e32 v8, 31, v8
	v_add_nc_u32_e32 v9, -1, v9
	v_add_nc_u32_e32 v8, 32, v8
	v_min_u32_e32 v8, v9, v8
	v_lshlrev_b64 v[5:6], v8, v[5:6]
	v_min_u32_e32 v5, 1, v5
	v_or_b32_e32 v5, v6, v5
	v_sub_nc_u32_e32 v6, 32, v8
	v_cvt_f32_i32_e32 v5, v5
	v_ldexp_f32 v5, v5, v6
	s_branch .LBB18_1452
.LBB18_1449:
	s_mov_b32 s0, -1
                                        ; implicit-def: $vgpr5
	s_branch .LBB18_1458
.LBB18_1450:
	s_mov_b32 s0, -1
                                        ; implicit-def: $vgpr5
	s_branch .LBB18_1455
.LBB18_1451:
	s_mov_b32 s0, -1
                                        ; implicit-def: $vgpr5
.LBB18_1452:
	s_andn2_b32 vcc_lo, exec_lo, s0
	s_cbranch_vccnz .LBB18_1454
; %bb.1453:
	global_load_dword v5, v[3:4], off
	s_waitcnt vmcnt(0)
	v_cvt_f32_i32_e32 v5, v5
.LBB18_1454:
	s_mov_b32 s0, 0
.LBB18_1455:
	s_andn2_b32 vcc_lo, exec_lo, s0
	s_cbranch_vccnz .LBB18_1457
; %bb.1456:
	global_load_sshort v5, v[3:4], off
	s_waitcnt vmcnt(0)
	v_cvt_f32_i32_e32 v5, v5
.LBB18_1457:
	s_mov_b32 s0, 0
.LBB18_1458:
	s_andn2_b32 vcc_lo, exec_lo, s0
	s_cbranch_vccnz .LBB18_1464
; %bb.1459:
	s_cmp_gt_i32 s5, 0
	s_mov_b32 s0, 0
	s_cbranch_scc0 .LBB18_1461
; %bb.1460:
	global_load_sbyte v5, v[3:4], off
	s_waitcnt vmcnt(0)
	v_cvt_f32_i32_e32 v5, v5
	s_branch .LBB18_1462
.LBB18_1461:
	s_mov_b32 s0, -1
                                        ; implicit-def: $vgpr5
.LBB18_1462:
	s_andn2_b32 vcc_lo, exec_lo, s0
	s_cbranch_vccnz .LBB18_1464
; %bb.1463:
	global_load_ubyte v3, v[3:4], off
	s_waitcnt vmcnt(0)
	v_cvt_f32_ubyte0_e32 v5, v3
.LBB18_1464:
.LBB18_1465:
	v_mov_b32_e32 v4, 0x7f800000
	s_mov_b32 s12, exec_lo
	s_waitcnt vmcnt(0)
	v_cmpx_neq_f32_e32 0, v5
	s_cbranch_execz .LBB18_1473
; %bb.1466:
	v_mov_b32_e32 v4, 0x7fc00000
	s_mov_b32 s13, exec_lo
	v_cmpx_ngt_f32_e32 0, v5
	s_cbranch_execz .LBB18_1472
; %bb.1467:
                                        ; implicit-def: $vgpr4
	s_mov_b32 s0, exec_lo
	v_cmpx_ge_f32_e32 2.0, v5
	s_xor_b32 s14, exec_lo, s0
	s_cbranch_execz .LBB18_1469
; %bb.1468:
	v_fma_f32 v3, v5, 0.5, -2.0
	s_mov_b32 s0, 0x224cf950
	v_fma_f32 v8, v5, v5, -2.0
	v_fmaak_f32 v4, s0, v3, 0xa3c2be86
	s_mov_b32 s0, 0xa3019142
	v_fmaak_f32 v9, s0, v8, 0xa72eea8c
	v_fmaak_f32 v6, v3, v4, 0xa24cf950
	;; [unrolled: 1-line block ×3, first 2 shown]
	v_add_f32_e32 v6, 0x25331f1f, v6
	v_add_f32_e32 v10, 0xab3ba817, v10
	v_fma_f32 v4, v3, v6, -v4
	v_fma_f32 v9, v8, v10, -v9
	v_add_f32_e32 v4, 0xa69f5554, v4
	v_add_f32_e32 v9, 0xaf1b31de, v9
	v_fma_f32 v6, v3, v4, -v6
	v_fma_f32 v10, v8, v9, -v10
	;; [unrolled: 4-line block ×8, first 2 shown]
	v_mul_f32_e32 v9, 0.5, v5
	v_add_f32_e32 v6, 0x2fc751a6, v6
	v_add_f32_e32 v8, 0x3fc33d0a, v8
	v_cmp_gt_f32_e32 vcc_lo, 0x800000, v9
	v_fma_f32 v4, v3, v6, -v4
	v_sub_f32_e32 v8, v8, v10
	v_mul_f32_e32 v10, 0x3fb8aa3b, v5
	v_add_f32_e32 v4, 0xb101b0d9, v4
	v_cndmask_b32_e64 v11, 0, 32, vcc_lo
	v_cndmask_b32_e64 v16, 0, 0x41b17218, vcc_lo
	v_mul_f32_e32 v8, 0.5, v8
	v_rndne_f32_e32 v12, v10
	v_fma_f32 v6, v3, v4, -v6
	v_fma_f32 v14, 0x3fb8aa3b, v5, -v10
	v_ldexp_f32 v9, v9, v11
	v_div_scale_f32 v13, null, v5, v5, v8
	v_add_f32_e32 v6, 0x32212c70, v6
	v_sub_f32_e32 v10, v10, v12
	v_fmamk_f32 v14, v5, 0x32a5705f, v14
	v_rcp_f32_e32 v11, v13
	v_log_f32_e32 v9, v9
	v_fma_f32 v4, v3, v6, -v4
	v_div_scale_f32 v15, s0, v8, v5, v8
	v_add_f32_e32 v10, v10, v14
	v_cmp_ngt_f32_e32 vcc_lo, 0xc2ce8ed0, v5
	v_add_f32_e32 v4, 0xb33ee9f1, v4
	v_exp_f32_e32 v10, v10
	v_fma_f32 v14, -v13, v11, 1.0
	v_fma_f32 v6, v3, v4, -v6
	v_fmac_f32_e32 v11, v14, v11
	v_add_f32_e32 v6, 0x34571a26, v6
	v_mul_f32_e32 v14, 0x3f317217, v9
	v_fma_f32 v4, v3, v6, -v4
	v_fma_f32 v14, 0x3f317217, v9, -v14
	v_add_f32_e32 v4, 0xb56603cc, v4
	v_fmamk_f32 v14, v9, 0x3377d1cf, v14
	v_fma_f32 v6, v3, v4, -v6
	v_fmac_f32_e32 v14, 0x3f317217, v9
	v_add_f32_e32 v6, 0x3668e277, v6
	v_fma_f32 v4, v3, v6, -v4
	v_add_f32_e32 v4, 0xb75eafce, v4
	v_fma_f32 v6, v3, v4, -v6
	;; [unrolled: 2-line block ×12, first 2 shown]
	v_cvt_i32_f32_e32 v4, v12
	v_mul_f32_e32 v12, v15, v11
	v_add_f32_e32 v3, 0x3e81531c, v3
	v_ldexp_f32 v4, v10, v4
	v_fma_f32 v10, -v13, v12, v15
	v_sub_f32_e32 v3, v3, v6
	v_cndmask_b32_e32 v4, 0, v4, vcc_lo
	v_cmp_nlt_f32_e32 vcc_lo, 0x42b17218, v5
	v_fmac_f32_e32 v12, v10, v11
	v_mul_f32_e32 v3, 0.5, v3
	v_cndmask_b32_e32 v4, 0x7f800000, v4, vcc_lo
	v_cmp_gt_f32_e64 vcc_lo, 0x7f800000, |v9|
	v_fma_f32 v6, -v13, v12, v15
	v_mul_f32_e32 v3, v5, v3
	v_cndmask_b32_e32 v9, v9, v14, vcc_lo
	s_mov_b32 vcc_lo, s0
	v_mul_f32_e32 v3, v4, v3
	v_div_fmas_f32 v6, v6, v11, v12
	v_sub_f32_e32 v9, v9, v16
	v_div_fixup_f32 v4, v6, v5, v8
                                        ; implicit-def: $vgpr5
	v_fmac_f32_e32 v4, v9, v3
.LBB18_1469:
	s_andn2_saveexec_b32 s14, s14
	s_cbranch_execz .LBB18_1471
; %bb.1470:
	v_div_scale_f32 v3, null, v5, v5, 0x41000000
	v_div_scale_f32 v8, vcc_lo, 0x41000000, v5, 0x41000000
	s_mov_b32 s0, 0xa2d462ea
	v_rcp_f32_e32 v4, v3
	v_fma_f32 v6, -v3, v4, 1.0
	v_fmac_f32_e32 v4, v6, v4
	v_mul_f32_e32 v6, v8, v4
	v_fma_f32 v9, -v3, v6, v8
	v_fmac_f32_e32 v6, v9, v4
	v_mul_f32_e32 v9, 0xbfb8aa3b, v5
	v_fma_f32 v3, -v3, v6, v8
	v_mul_f32_e32 v8, 0x4f800000, v5
	v_rndne_f32_e32 v10, v9
	v_fma_f32 v11, 0xbfb8aa3b, v5, -v9
	v_div_fmas_f32 v3, v3, v4, v6
	v_cmp_gt_f32_e32 vcc_lo, 0xf800000, v5
	v_sub_f32_e32 v9, v9, v10
	v_fmamk_f32 v11, v5, 0xb2a5705f, v11
	v_cvt_i32_f32_e32 v10, v10
	v_div_fixup_f32 v3, v3, v5, 0x41000000
	v_cndmask_b32_e32 v8, v5, v8, vcc_lo
	v_add_f32_e32 v9, v9, v11
	v_add_f32_e32 v3, -2.0, v3
	v_sqrt_f32_e32 v12, v8
	v_exp_f32_e32 v9, v9
	v_fmaak_f32 v4, s0, v3, 0x23a578d4
	v_fmaak_f32 v6, v3, v4, 0x22d462ea
	v_add_nc_u32_e32 v11, -1, v12
	v_add_nc_u32_e32 v13, 1, v12
	v_add_f32_e32 v6, 0xa48330a9, v6
	v_fma_f32 v14, -v11, v12, v8
	v_fma_f32 v15, -v13, v12, v8
	v_fma_f32 v4, v3, v6, -v4
	v_cmp_ge_f32_e64 s0, 0, v14
	v_add_f32_e32 v4, 0x2553eaf2, v4
	v_cndmask_b32_e64 v11, v12, v11, s0
	v_cmp_lt_f32_e64 s0, 0, v15
	v_fma_f32 v6, v3, v4, -v6
	v_add_f32_e32 v6, 0xa62e951f, v6
	v_fma_f32 v4, v3, v6, -v4
	v_add_f32_e32 v4, 0x2712e76f, v4
	;; [unrolled: 2-line block ×20, first 2 shown]
	v_fma_f32 v3, v3, v4, -v6
	v_ldexp_f32 v4, v9, v10
	v_cndmask_b32_e64 v9, v11, v13, s0
	v_cmp_nlt_f32_e64 s0, 0x42ce8ed0, v5
	v_add_f32_e32 v3, 0x402e1ebd, v3
	v_mul_f32_e32 v10, 0x37800000, v9
	v_cndmask_b32_e64 v4, 0, v4, s0
	v_cmp_ngt_f32_e64 s0, 0xc2b17218, v5
	v_sub_f32_e32 v3, v3, v6
	v_cndmask_b32_e32 v5, v9, v10, vcc_lo
	v_cmp_class_f32_e64 vcc_lo, v8, 0x260
	v_cndmask_b32_e64 v4, 0x7f800000, v4, s0
	v_mul_f32_e32 v3, 0.5, v3
	v_cndmask_b32_e32 v5, v5, v8, vcc_lo
	v_mul_f32_e32 v3, v4, v3
	v_div_scale_f32 v4, null, v5, v5, v3
	v_rcp_f32_e32 v6, v4
	v_fma_f32 v8, -v4, v6, 1.0
	v_fmac_f32_e32 v6, v8, v6
	v_div_scale_f32 v8, vcc_lo, v3, v5, v3
	v_mul_f32_e32 v9, v8, v6
	v_fma_f32 v10, -v4, v9, v8
	v_fmac_f32_e32 v9, v10, v6
	v_fma_f32 v4, -v4, v9, v8
	v_div_fmas_f32 v4, v4, v6, v9
	v_div_fixup_f32 v4, v4, v5, v3
.LBB18_1471:
	s_or_b32 exec_lo, exec_lo, s14
.LBB18_1472:
	s_or_b32 exec_lo, exec_lo, s13
.LBB18_1473:
	s_or_b32 exec_lo, exec_lo, s12
	v_add_nc_u32_e32 v1, s3, v1
	s_cmp_lt_i32 s5, 11
	v_ashrrev_i32_e32 v3, 31, v1
	v_add_co_u32 v5, vcc_lo, s10, v1
	v_add_co_ci_u32_e64 v6, null, s11, v3, vcc_lo
	s_cbranch_scc1 .LBB18_1480
; %bb.1474:
	s_cmp_gt_i32 s5, 25
	s_mov_b32 s3, 0
	s_cbranch_scc0 .LBB18_1481
; %bb.1475:
	s_cmp_gt_i32 s5, 28
	s_cbranch_scc0 .LBB18_1482
; %bb.1476:
	s_cmp_gt_i32 s5, 43
	s_cbranch_scc0 .LBB18_1483
; %bb.1477:
	s_cmp_gt_i32 s5, 45
	s_cbranch_scc0 .LBB18_1485
; %bb.1478:
	s_cmp_eq_u32 s5, 46
	s_mov_b32 s11, 0
	s_cbranch_scc0 .LBB18_1486
; %bb.1479:
	global_load_dword v1, v[5:6], off
	s_mov_b32 s0, 0
	s_mov_b32 s10, -1
	s_waitcnt vmcnt(0)
	v_lshlrev_b32_e32 v1, 16, v1
	s_branch .LBB18_1488
.LBB18_1480:
	s_mov_b32 s0, -1
	s_mov_b32 s10, 0
                                        ; implicit-def: $vgpr1
	s_branch .LBB18_1554
.LBB18_1481:
	s_mov_b32 s11, -1
	s_mov_b32 s10, 0
	s_mov_b32 s0, 0
                                        ; implicit-def: $vgpr1
	s_branch .LBB18_1517
.LBB18_1482:
	s_mov_b32 s11, -1
	s_mov_b32 s10, 0
	s_mov_b32 s0, 0
                                        ; implicit-def: $vgpr1
	s_branch .LBB18_1498
.LBB18_1483:
	s_mov_b32 s11, -1
	s_mov_b32 s10, 0
	s_mov_b32 s0, 0
                                        ; implicit-def: $vgpr1
	s_branch .LBB18_1493
.LBB18_1484:
	s_or_b32 s4, s4, exec_lo
	s_trap 2
	s_cbranch_execz .LBB18_1415
	s_branch .LBB18_1416
.LBB18_1485:
	s_mov_b32 s11, -1
	s_mov_b32 s10, 0
	s_mov_b32 s0, 0
	s_branch .LBB18_1487
.LBB18_1486:
	s_mov_b32 s0, -1
	s_mov_b32 s10, 0
.LBB18_1487:
                                        ; implicit-def: $vgpr1
.LBB18_1488:
	s_and_b32 vcc_lo, exec_lo, s11
	s_cbranch_vccz .LBB18_1492
; %bb.1489:
	s_cmp_eq_u32 s5, 44
	s_cbranch_scc0 .LBB18_1491
; %bb.1490:
	global_load_ubyte v1, v[5:6], off
	s_mov_b32 s0, 0
	s_mov_b32 s10, -1
	s_waitcnt vmcnt(0)
	v_lshlrev_b32_e32 v3, 23, v1
	v_cmp_ne_u32_e32 vcc_lo, 0xff, v1
	v_cndmask_b32_e32 v3, 0x7f800001, v3, vcc_lo
	v_cmp_ne_u32_e32 vcc_lo, 0, v1
	v_cndmask_b32_e32 v1, 0x400000, v3, vcc_lo
	s_branch .LBB18_1492
.LBB18_1491:
	s_mov_b32 s0, -1
                                        ; implicit-def: $vgpr1
.LBB18_1492:
	s_mov_b32 s11, 0
.LBB18_1493:
	s_and_b32 vcc_lo, exec_lo, s11
	s_cbranch_vccz .LBB18_1497
; %bb.1494:
	s_cmp_eq_u32 s5, 29
	s_cbranch_scc0 .LBB18_1496
; %bb.1495:
	global_load_dwordx2 v[8:9], v[5:6], off
	s_mov_b32 s0, 0
	s_mov_b32 s10, -1
	s_mov_b32 s11, 0
	s_waitcnt vmcnt(0)
	v_ffbh_u32_e32 v1, v9
	v_min_u32_e32 v1, 32, v1
	v_lshlrev_b64 v[8:9], v1, v[8:9]
	v_sub_nc_u32_e32 v1, 32, v1
	v_min_u32_e32 v3, 1, v8
	v_or_b32_e32 v3, v9, v3
	v_cvt_f32_u32_e32 v3, v3
	v_ldexp_f32 v1, v3, v1
	s_branch .LBB18_1498
.LBB18_1496:
	s_mov_b32 s0, -1
                                        ; implicit-def: $vgpr1
.LBB18_1497:
	s_mov_b32 s11, 0
.LBB18_1498:
	s_and_b32 vcc_lo, exec_lo, s11
	s_cbranch_vccz .LBB18_1516
; %bb.1499:
	s_cmp_lt_i32 s5, 27
	s_cbranch_scc1 .LBB18_1502
; %bb.1500:
	s_cmp_gt_i32 s5, 27
	s_cbranch_scc0 .LBB18_1503
; %bb.1501:
	global_load_dword v1, v[5:6], off
	s_mov_b32 s10, 0
	s_waitcnt vmcnt(0)
	v_cvt_f32_u32_e32 v1, v1
	s_branch .LBB18_1504
.LBB18_1502:
	s_mov_b32 s10, -1
                                        ; implicit-def: $vgpr1
	s_branch .LBB18_1507
.LBB18_1503:
	s_mov_b32 s10, -1
                                        ; implicit-def: $vgpr1
.LBB18_1504:
	s_andn2_b32 vcc_lo, exec_lo, s10
	s_cbranch_vccnz .LBB18_1506
; %bb.1505:
	global_load_ushort v1, v[5:6], off
	s_waitcnt vmcnt(0)
	v_cvt_f32_u32_e32 v1, v1
.LBB18_1506:
	s_mov_b32 s10, 0
.LBB18_1507:
	s_andn2_b32 vcc_lo, exec_lo, s10
	s_cbranch_vccnz .LBB18_1515
; %bb.1508:
	global_load_ubyte v3, v[5:6], off
	s_mov_b32 s10, 0
	s_mov_b32 s11, exec_lo
	s_waitcnt vmcnt(0)
	v_cmpx_lt_i16_e32 0x7f, v3
	s_xor_b32 s11, exec_lo, s11
	s_cbranch_execz .LBB18_1529
; %bb.1509:
	s_mov_b32 s10, -1
	s_mov_b32 s12, exec_lo
	v_cmpx_eq_u16_e32 0x80, v3
; %bb.1510:
	s_xor_b32 s10, exec_lo, -1
; %bb.1511:
	s_or_b32 exec_lo, exec_lo, s12
	s_and_b32 s10, s10, exec_lo
	s_or_saveexec_b32 s11, s11
	v_mov_b32_e32 v1, 0x7f800001
	s_xor_b32 exec_lo, exec_lo, s11
	s_cbranch_execnz .LBB18_1530
.LBB18_1512:
	s_or_b32 exec_lo, exec_lo, s11
	s_and_saveexec_b32 s11, s10
	s_cbranch_execz .LBB18_1514
.LBB18_1513:
	v_and_b32_e32 v1, 0xffff, v3
	v_lshlrev_b32_e32 v3, 24, v3
	v_and_b32_e32 v8, 7, v1
	v_bfe_u32 v11, v1, 3, 4
	v_and_b32_e32 v3, 0x80000000, v3
	v_ffbh_u32_e32 v9, v8
	v_cmp_eq_u32_e32 vcc_lo, 0, v11
	v_min_u32_e32 v9, 32, v9
	v_subrev_nc_u32_e32 v10, 28, v9
	v_sub_nc_u32_e32 v9, 29, v9
	v_lshlrev_b32_e32 v1, v10, v1
	v_cndmask_b32_e32 v9, v11, v9, vcc_lo
	v_and_b32_e32 v1, 7, v1
	v_cndmask_b32_e32 v1, v8, v1, vcc_lo
	v_lshl_add_u32 v8, v9, 23, 0x3b800000
	v_lshlrev_b32_e32 v1, 20, v1
	v_or3_b32 v1, v3, v8, v1
.LBB18_1514:
	s_or_b32 exec_lo, exec_lo, s11
.LBB18_1515:
	s_mov_b32 s10, -1
.LBB18_1516:
	s_mov_b32 s11, 0
.LBB18_1517:
	s_and_b32 vcc_lo, exec_lo, s11
	s_cbranch_vccz .LBB18_1550
; %bb.1518:
	s_cmp_gt_i32 s5, 22
	s_cbranch_scc0 .LBB18_1528
; %bb.1519:
	s_cmp_lt_i32 s5, 24
	s_cbranch_scc1 .LBB18_1531
; %bb.1520:
	s_cmp_gt_i32 s5, 24
	s_cbranch_scc0 .LBB18_1532
; %bb.1521:
	global_load_ubyte v3, v[5:6], off
	s_mov_b32 s10, exec_lo
	s_waitcnt vmcnt(0)
	v_cmpx_lt_i16_e32 0x7f, v3
	s_xor_b32 s10, exec_lo, s10
	s_cbranch_execz .LBB18_1544
; %bb.1522:
	s_mov_b32 s3, -1
	s_mov_b32 s11, exec_lo
	v_cmpx_eq_u16_e32 0x80, v3
; %bb.1523:
	s_xor_b32 s3, exec_lo, -1
; %bb.1524:
	s_or_b32 exec_lo, exec_lo, s11
	s_and_b32 s3, s3, exec_lo
	s_or_saveexec_b32 s10, s10
	v_mov_b32_e32 v1, 0x7f800001
	s_xor_b32 exec_lo, exec_lo, s10
	s_cbranch_execnz .LBB18_1545
.LBB18_1525:
	s_or_b32 exec_lo, exec_lo, s10
	s_and_saveexec_b32 s10, s3
	s_cbranch_execz .LBB18_1527
.LBB18_1526:
	v_and_b32_e32 v1, 0xffff, v3
	v_lshlrev_b32_e32 v3, 24, v3
	v_and_b32_e32 v8, 3, v1
	v_bfe_u32 v11, v1, 2, 5
	v_and_b32_e32 v3, 0x80000000, v3
	v_ffbh_u32_e32 v9, v8
	v_cmp_eq_u32_e32 vcc_lo, 0, v11
	v_min_u32_e32 v9, 32, v9
	v_subrev_nc_u32_e32 v10, 29, v9
	v_sub_nc_u32_e32 v9, 30, v9
	v_lshlrev_b32_e32 v1, v10, v1
	v_cndmask_b32_e32 v9, v11, v9, vcc_lo
	v_and_b32_e32 v1, 3, v1
	v_cndmask_b32_e32 v1, v8, v1, vcc_lo
	v_lshl_add_u32 v8, v9, 23, 0x37800000
	v_lshlrev_b32_e32 v1, 21, v1
	v_or3_b32 v1, v3, v8, v1
.LBB18_1527:
	s_or_b32 exec_lo, exec_lo, s10
	s_mov_b32 s3, 0
	s_branch .LBB18_1533
.LBB18_1528:
	s_mov_b32 s3, -1
                                        ; implicit-def: $vgpr1
	s_branch .LBB18_1539
.LBB18_1529:
	s_or_saveexec_b32 s11, s11
	v_mov_b32_e32 v1, 0x7f800001
	s_xor_b32 exec_lo, exec_lo, s11
	s_cbranch_execz .LBB18_1512
.LBB18_1530:
	v_cmp_ne_u16_e32 vcc_lo, 0, v3
	v_mov_b32_e32 v1, 0
	s_andn2_b32 s10, s10, exec_lo
	s_and_b32 s12, vcc_lo, exec_lo
	s_or_b32 s10, s10, s12
	s_or_b32 exec_lo, exec_lo, s11
	s_and_saveexec_b32 s11, s10
	s_cbranch_execnz .LBB18_1513
	s_branch .LBB18_1514
.LBB18_1531:
	s_mov_b32 s3, -1
                                        ; implicit-def: $vgpr1
	s_branch .LBB18_1536
.LBB18_1532:
	s_mov_b32 s3, -1
                                        ; implicit-def: $vgpr1
.LBB18_1533:
	s_and_b32 vcc_lo, exec_lo, s3
	s_cbranch_vccz .LBB18_1535
; %bb.1534:
	global_load_ubyte v1, v[5:6], off
	s_waitcnt vmcnt(0)
	v_lshlrev_b32_e32 v1, 24, v1
	v_and_b32_e32 v3, 0x7f000000, v1
	v_ffbh_u32_e32 v8, v3
	v_add_nc_u32_e32 v10, 0x1000000, v3
	v_cmp_ne_u32_e32 vcc_lo, 0, v3
	v_min_u32_e32 v8, 32, v8
	v_sub_nc_u32_e64 v8, v8, 4 clamp
	v_lshlrev_b32_e32 v9, v8, v3
	v_lshlrev_b32_e32 v8, 23, v8
	v_lshrrev_b32_e32 v9, 4, v9
	v_sub_nc_u32_e32 v8, v9, v8
	v_ashrrev_i32_e32 v9, 8, v10
	v_add_nc_u32_e32 v8, 0x3c000000, v8
	v_and_or_b32 v8, 0x7f800000, v9, v8
	v_cndmask_b32_e32 v3, 0, v8, vcc_lo
	v_and_or_b32 v1, 0x80000000, v1, v3
.LBB18_1535:
	s_mov_b32 s3, 0
.LBB18_1536:
	s_andn2_b32 vcc_lo, exec_lo, s3
	s_cbranch_vccnz .LBB18_1538
; %bb.1537:
	global_load_ubyte v1, v[5:6], off
	s_waitcnt vmcnt(0)
	v_lshlrev_b32_e32 v3, 25, v1
	v_lshlrev_b16 v1, 8, v1
	v_lshrrev_b32_e32 v8, 4, v3
	v_and_or_b32 v9, 0x7f00, v1, 0.5
	v_cmp_gt_u32_e32 vcc_lo, 0x8000000, v3
	v_bfe_i32 v1, v1, 0, 16
	v_or_b32_e32 v8, 0x70000000, v8
	v_add_f32_e32 v9, -0.5, v9
	v_mul_f32_e32 v8, 0x7800000, v8
	v_cndmask_b32_e32 v3, v8, v9, vcc_lo
	v_and_or_b32 v1, 0x80000000, v1, v3
.LBB18_1538:
	s_mov_b32 s3, 0
	s_mov_b32 s10, -1
.LBB18_1539:
	s_andn2_b32 vcc_lo, exec_lo, s3
	s_mov_b32 s3, 0
	s_cbranch_vccnz .LBB18_1550
; %bb.1540:
	s_cmp_gt_i32 s5, 14
	s_cbranch_scc0 .LBB18_1543
; %bb.1541:
	s_cmp_eq_u32 s5, 15
	s_cbranch_scc0 .LBB18_1546
; %bb.1542:
	global_load_ushort v1, v[5:6], off
	s_mov_b32 s0, 0
	s_mov_b32 s10, -1
	s_waitcnt vmcnt(0)
	v_lshlrev_b32_e32 v1, 16, v1
	s_branch .LBB18_1548
.LBB18_1543:
	s_mov_b32 s3, -1
	s_branch .LBB18_1547
.LBB18_1544:
	s_or_saveexec_b32 s10, s10
	v_mov_b32_e32 v1, 0x7f800001
	s_xor_b32 exec_lo, exec_lo, s10
	s_cbranch_execz .LBB18_1525
.LBB18_1545:
	v_cmp_ne_u16_e32 vcc_lo, 0, v3
	v_mov_b32_e32 v1, 0
	s_andn2_b32 s3, s3, exec_lo
	s_and_b32 s11, vcc_lo, exec_lo
	s_or_b32 s3, s3, s11
	s_or_b32 exec_lo, exec_lo, s10
	s_and_saveexec_b32 s10, s3
	s_cbranch_execnz .LBB18_1526
	s_branch .LBB18_1527
.LBB18_1546:
	s_mov_b32 s0, -1
.LBB18_1547:
                                        ; implicit-def: $vgpr1
.LBB18_1548:
	s_and_b32 vcc_lo, exec_lo, s3
	s_mov_b32 s3, 0
	s_cbranch_vccz .LBB18_1550
; %bb.1549:
	s_cmp_lg_u32 s5, 11
	s_mov_b32 s3, -1
	s_cselect_b32 s0, -1, 0
.LBB18_1550:
	s_and_b32 vcc_lo, exec_lo, s0
	s_cbranch_vccnz .LBB18_2092
; %bb.1551:
	s_andn2_b32 vcc_lo, exec_lo, s3
	s_cbranch_vccnz .LBB18_1553
.LBB18_1552:
	global_load_ubyte v1, v[5:6], off
	s_mov_b32 s10, -1
	s_waitcnt vmcnt(0)
	v_cmp_ne_u16_e32 vcc_lo, 0, v1
	v_cndmask_b32_e64 v1, 0, 1.0, vcc_lo
.LBB18_1553:
	s_mov_b32 s0, 0
.LBB18_1554:
	s_and_b32 vcc_lo, exec_lo, s0
	s_cbranch_vccz .LBB18_1603
; %bb.1555:
	s_cmp_lt_i32 s5, 5
	s_cbranch_scc1 .LBB18_1560
; %bb.1556:
	s_cmp_lt_i32 s5, 8
	s_cbranch_scc1 .LBB18_1561
	;; [unrolled: 3-line block ×3, first 2 shown]
; %bb.1558:
	s_cmp_gt_i32 s5, 9
	s_cbranch_scc0 .LBB18_1563
; %bb.1559:
	global_load_dwordx2 v[8:9], v[5:6], off
	s_mov_b32 s0, 0
	s_waitcnt vmcnt(0)
	v_cvt_f32_f64_e32 v1, v[8:9]
	s_branch .LBB18_1564
.LBB18_1560:
	s_mov_b32 s0, -1
                                        ; implicit-def: $vgpr1
	s_branch .LBB18_1582
.LBB18_1561:
	s_mov_b32 s0, -1
                                        ; implicit-def: $vgpr1
	s_branch .LBB18_1570
.LBB18_1562:
	s_mov_b32 s0, -1
                                        ; implicit-def: $vgpr1
	s_branch .LBB18_1567
.LBB18_1563:
	s_mov_b32 s0, -1
                                        ; implicit-def: $vgpr1
.LBB18_1564:
	s_andn2_b32 vcc_lo, exec_lo, s0
	s_cbranch_vccnz .LBB18_1566
; %bb.1565:
	global_load_dword v1, v[5:6], off
.LBB18_1566:
	s_mov_b32 s0, 0
.LBB18_1567:
	s_andn2_b32 vcc_lo, exec_lo, s0
	s_cbranch_vccnz .LBB18_1569
; %bb.1568:
	global_load_dword v1, v[5:6], off
	s_waitcnt vmcnt(0)
	v_cvt_f32_f16_e32 v1, v1
.LBB18_1569:
	s_mov_b32 s0, 0
.LBB18_1570:
	s_andn2_b32 vcc_lo, exec_lo, s0
	s_cbranch_vccnz .LBB18_1581
; %bb.1571:
	s_cmp_lt_i32 s5, 6
	s_cbranch_scc1 .LBB18_1574
; %bb.1572:
	s_cmp_gt_i32 s5, 6
	s_cbranch_scc0 .LBB18_1575
; %bb.1573:
	global_load_dwordx2 v[8:9], v[5:6], off
	s_mov_b32 s0, 0
	s_waitcnt vmcnt(0)
	v_cvt_f32_f64_e32 v1, v[8:9]
	s_branch .LBB18_1576
.LBB18_1574:
	s_mov_b32 s0, -1
                                        ; implicit-def: $vgpr1
	s_branch .LBB18_1579
.LBB18_1575:
	s_mov_b32 s0, -1
                                        ; implicit-def: $vgpr1
.LBB18_1576:
	s_andn2_b32 vcc_lo, exec_lo, s0
	s_cbranch_vccnz .LBB18_1578
; %bb.1577:
	global_load_dword v1, v[5:6], off
.LBB18_1578:
	s_mov_b32 s0, 0
.LBB18_1579:
	s_andn2_b32 vcc_lo, exec_lo, s0
	s_cbranch_vccnz .LBB18_1581
; %bb.1580:
	global_load_ushort v1, v[5:6], off
	s_waitcnt vmcnt(0)
	v_cvt_f32_f16_e32 v1, v1
.LBB18_1581:
	s_mov_b32 s0, 0
.LBB18_1582:
	s_andn2_b32 vcc_lo, exec_lo, s0
	s_cbranch_vccnz .LBB18_1602
; %bb.1583:
	s_cmp_lt_i32 s5, 2
	s_cbranch_scc1 .LBB18_1587
; %bb.1584:
	s_cmp_lt_i32 s5, 3
	s_cbranch_scc1 .LBB18_1588
; %bb.1585:
	s_cmp_gt_i32 s5, 3
	s_cbranch_scc0 .LBB18_1589
; %bb.1586:
	global_load_dwordx2 v[8:9], v[5:6], off
	s_mov_b32 s0, 0
	s_waitcnt vmcnt(0)
	v_xor_b32_e32 v1, v8, v9
	v_ffbh_i32_e32 v3, v9
	v_ashrrev_i32_e32 v1, 31, v1
	v_add_nc_u32_e32 v3, -1, v3
	v_add_nc_u32_e32 v1, 32, v1
	v_min_u32_e32 v1, v3, v1
	v_lshlrev_b64 v[8:9], v1, v[8:9]
	v_sub_nc_u32_e32 v1, 32, v1
	v_min_u32_e32 v3, 1, v8
	v_or_b32_e32 v3, v9, v3
	v_cvt_f32_i32_e32 v3, v3
	v_ldexp_f32 v1, v3, v1
	s_branch .LBB18_1590
.LBB18_1587:
	s_mov_b32 s0, -1
                                        ; implicit-def: $vgpr1
	s_branch .LBB18_1596
.LBB18_1588:
	s_mov_b32 s0, -1
                                        ; implicit-def: $vgpr1
	s_branch .LBB18_1593
.LBB18_1589:
	s_mov_b32 s0, -1
                                        ; implicit-def: $vgpr1
.LBB18_1590:
	s_andn2_b32 vcc_lo, exec_lo, s0
	s_cbranch_vccnz .LBB18_1592
; %bb.1591:
	global_load_dword v1, v[5:6], off
	s_waitcnt vmcnt(0)
	v_cvt_f32_i32_e32 v1, v1
.LBB18_1592:
	s_mov_b32 s0, 0
.LBB18_1593:
	s_andn2_b32 vcc_lo, exec_lo, s0
	s_cbranch_vccnz .LBB18_1595
; %bb.1594:
	global_load_sshort v1, v[5:6], off
	s_waitcnt vmcnt(0)
	v_cvt_f32_i32_e32 v1, v1
.LBB18_1595:
	s_mov_b32 s0, 0
.LBB18_1596:
	s_andn2_b32 vcc_lo, exec_lo, s0
	s_cbranch_vccnz .LBB18_1602
; %bb.1597:
	s_cmp_gt_i32 s5, 0
	s_mov_b32 s0, 0
	s_cbranch_scc0 .LBB18_1599
; %bb.1598:
	global_load_sbyte v1, v[5:6], off
	s_waitcnt vmcnt(0)
	v_cvt_f32_i32_e32 v1, v1
	s_branch .LBB18_1600
.LBB18_1599:
	s_mov_b32 s0, -1
                                        ; implicit-def: $vgpr1
.LBB18_1600:
	s_andn2_b32 vcc_lo, exec_lo, s0
	s_cbranch_vccnz .LBB18_1602
; %bb.1601:
	global_load_ubyte v1, v[5:6], off
	s_waitcnt vmcnt(0)
	v_cvt_f32_ubyte0_e32 v1, v1
.LBB18_1602:
	s_mov_b32 s10, -1
.LBB18_1603:
	s_andn2_b32 vcc_lo, exec_lo, s10
	s_cbranch_vccnz .LBB18_1690
; %bb.1604:
	v_mov_b32_e32 v6, 0x7f800000
	s_mov_b32 s3, exec_lo
	s_waitcnt vmcnt(0)
	v_cmpx_neq_f32_e32 0, v1
	s_cbranch_execz .LBB18_1612
; %bb.1605:
	v_mov_b32_e32 v6, 0x7fc00000
	s_mov_b32 s5, exec_lo
	v_cmpx_ngt_f32_e32 0, v1
	s_cbranch_execz .LBB18_1611
; %bb.1606:
                                        ; implicit-def: $vgpr6
	s_mov_b32 s0, exec_lo
	v_cmpx_ge_f32_e32 2.0, v1
	s_xor_b32 s10, exec_lo, s0
	s_cbranch_execz .LBB18_1608
; %bb.1607:
	v_fma_f32 v3, v1, 0.5, -2.0
	s_mov_b32 s0, 0x224cf950
	v_fma_f32 v8, v1, v1, -2.0
	v_fmaak_f32 v5, s0, v3, 0xa3c2be86
	s_mov_b32 s0, 0xa3019142
	v_fmaak_f32 v9, s0, v8, 0xa72eea8c
	v_fmaak_f32 v6, v3, v5, 0xa24cf950
	;; [unrolled: 1-line block ×3, first 2 shown]
	v_add_f32_e32 v6, 0x25331f1f, v6
	v_add_f32_e32 v10, 0xab3ba817, v10
	v_fma_f32 v5, v3, v6, -v5
	v_fma_f32 v9, v8, v10, -v9
	v_add_f32_e32 v5, 0xa69f5554, v5
	v_add_f32_e32 v9, 0xaf1b31de, v9
	v_fma_f32 v6, v3, v5, -v6
	v_fma_f32 v10, v8, v9, -v10
	;; [unrolled: 4-line block ×8, first 2 shown]
	v_mul_f32_e32 v9, 0.5, v1
	v_add_f32_e32 v6, 0x2fc751a6, v6
	v_add_f32_e32 v8, 0x3fc33d0a, v8
	v_cmp_gt_f32_e32 vcc_lo, 0x800000, v9
	v_fma_f32 v5, v3, v6, -v5
	v_sub_f32_e32 v8, v8, v10
	v_mul_f32_e32 v10, 0x3fb8aa3b, v1
	v_add_f32_e32 v5, 0xb101b0d9, v5
	v_cndmask_b32_e64 v11, 0, 32, vcc_lo
	v_cndmask_b32_e64 v16, 0, 0x41b17218, vcc_lo
	v_mul_f32_e32 v8, 0.5, v8
	v_rndne_f32_e32 v12, v10
	v_fma_f32 v6, v3, v5, -v6
	v_fma_f32 v14, 0x3fb8aa3b, v1, -v10
	v_ldexp_f32 v9, v9, v11
	v_div_scale_f32 v13, null, v1, v1, v8
	v_add_f32_e32 v6, 0x32212c70, v6
	v_sub_f32_e32 v10, v10, v12
	v_fmamk_f32 v14, v1, 0x32a5705f, v14
	v_rcp_f32_e32 v11, v13
	v_log_f32_e32 v9, v9
	v_fma_f32 v5, v3, v6, -v5
	v_div_scale_f32 v15, s0, v8, v1, v8
	v_add_f32_e32 v10, v10, v14
	v_cmp_ngt_f32_e32 vcc_lo, 0xc2ce8ed0, v1
	v_add_f32_e32 v5, 0xb33ee9f1, v5
	v_exp_f32_e32 v10, v10
	v_fma_f32 v14, -v13, v11, 1.0
	v_fma_f32 v6, v3, v5, -v6
	v_fmac_f32_e32 v11, v14, v11
	v_add_f32_e32 v6, 0x34571a26, v6
	v_mul_f32_e32 v14, 0x3f317217, v9
	v_fma_f32 v5, v3, v6, -v5
	v_fma_f32 v14, 0x3f317217, v9, -v14
	v_add_f32_e32 v5, 0xb56603cc, v5
	v_fmamk_f32 v14, v9, 0x3377d1cf, v14
	v_fma_f32 v6, v3, v5, -v6
	v_fmac_f32_e32 v14, 0x3f317217, v9
	v_add_f32_e32 v6, 0x3668e277, v6
	v_fma_f32 v5, v3, v6, -v5
	v_add_f32_e32 v5, 0xb75eafce, v5
	v_fma_f32 v6, v3, v5, -v6
	;; [unrolled: 2-line block ×12, first 2 shown]
	v_cvt_i32_f32_e32 v5, v12
	v_mul_f32_e32 v12, v15, v11
	v_add_f32_e32 v3, 0x3e81531c, v3
	v_ldexp_f32 v5, v10, v5
	v_fma_f32 v10, -v13, v12, v15
	v_sub_f32_e32 v3, v3, v6
	v_cndmask_b32_e32 v5, 0, v5, vcc_lo
	v_cmp_nlt_f32_e32 vcc_lo, 0x42b17218, v1
	v_fmac_f32_e32 v12, v10, v11
	v_mul_f32_e32 v3, 0.5, v3
	v_cndmask_b32_e32 v5, 0x7f800000, v5, vcc_lo
	v_cmp_gt_f32_e64 vcc_lo, 0x7f800000, |v9|
	v_fma_f32 v6, -v13, v12, v15
	v_mul_f32_e32 v3, v1, v3
	v_cndmask_b32_e32 v9, v9, v14, vcc_lo
	s_mov_b32 vcc_lo, s0
	v_mul_f32_e32 v3, v5, v3
	v_div_fmas_f32 v6, v6, v11, v12
	v_sub_f32_e32 v9, v9, v16
	v_div_fixup_f32 v6, v6, v1, v8
                                        ; implicit-def: $vgpr1
	v_fmac_f32_e32 v6, v9, v3
.LBB18_1608:
	s_andn2_saveexec_b32 s10, s10
	s_cbranch_execz .LBB18_1610
; %bb.1609:
	v_div_scale_f32 v3, null, v1, v1, 0x41000000
	v_div_scale_f32 v8, vcc_lo, 0x41000000, v1, 0x41000000
	s_mov_b32 s0, 0xa2d462ea
	v_rcp_f32_e32 v5, v3
	v_fma_f32 v6, -v3, v5, 1.0
	v_fmac_f32_e32 v5, v6, v5
	v_mul_f32_e32 v6, v8, v5
	v_fma_f32 v9, -v3, v6, v8
	v_fmac_f32_e32 v6, v9, v5
	v_mul_f32_e32 v9, 0xbfb8aa3b, v1
	v_fma_f32 v3, -v3, v6, v8
	v_mul_f32_e32 v8, 0x4f800000, v1
	v_rndne_f32_e32 v10, v9
	v_fma_f32 v11, 0xbfb8aa3b, v1, -v9
	v_div_fmas_f32 v3, v3, v5, v6
	v_cmp_gt_f32_e32 vcc_lo, 0xf800000, v1
	v_sub_f32_e32 v9, v9, v10
	v_fmamk_f32 v11, v1, 0xb2a5705f, v11
	v_cvt_i32_f32_e32 v10, v10
	v_div_fixup_f32 v3, v3, v1, 0x41000000
	v_cndmask_b32_e32 v8, v1, v8, vcc_lo
	v_add_f32_e32 v9, v9, v11
	v_add_f32_e32 v3, -2.0, v3
	v_sqrt_f32_e32 v12, v8
	v_exp_f32_e32 v9, v9
	v_fmaak_f32 v5, s0, v3, 0x23a578d4
	v_fmaak_f32 v6, v3, v5, 0x22d462ea
	v_add_nc_u32_e32 v11, -1, v12
	v_add_nc_u32_e32 v13, 1, v12
	v_add_f32_e32 v6, 0xa48330a9, v6
	v_fma_f32 v14, -v11, v12, v8
	v_fma_f32 v15, -v13, v12, v8
	v_fma_f32 v5, v3, v6, -v5
	v_cmp_ge_f32_e64 s0, 0, v14
	v_add_f32_e32 v5, 0x2553eaf2, v5
	v_cndmask_b32_e64 v11, v12, v11, s0
	v_cmp_lt_f32_e64 s0, 0, v15
	v_fma_f32 v6, v3, v5, -v6
	v_add_f32_e32 v6, 0xa62e951f, v6
	v_fma_f32 v5, v3, v6, -v5
	v_add_f32_e32 v5, 0x2712e76f, v5
	;; [unrolled: 2-line block ×20, first 2 shown]
	v_fma_f32 v3, v3, v5, -v6
	v_ldexp_f32 v5, v9, v10
	v_cndmask_b32_e64 v9, v11, v13, s0
	v_cmp_nlt_f32_e64 s0, 0x42ce8ed0, v1
	v_add_f32_e32 v3, 0x402e1ebd, v3
	v_mul_f32_e32 v10, 0x37800000, v9
	v_cndmask_b32_e64 v5, 0, v5, s0
	v_cmp_ngt_f32_e64 s0, 0xc2b17218, v1
	v_sub_f32_e32 v3, v3, v6
	v_cndmask_b32_e64 v1, 0x7f800000, v5, s0
	v_cndmask_b32_e32 v5, v9, v10, vcc_lo
	v_mul_f32_e32 v3, 0.5, v3
	v_cmp_class_f32_e64 vcc_lo, v8, 0x260
	v_mul_f32_e32 v1, v1, v3
	v_cndmask_b32_e32 v5, v5, v8, vcc_lo
	v_div_scale_f32 v3, null, v5, v5, v1
	v_rcp_f32_e32 v6, v3
	v_fma_f32 v8, -v3, v6, 1.0
	v_fmac_f32_e32 v6, v8, v6
	v_div_scale_f32 v8, vcc_lo, v1, v5, v1
	v_mul_f32_e32 v9, v8, v6
	v_fma_f32 v10, -v3, v9, v8
	v_fmac_f32_e32 v9, v10, v6
	v_fma_f32 v3, -v3, v9, v8
	v_div_fmas_f32 v3, v3, v6, v9
	v_div_fixup_f32 v6, v3, v5, v1
.LBB18_1610:
	s_or_b32 exec_lo, exec_lo, s10
.LBB18_1611:
	s_or_b32 exec_lo, exec_lo, s5
.LBB18_1612:
	s_or_b32 exec_lo, exec_lo, s3
	v_mul_lo_u32 v3, s2, v7
	s_and_b32 s12, s1, 0xff
	s_cmp_lt_i32 s12, 11
	v_ashrrev_i32_e32 v1, 31, v3
	v_add_co_u32 v7, vcc_lo, s8, v3
	v_add_co_ci_u32_e64 v8, null, s9, v1, vcc_lo
	s_cbranch_scc1 .LBB18_1735
; %bb.1613:
	s_and_b32 s1, 0xffff, s12
	s_mov_b32 s10, -1
	s_mov_b32 s3, 0
	s_cmp_gt_i32 s1, 25
	s_mov_b32 s5, 0
	s_mov_b32 s0, 0
	s_cbranch_scc0 .LBB18_1646
; %bb.1614:
	s_cmp_gt_i32 s1, 28
	s_cbranch_scc0 .LBB18_1629
; %bb.1615:
	s_cmp_gt_i32 s1, 43
	;; [unrolled: 3-line block ×3, first 2 shown]
	s_cbranch_scc0 .LBB18_1619
; %bb.1617:
	s_mov_b32 s0, -1
	s_mov_b32 s10, 0
	s_cmp_eq_u32 s1, 46
	s_cbranch_scc0 .LBB18_1619
; %bb.1618:
	v_bfe_u32 v1, v0, 16, 1
	v_cmp_o_f32_e32 vcc_lo, v0, v0
	v_mov_b32_e32 v5, 0x7fc0
	s_mov_b32 s0, 0
	s_mov_b32 s5, -1
	v_add3_u32 v1, v0, v1, 0x7fff
	v_cndmask_b32_sdwa v1, v5, v1, vcc_lo dst_sel:DWORD dst_unused:UNUSED_PAD src0_sel:DWORD src1_sel:WORD_1
	global_store_dword v[7:8], v1, off
.LBB18_1619:
	s_and_b32 vcc_lo, exec_lo, s10
	s_cbranch_vccz .LBB18_1624
; %bb.1620:
	s_cmp_eq_u32 s1, 44
	s_mov_b32 s0, -1
	s_cbranch_scc0 .LBB18_1624
; %bb.1621:
	v_bfe_u32 v5, v0, 23, 8
	v_mov_b32_e32 v1, 0xff
	s_mov_b32 s5, exec_lo
	v_cmpx_ne_u32_e32 0xff, v5
	s_cbranch_execz .LBB18_1623
; %bb.1622:
	v_and_b32_e32 v1, 0x400000, v0
	v_and_or_b32 v5, 0x3fffff, v0, v5
	v_cmp_ne_u32_e32 vcc_lo, 0, v1
	v_cmp_ne_u32_e64 s0, 0, v5
	v_lshrrev_b32_e32 v1, 23, v0
	s_and_b32 s0, vcc_lo, s0
	v_cndmask_b32_e64 v5, 0, 1, s0
	v_add_nc_u32_e32 v1, v1, v5
.LBB18_1623:
	s_or_b32 exec_lo, exec_lo, s5
	s_mov_b32 s0, 0
	s_mov_b32 s5, -1
	global_store_byte v[7:8], v1, off
.LBB18_1624:
	s_mov_b32 s10, 0
.LBB18_1625:
	s_and_b32 vcc_lo, exec_lo, s10
	s_cbranch_vccz .LBB18_1628
; %bb.1626:
	s_cmp_eq_u32 s1, 29
	s_mov_b32 s0, -1
	s_cbranch_scc0 .LBB18_1628
; %bb.1627:
	v_trunc_f32_e32 v1, v0
	s_mov_b32 s0, 0
	s_mov_b32 s5, -1
	v_mul_f32_e32 v5, 0x2f800000, v1
	v_floor_f32_e32 v5, v5
	v_fmamk_f32 v1, v5, 0xcf800000, v1
	v_cvt_u32_f32_e32 v10, v5
	v_cvt_u32_f32_e32 v9, v1
	global_store_dwordx2 v[7:8], v[9:10], off
.LBB18_1628:
	s_mov_b32 s10, 0
.LBB18_1629:
	s_and_b32 vcc_lo, exec_lo, s10
	s_cbranch_vccz .LBB18_1645
; %bb.1630:
	s_cmp_lt_i32 s1, 27
	s_mov_b32 s5, -1
	s_cbranch_scc1 .LBB18_1636
; %bb.1631:
	v_cvt_u32_f32_e32 v1, v0
	s_cmp_gt_i32 s1, 27
	s_cbranch_scc0 .LBB18_1633
; %bb.1632:
	s_mov_b32 s5, 0
	global_store_dword v[7:8], v1, off
.LBB18_1633:
	s_andn2_b32 vcc_lo, exec_lo, s5
	s_cbranch_vccnz .LBB18_1635
; %bb.1634:
	global_store_short v[7:8], v1, off
.LBB18_1635:
	s_mov_b32 s5, 0
.LBB18_1636:
	s_andn2_b32 vcc_lo, exec_lo, s5
	s_cbranch_vccnz .LBB18_1644
; %bb.1637:
	v_and_b32_e32 v1, 0x7fffffff, v0
	v_mov_b32_e32 v5, 0x80
	s_mov_b32 s5, exec_lo
	v_cmpx_gt_u32_e32 0x43800000, v1
	s_cbranch_execz .LBB18_1643
; %bb.1638:
	v_cmp_lt_u32_e32 vcc_lo, 0x3bffffff, v1
	s_mov_b32 s10, 0
                                        ; implicit-def: $vgpr1
	s_and_saveexec_b32 s11, vcc_lo
	s_xor_b32 s11, exec_lo, s11
	s_cbranch_execz .LBB18_2093
; %bb.1639:
	v_bfe_u32 v1, v0, 20, 1
	s_mov_b32 s10, exec_lo
	v_add3_u32 v1, v0, v1, 0x487ffff
	v_lshrrev_b32_e32 v1, 20, v1
	s_andn2_saveexec_b32 s11, s11
	s_cbranch_execnz .LBB18_2094
.LBB18_1640:
	s_or_b32 exec_lo, exec_lo, s11
	v_mov_b32_e32 v5, 0
	s_and_saveexec_b32 s11, s10
.LBB18_1641:
	v_lshrrev_b32_e32 v5, 24, v0
	v_and_or_b32 v5, 0x80, v5, v1
.LBB18_1642:
	s_or_b32 exec_lo, exec_lo, s11
.LBB18_1643:
	s_or_b32 exec_lo, exec_lo, s5
	global_store_byte v[7:8], v5, off
.LBB18_1644:
	s_mov_b32 s5, -1
.LBB18_1645:
	s_mov_b32 s10, 0
.LBB18_1646:
	s_and_b32 vcc_lo, exec_lo, s10
	s_cbranch_vccz .LBB18_1686
; %bb.1647:
	s_cmp_gt_i32 s1, 22
	s_mov_b32 s3, -1
	s_cbranch_scc0 .LBB18_1679
; %bb.1648:
	s_cmp_lt_i32 s1, 24
	s_cbranch_scc1 .LBB18_1668
; %bb.1649:
	s_cmp_gt_i32 s1, 24
	s_cbranch_scc0 .LBB18_1657
; %bb.1650:
	v_and_b32_e32 v1, 0x7fffffff, v0
	v_mov_b32_e32 v5, 0x80
	s_mov_b32 s3, exec_lo
	v_cmpx_gt_u32_e32 0x47800000, v1
	s_cbranch_execz .LBB18_1656
; %bb.1651:
	v_cmp_lt_u32_e32 vcc_lo, 0x37ffffff, v1
	s_mov_b32 s5, 0
                                        ; implicit-def: $vgpr1
	s_and_saveexec_b32 s10, vcc_lo
	s_xor_b32 s10, exec_lo, s10
	s_cbranch_execz .LBB18_2096
; %bb.1652:
	v_bfe_u32 v1, v0, 21, 1
	s_mov_b32 s5, exec_lo
	v_add3_u32 v1, v0, v1, 0x88fffff
	v_lshrrev_b32_e32 v1, 21, v1
	s_andn2_saveexec_b32 s10, s10
	s_cbranch_execnz .LBB18_2097
.LBB18_1653:
	s_or_b32 exec_lo, exec_lo, s10
	v_mov_b32_e32 v5, 0
	s_and_saveexec_b32 s10, s5
.LBB18_1654:
	v_lshrrev_b32_e32 v5, 24, v0
	v_and_or_b32 v5, 0x80, v5, v1
.LBB18_1655:
	s_or_b32 exec_lo, exec_lo, s10
.LBB18_1656:
	s_or_b32 exec_lo, exec_lo, s3
	s_mov_b32 s3, 0
	global_store_byte v[7:8], v5, off
.LBB18_1657:
	s_and_b32 vcc_lo, exec_lo, s3
	s_cbranch_vccz .LBB18_1667
; %bb.1658:
	v_and_b32_e32 v5, 0x7fffffff, v0
	s_mov_b32 s3, exec_lo
                                        ; implicit-def: $vgpr1
	v_cmpx_gt_u32_e32 0x43f00000, v5
	s_xor_b32 s3, exec_lo, s3
	s_cbranch_execz .LBB18_1664
; %bb.1659:
	s_mov_b32 s5, exec_lo
                                        ; implicit-def: $vgpr1
	v_cmpx_lt_u32_e32 0x3c7fffff, v5
	s_xor_b32 s5, exec_lo, s5
; %bb.1660:
	v_bfe_u32 v1, v0, 20, 1
	v_add3_u32 v1, v0, v1, 0x407ffff
	v_and_b32_e32 v5, 0xff00000, v1
	v_lshrrev_b32_e32 v1, 20, v1
	v_cmp_ne_u32_e32 vcc_lo, 0x7f00000, v5
	v_cndmask_b32_e32 v1, 0x7e, v1, vcc_lo
; %bb.1661:
	s_andn2_saveexec_b32 s5, s5
; %bb.1662:
	v_add_f32_e64 v1, 0x46800000, |v0|
; %bb.1663:
	s_or_b32 exec_lo, exec_lo, s5
                                        ; implicit-def: $vgpr5
.LBB18_1664:
	s_andn2_saveexec_b32 s3, s3
; %bb.1665:
	v_mov_b32_e32 v1, 0x7f
	v_cmp_lt_u32_e32 vcc_lo, 0x7f800000, v5
	v_cndmask_b32_e32 v1, 0x7e, v1, vcc_lo
; %bb.1666:
	s_or_b32 exec_lo, exec_lo, s3
	v_lshrrev_b32_e32 v5, 24, v0
	v_and_or_b32 v1, 0x80, v5, v1
	global_store_byte v[7:8], v1, off
.LBB18_1667:
	s_mov_b32 s3, 0
.LBB18_1668:
	s_andn2_b32 vcc_lo, exec_lo, s3
	s_cbranch_vccnz .LBB18_1678
; %bb.1669:
	v_and_b32_e32 v5, 0x7fffffff, v0
	s_mov_b32 s3, exec_lo
                                        ; implicit-def: $vgpr1
	v_cmpx_gt_u32_e32 0x47800000, v5
	s_xor_b32 s3, exec_lo, s3
	s_cbranch_execz .LBB18_1675
; %bb.1670:
	s_mov_b32 s5, exec_lo
                                        ; implicit-def: $vgpr1
	v_cmpx_lt_u32_e32 0x387fffff, v5
	s_xor_b32 s5, exec_lo, s5
; %bb.1671:
	v_bfe_u32 v1, v0, 21, 1
	v_add3_u32 v1, v0, v1, 0x80fffff
	v_lshrrev_b32_e32 v1, 21, v1
; %bb.1672:
	s_andn2_saveexec_b32 s5, s5
; %bb.1673:
	v_add_f32_e64 v1, 0x43000000, |v0|
; %bb.1674:
	s_or_b32 exec_lo, exec_lo, s5
                                        ; implicit-def: $vgpr5
.LBB18_1675:
	s_andn2_saveexec_b32 s3, s3
; %bb.1676:
	v_mov_b32_e32 v1, 0x7f
	v_cmp_lt_u32_e32 vcc_lo, 0x7f800000, v5
	v_cndmask_b32_e32 v1, 0x7c, v1, vcc_lo
; %bb.1677:
	s_or_b32 exec_lo, exec_lo, s3
	v_lshrrev_b32_e32 v5, 24, v0
	v_and_or_b32 v1, 0x80, v5, v1
	global_store_byte v[7:8], v1, off
.LBB18_1678:
	s_mov_b32 s3, 0
	s_mov_b32 s5, -1
.LBB18_1679:
	s_andn2_b32 vcc_lo, exec_lo, s3
	s_mov_b32 s3, 0
	s_cbranch_vccnz .LBB18_1686
; %bb.1680:
	s_cmp_gt_i32 s1, 14
	s_mov_b32 s3, -1
	s_cbranch_scc0 .LBB18_1684
; %bb.1681:
	s_cmp_eq_u32 s1, 15
	s_mov_b32 s0, -1
	s_cbranch_scc0 .LBB18_1683
; %bb.1682:
	v_bfe_u32 v1, v0, 16, 1
	v_cmp_o_f32_e32 vcc_lo, v0, v0
	v_mov_b32_e32 v5, 0x7fc0
	s_mov_b32 s0, 0
	s_mov_b32 s5, -1
	v_add3_u32 v1, v0, v1, 0x7fff
	v_cndmask_b32_sdwa v1, v5, v1, vcc_lo dst_sel:DWORD dst_unused:UNUSED_PAD src0_sel:DWORD src1_sel:WORD_1
	global_store_short v[7:8], v1, off
.LBB18_1683:
	s_mov_b32 s3, 0
.LBB18_1684:
	s_and_b32 vcc_lo, exec_lo, s3
	s_mov_b32 s3, 0
	s_cbranch_vccz .LBB18_1686
; %bb.1685:
	s_cmp_lg_u32 s1, 11
	s_mov_b32 s3, -1
	s_cselect_b32 s0, -1, 0
.LBB18_1686:
	s_and_b32 vcc_lo, exec_lo, s0
	s_cbranch_vccnz .LBB18_2095
; %bb.1687:
	s_andn2_b32 vcc_lo, exec_lo, s3
	s_cbranch_vccnz .LBB18_1689
.LBB18_1688:
	v_cmp_neq_f32_e32 vcc_lo, 0, v0
	s_mov_b32 s5, -1
	v_cndmask_b32_e64 v1, 0, 1, vcc_lo
	global_store_byte v[7:8], v1, off
.LBB18_1689:
	s_mov_b32 s0, 0
	s_branch .LBB18_1736
.LBB18_1690:
	s_mov_b32 s0, 0
	s_mov_b32 s2, 0
                                        ; implicit-def: $sgpr12
                                        ; implicit-def: $vgpr0_vgpr1
                                        ; implicit-def: $vgpr6
.LBB18_1691:
	s_andn2_b32 s1, s7, exec_lo
	s_and_b32 s3, s4, exec_lo
	s_and_b32 s0, s0, exec_lo
	s_and_b32 s4, s2, exec_lo
	s_or_b32 s7, s1, s3
.LBB18_1692:
	s_or_b32 exec_lo, exec_lo, s6
	s_and_saveexec_b32 s1, s7
	s_cbranch_execz .LBB18_1695
; %bb.1693:
	; divergent unreachable
	s_or_b32 exec_lo, exec_lo, s1
	s_and_saveexec_b32 s1, s4
	s_xor_b32 s1, exec_lo, s1
	s_cbranch_execnz .LBB18_1696
.LBB18_1694:
	s_or_b32 exec_lo, exec_lo, s1
	s_and_saveexec_b32 s1, s0
	s_cbranch_execnz .LBB18_1697
	s_branch .LBB18_1734
.LBB18_1695:
	s_or_b32 exec_lo, exec_lo, s1
	s_and_saveexec_b32 s1, s4
	s_xor_b32 s1, exec_lo, s1
	s_cbranch_execz .LBB18_1694
.LBB18_1696:
	v_cmp_neq_f32_e32 vcc_lo, 0, v6
	s_waitcnt vmcnt(0)
	v_cndmask_b32_e64 v2, 0, 1, vcc_lo
	global_store_byte v[0:1], v2, off
	s_or_b32 exec_lo, exec_lo, s1
	s_and_saveexec_b32 s1, s0
	s_cbranch_execz .LBB18_1734
.LBB18_1697:
	s_sext_i32_i16 s1, s12
	s_mov_b32 s0, -1
	s_cmp_lt_i32 s1, 5
	s_cbranch_scc1 .LBB18_1718
; %bb.1698:
	s_cmp_lt_i32 s1, 8
	s_cbranch_scc1 .LBB18_1708
; %bb.1699:
	;; [unrolled: 3-line block ×3, first 2 shown]
	s_cmp_gt_i32 s1, 9
	s_cbranch_scc0 .LBB18_1702
; %bb.1701:
	s_waitcnt vmcnt(0)
	v_cvt_f64_f32_e32 v[2:3], v6
	v_mov_b32_e32 v4, 0
	s_mov_b32 s0, 0
	v_mov_b32_e32 v5, v4
	global_store_dwordx4 v[0:1], v[2:5], off
.LBB18_1702:
	s_andn2_b32 vcc_lo, exec_lo, s0
	s_cbranch_vccnz .LBB18_1704
; %bb.1703:
	v_mov_b32_e32 v7, 0
	s_waitcnt vmcnt(0)
	global_store_dwordx2 v[0:1], v[6:7], off
.LBB18_1704:
	s_mov_b32 s0, 0
.LBB18_1705:
	s_andn2_b32 vcc_lo, exec_lo, s0
	s_cbranch_vccnz .LBB18_1707
; %bb.1706:
	s_waitcnt vmcnt(0)
	v_cvt_f16_f32_e32 v2, v6
	v_and_b32_e32 v2, 0xffff, v2
	global_store_dword v[0:1], v2, off
.LBB18_1707:
	s_mov_b32 s0, 0
.LBB18_1708:
	s_andn2_b32 vcc_lo, exec_lo, s0
	s_cbranch_vccnz .LBB18_1717
; %bb.1709:
	s_sext_i32_i16 s1, s12
	s_mov_b32 s0, -1
	s_cmp_lt_i32 s1, 6
	s_cbranch_scc1 .LBB18_1715
; %bb.1710:
	s_cmp_gt_i32 s1, 6
	s_cbranch_scc0 .LBB18_1712
; %bb.1711:
	s_waitcnt vmcnt(0)
	v_cvt_f64_f32_e32 v[2:3], v6
	s_mov_b32 s0, 0
	global_store_dwordx2 v[0:1], v[2:3], off
.LBB18_1712:
	s_andn2_b32 vcc_lo, exec_lo, s0
	s_cbranch_vccnz .LBB18_1714
; %bb.1713:
	s_waitcnt vmcnt(0)
	global_store_dword v[0:1], v6, off
.LBB18_1714:
	s_mov_b32 s0, 0
.LBB18_1715:
	s_andn2_b32 vcc_lo, exec_lo, s0
	s_cbranch_vccnz .LBB18_1717
; %bb.1716:
	s_waitcnt vmcnt(0)
	v_cvt_f16_f32_e32 v2, v6
	global_store_short v[0:1], v2, off
.LBB18_1717:
	s_mov_b32 s0, 0
.LBB18_1718:
	s_andn2_b32 vcc_lo, exec_lo, s0
	s_cbranch_vccnz .LBB18_1734
; %bb.1719:
	s_sext_i32_i16 s1, s12
	s_mov_b32 s0, -1
	s_cmp_lt_i32 s1, 2
	s_cbranch_scc1 .LBB18_1729
; %bb.1720:
	s_cmp_lt_i32 s1, 3
	s_cbranch_scc1 .LBB18_1726
; %bb.1721:
	s_cmp_gt_i32 s1, 3
	s_cbranch_scc0 .LBB18_1723
; %bb.1722:
	s_waitcnt vmcnt(0)
	v_trunc_f32_e32 v2, v6
	s_mov_b32 s0, 0
	v_mul_f32_e64 v3, 0x2f800000, |v2|
	v_ashrrev_i32_e32 v5, 31, v2
	v_floor_f32_e32 v3, v3
	v_fma_f32 v4, 0xcf800000, v3, |v2|
	v_cvt_u32_f32_e32 v3, v3
	v_cvt_u32_f32_e32 v2, v4
	v_xor_b32_e32 v3, v3, v5
	v_xor_b32_e32 v2, v2, v5
	v_sub_co_u32 v2, vcc_lo, v2, v5
	v_sub_co_ci_u32_e64 v3, null, v3, v5, vcc_lo
	global_store_dwordx2 v[0:1], v[2:3], off
.LBB18_1723:
	s_andn2_b32 vcc_lo, exec_lo, s0
	s_cbranch_vccnz .LBB18_1725
; %bb.1724:
	s_waitcnt vmcnt(0)
	v_cvt_i32_f32_e32 v2, v6
	global_store_dword v[0:1], v2, off
.LBB18_1725:
	s_mov_b32 s0, 0
.LBB18_1726:
	s_andn2_b32 vcc_lo, exec_lo, s0
	s_cbranch_vccnz .LBB18_1728
; %bb.1727:
	s_waitcnt vmcnt(0)
	v_cvt_i32_f32_e32 v2, v6
	global_store_short v[0:1], v2, off
.LBB18_1728:
	s_mov_b32 s0, 0
.LBB18_1729:
	s_andn2_b32 vcc_lo, exec_lo, s0
	s_cbranch_vccnz .LBB18_1734
; %bb.1730:
	s_sext_i32_i16 s0, s12
	s_cmp_gt_i32 s0, 0
	s_mov_b32 s0, -1
	s_cbranch_scc0 .LBB18_1732
; %bb.1731:
	s_waitcnt vmcnt(0)
	v_cvt_i32_f32_e32 v2, v6
	s_mov_b32 s0, 0
	global_store_byte v[0:1], v2, off
.LBB18_1732:
	s_andn2_b32 vcc_lo, exec_lo, s0
	s_cbranch_vccnz .LBB18_1734
; %bb.1733:
	s_waitcnt vmcnt(0)
	v_trunc_f32_e32 v2, v6
	v_mul_f32_e64 v3, 0x2f800000, |v2|
	v_floor_f32_e32 v3, v3
	v_fma_f32 v3, 0xcf800000, v3, |v2|
	v_ashrrev_i32_e32 v2, 31, v2
	v_cvt_u32_f32_e32 v3, v3
	v_xor_b32_e32 v3, v3, v2
	v_sub_nc_u32_e32 v2, v3, v2
	global_store_byte v[0:1], v2, off
	s_endpgm
.LBB18_1734:
	s_endpgm
.LBB18_1735:
	s_mov_b32 s0, -1
	s_mov_b32 s5, 0
.LBB18_1736:
	s_and_b32 vcc_lo, exec_lo, s0
	s_cbranch_vccz .LBB18_1775
; %bb.1737:
	s_and_b32 s0, 0xffff, s12
	s_mov_b32 s1, -1
	s_cmp_lt_i32 s0, 5
	s_cbranch_scc1 .LBB18_1758
; %bb.1738:
	s_cmp_lt_i32 s0, 8
	s_cbranch_scc1 .LBB18_1748
; %bb.1739:
	;; [unrolled: 3-line block ×3, first 2 shown]
	s_cmp_gt_i32 s0, 9
	s_cbranch_scc0 .LBB18_1742
; %bb.1741:
	v_cvt_f64_f32_e32 v[9:10], v0
	v_mov_b32_e32 v11, 0
	s_mov_b32 s1, 0
	v_mov_b32_e32 v12, v11
	global_store_dwordx4 v[7:8], v[9:12], off
.LBB18_1742:
	s_andn2_b32 vcc_lo, exec_lo, s1
	s_cbranch_vccnz .LBB18_1744
; %bb.1743:
	v_mov_b32_e32 v1, 0
	global_store_dwordx2 v[7:8], v[0:1], off
.LBB18_1744:
	s_mov_b32 s1, 0
.LBB18_1745:
	s_andn2_b32 vcc_lo, exec_lo, s1
	s_cbranch_vccnz .LBB18_1747
; %bb.1746:
	v_cvt_f16_f32_e32 v1, v0
	v_and_b32_e32 v1, 0xffff, v1
	global_store_dword v[7:8], v1, off
.LBB18_1747:
	s_mov_b32 s1, 0
.LBB18_1748:
	s_andn2_b32 vcc_lo, exec_lo, s1
	s_cbranch_vccnz .LBB18_1757
; %bb.1749:
	s_cmp_lt_i32 s0, 6
	s_mov_b32 s1, -1
	s_cbranch_scc1 .LBB18_1755
; %bb.1750:
	s_cmp_gt_i32 s0, 6
	s_cbranch_scc0 .LBB18_1752
; %bb.1751:
	v_cvt_f64_f32_e32 v[9:10], v0
	s_mov_b32 s1, 0
	global_store_dwordx2 v[7:8], v[9:10], off
.LBB18_1752:
	s_andn2_b32 vcc_lo, exec_lo, s1
	s_cbranch_vccnz .LBB18_1754
; %bb.1753:
	global_store_dword v[7:8], v0, off
.LBB18_1754:
	s_mov_b32 s1, 0
.LBB18_1755:
	s_andn2_b32 vcc_lo, exec_lo, s1
	s_cbranch_vccnz .LBB18_1757
; %bb.1756:
	v_cvt_f16_f32_e32 v1, v0
	global_store_short v[7:8], v1, off
.LBB18_1757:
	s_mov_b32 s1, 0
.LBB18_1758:
	s_andn2_b32 vcc_lo, exec_lo, s1
	s_cbranch_vccnz .LBB18_1774
; %bb.1759:
	s_cmp_lt_i32 s0, 2
	s_mov_b32 s1, -1
	s_cbranch_scc1 .LBB18_1769
; %bb.1760:
	s_cmp_lt_i32 s0, 3
	s_cbranch_scc1 .LBB18_1766
; %bb.1761:
	s_cmp_gt_i32 s0, 3
	s_cbranch_scc0 .LBB18_1763
; %bb.1762:
	v_trunc_f32_e32 v1, v0
	s_mov_b32 s1, 0
	v_mul_f32_e64 v5, 0x2f800000, |v1|
	v_floor_f32_e32 v5, v5
	v_fma_f32 v9, 0xcf800000, v5, |v1|
	v_ashrrev_i32_e32 v1, 31, v1
	v_cvt_u32_f32_e32 v5, v5
	v_cvt_u32_f32_e32 v9, v9
	v_xor_b32_e32 v5, v5, v1
	v_xor_b32_e32 v9, v9, v1
	v_sub_co_u32 v9, vcc_lo, v9, v1
	v_sub_co_ci_u32_e64 v10, null, v5, v1, vcc_lo
	global_store_dwordx2 v[7:8], v[9:10], off
.LBB18_1763:
	s_andn2_b32 vcc_lo, exec_lo, s1
	s_cbranch_vccnz .LBB18_1765
; %bb.1764:
	v_cvt_i32_f32_e32 v1, v0
	global_store_dword v[7:8], v1, off
.LBB18_1765:
	s_mov_b32 s1, 0
.LBB18_1766:
	s_andn2_b32 vcc_lo, exec_lo, s1
	s_cbranch_vccnz .LBB18_1768
; %bb.1767:
	v_cvt_i32_f32_e32 v1, v0
	global_store_short v[7:8], v1, off
.LBB18_1768:
	s_mov_b32 s1, 0
.LBB18_1769:
	s_andn2_b32 vcc_lo, exec_lo, s1
	s_cbranch_vccnz .LBB18_1774
; %bb.1770:
	s_cmp_gt_i32 s0, 0
	s_mov_b32 s0, -1
	s_cbranch_scc0 .LBB18_1772
; %bb.1771:
	v_cvt_i32_f32_e32 v1, v0
	s_mov_b32 s0, 0
	global_store_byte v[7:8], v1, off
.LBB18_1772:
	s_andn2_b32 vcc_lo, exec_lo, s0
	s_cbranch_vccnz .LBB18_1774
; %bb.1773:
	v_trunc_f32_e32 v0, v0
	v_mul_f32_e64 v1, 0x2f800000, |v0|
	v_floor_f32_e32 v1, v1
	v_fma_f32 v1, 0xcf800000, v1, |v0|
	v_ashrrev_i32_e32 v0, 31, v0
	v_cvt_u32_f32_e32 v1, v1
	v_xor_b32_e32 v1, v1, v0
	v_sub_nc_u32_e32 v0, v1, v0
	global_store_byte v[7:8], v0, off
.LBB18_1774:
	s_mov_b32 s5, -1
.LBB18_1775:
	s_andn2_b32 vcc_lo, exec_lo, s5
	s_cbranch_vccnz .LBB18_2090
; %bb.1776:
	s_lshl_b32 s1, s2, 7
	s_cmp_lt_i32 s12, 11
	v_add_nc_u32_e32 v5, s1, v3
	v_ashrrev_i32_e32 v1, 31, v5
	v_add_co_u32 v0, vcc_lo, s8, v5
	v_add_co_ci_u32_e64 v1, null, s9, v1, vcc_lo
	s_cbranch_scc1 .LBB18_1854
; %bb.1777:
	s_and_b32 s2, 0xffff, s12
	s_mov_b32 s10, -1
	s_mov_b32 s3, 0
	s_cmp_gt_i32 s2, 25
	s_mov_b32 s5, 0
	s_mov_b32 s0, 0
	s_cbranch_scc0 .LBB18_1810
; %bb.1778:
	s_cmp_gt_i32 s2, 28
	s_cbranch_scc0 .LBB18_1793
; %bb.1779:
	s_cmp_gt_i32 s2, 43
	;; [unrolled: 3-line block ×3, first 2 shown]
	s_cbranch_scc0 .LBB18_1783
; %bb.1781:
	s_mov_b32 s0, -1
	s_mov_b32 s10, 0
	s_cmp_eq_u32 s2, 46
	s_cbranch_scc0 .LBB18_1783
; %bb.1782:
	v_bfe_u32 v3, v2, 16, 1
	v_cmp_o_f32_e32 vcc_lo, v2, v2
	v_mov_b32_e32 v7, 0x7fc0
	s_mov_b32 s0, 0
	s_mov_b32 s5, -1
	v_add3_u32 v3, v2, v3, 0x7fff
	v_cndmask_b32_sdwa v3, v7, v3, vcc_lo dst_sel:DWORD dst_unused:UNUSED_PAD src0_sel:DWORD src1_sel:WORD_1
	global_store_dword v[0:1], v3, off
.LBB18_1783:
	s_and_b32 vcc_lo, exec_lo, s10
	s_cbranch_vccz .LBB18_1788
; %bb.1784:
	s_cmp_eq_u32 s2, 44
	s_mov_b32 s0, -1
	s_cbranch_scc0 .LBB18_1788
; %bb.1785:
	v_bfe_u32 v7, v2, 23, 8
	v_mov_b32_e32 v3, 0xff
	s_mov_b32 s5, exec_lo
	v_cmpx_ne_u32_e32 0xff, v7
	s_cbranch_execz .LBB18_1787
; %bb.1786:
	v_and_b32_e32 v3, 0x400000, v2
	v_and_or_b32 v7, 0x3fffff, v2, v7
	v_cmp_ne_u32_e32 vcc_lo, 0, v3
	v_cmp_ne_u32_e64 s0, 0, v7
	v_lshrrev_b32_e32 v3, 23, v2
	s_and_b32 s0, vcc_lo, s0
	v_cndmask_b32_e64 v7, 0, 1, s0
	v_add_nc_u32_e32 v3, v3, v7
.LBB18_1787:
	s_or_b32 exec_lo, exec_lo, s5
	s_mov_b32 s0, 0
	s_mov_b32 s5, -1
	global_store_byte v[0:1], v3, off
.LBB18_1788:
	s_mov_b32 s10, 0
.LBB18_1789:
	s_and_b32 vcc_lo, exec_lo, s10
	s_cbranch_vccz .LBB18_1792
; %bb.1790:
	s_cmp_eq_u32 s2, 29
	s_mov_b32 s0, -1
	s_cbranch_scc0 .LBB18_1792
; %bb.1791:
	v_trunc_f32_e32 v3, v2
	s_mov_b32 s0, 0
	s_mov_b32 s5, -1
	v_mul_f32_e32 v7, 0x2f800000, v3
	v_floor_f32_e32 v7, v7
	v_fmamk_f32 v3, v7, 0xcf800000, v3
	v_cvt_u32_f32_e32 v8, v7
	v_cvt_u32_f32_e32 v7, v3
	global_store_dwordx2 v[0:1], v[7:8], off
.LBB18_1792:
	s_mov_b32 s10, 0
.LBB18_1793:
	s_and_b32 vcc_lo, exec_lo, s10
	s_cbranch_vccz .LBB18_1809
; %bb.1794:
	s_cmp_lt_i32 s2, 27
	s_mov_b32 s5, -1
	s_cbranch_scc1 .LBB18_1800
; %bb.1795:
	v_cvt_u32_f32_e32 v3, v2
	s_cmp_gt_i32 s2, 27
	s_cbranch_scc0 .LBB18_1797
; %bb.1796:
	s_mov_b32 s5, 0
	global_store_dword v[0:1], v3, off
.LBB18_1797:
	s_andn2_b32 vcc_lo, exec_lo, s5
	s_cbranch_vccnz .LBB18_1799
; %bb.1798:
	global_store_short v[0:1], v3, off
.LBB18_1799:
	s_mov_b32 s5, 0
.LBB18_1800:
	s_andn2_b32 vcc_lo, exec_lo, s5
	s_cbranch_vccnz .LBB18_1808
; %bb.1801:
	v_and_b32_e32 v3, 0x7fffffff, v2
	v_mov_b32_e32 v7, 0x80
	s_mov_b32 s5, exec_lo
	v_cmpx_gt_u32_e32 0x43800000, v3
	s_cbranch_execz .LBB18_1807
; %bb.1802:
	v_cmp_lt_u32_e32 vcc_lo, 0x3bffffff, v3
	s_mov_b32 s10, 0
                                        ; implicit-def: $vgpr3
	s_and_saveexec_b32 s11, vcc_lo
	s_xor_b32 s11, exec_lo, s11
	s_cbranch_execz .LBB18_2098
; %bb.1803:
	v_bfe_u32 v3, v2, 20, 1
	s_mov_b32 s10, exec_lo
	v_add3_u32 v3, v2, v3, 0x487ffff
	v_lshrrev_b32_e32 v3, 20, v3
	s_andn2_saveexec_b32 s11, s11
	s_cbranch_execnz .LBB18_2099
.LBB18_1804:
	s_or_b32 exec_lo, exec_lo, s11
	v_mov_b32_e32 v7, 0
	s_and_saveexec_b32 s11, s10
.LBB18_1805:
	v_lshrrev_b32_e32 v7, 24, v2
	v_and_or_b32 v7, 0x80, v7, v3
.LBB18_1806:
	s_or_b32 exec_lo, exec_lo, s11
.LBB18_1807:
	s_or_b32 exec_lo, exec_lo, s5
	global_store_byte v[0:1], v7, off
.LBB18_1808:
	s_mov_b32 s5, -1
.LBB18_1809:
	s_mov_b32 s10, 0
.LBB18_1810:
	s_and_b32 vcc_lo, exec_lo, s10
	s_cbranch_vccz .LBB18_1850
; %bb.1811:
	s_cmp_gt_i32 s2, 22
	s_mov_b32 s3, -1
	s_cbranch_scc0 .LBB18_1843
; %bb.1812:
	s_cmp_lt_i32 s2, 24
	s_cbranch_scc1 .LBB18_1832
; %bb.1813:
	s_cmp_gt_i32 s2, 24
	s_cbranch_scc0 .LBB18_1821
; %bb.1814:
	v_and_b32_e32 v3, 0x7fffffff, v2
	v_mov_b32_e32 v7, 0x80
	s_mov_b32 s3, exec_lo
	v_cmpx_gt_u32_e32 0x47800000, v3
	s_cbranch_execz .LBB18_1820
; %bb.1815:
	v_cmp_lt_u32_e32 vcc_lo, 0x37ffffff, v3
	s_mov_b32 s5, 0
                                        ; implicit-def: $vgpr3
	s_and_saveexec_b32 s10, vcc_lo
	s_xor_b32 s10, exec_lo, s10
	s_cbranch_execz .LBB18_2101
; %bb.1816:
	v_bfe_u32 v3, v2, 21, 1
	s_mov_b32 s5, exec_lo
	v_add3_u32 v3, v2, v3, 0x88fffff
	v_lshrrev_b32_e32 v3, 21, v3
	s_andn2_saveexec_b32 s10, s10
	s_cbranch_execnz .LBB18_2102
.LBB18_1817:
	s_or_b32 exec_lo, exec_lo, s10
	v_mov_b32_e32 v7, 0
	s_and_saveexec_b32 s10, s5
.LBB18_1818:
	v_lshrrev_b32_e32 v7, 24, v2
	v_and_or_b32 v7, 0x80, v7, v3
.LBB18_1819:
	s_or_b32 exec_lo, exec_lo, s10
.LBB18_1820:
	s_or_b32 exec_lo, exec_lo, s3
	s_mov_b32 s3, 0
	global_store_byte v[0:1], v7, off
.LBB18_1821:
	s_and_b32 vcc_lo, exec_lo, s3
	s_cbranch_vccz .LBB18_1831
; %bb.1822:
	v_and_b32_e32 v7, 0x7fffffff, v2
	s_mov_b32 s3, exec_lo
                                        ; implicit-def: $vgpr3
	v_cmpx_gt_u32_e32 0x43f00000, v7
	s_xor_b32 s3, exec_lo, s3
	s_cbranch_execz .LBB18_1828
; %bb.1823:
	s_mov_b32 s5, exec_lo
                                        ; implicit-def: $vgpr3
	v_cmpx_lt_u32_e32 0x3c7fffff, v7
	s_xor_b32 s5, exec_lo, s5
; %bb.1824:
	v_bfe_u32 v3, v2, 20, 1
	v_add3_u32 v3, v2, v3, 0x407ffff
	v_and_b32_e32 v7, 0xff00000, v3
	v_lshrrev_b32_e32 v3, 20, v3
	v_cmp_ne_u32_e32 vcc_lo, 0x7f00000, v7
	v_cndmask_b32_e32 v3, 0x7e, v3, vcc_lo
; %bb.1825:
	s_andn2_saveexec_b32 s5, s5
; %bb.1826:
	v_add_f32_e64 v3, 0x46800000, |v2|
; %bb.1827:
	s_or_b32 exec_lo, exec_lo, s5
                                        ; implicit-def: $vgpr7
.LBB18_1828:
	s_andn2_saveexec_b32 s3, s3
; %bb.1829:
	v_mov_b32_e32 v3, 0x7f
	v_cmp_lt_u32_e32 vcc_lo, 0x7f800000, v7
	v_cndmask_b32_e32 v3, 0x7e, v3, vcc_lo
; %bb.1830:
	s_or_b32 exec_lo, exec_lo, s3
	v_lshrrev_b32_e32 v7, 24, v2
	v_and_or_b32 v3, 0x80, v7, v3
	global_store_byte v[0:1], v3, off
.LBB18_1831:
	s_mov_b32 s3, 0
.LBB18_1832:
	s_andn2_b32 vcc_lo, exec_lo, s3
	s_cbranch_vccnz .LBB18_1842
; %bb.1833:
	v_and_b32_e32 v7, 0x7fffffff, v2
	s_mov_b32 s3, exec_lo
                                        ; implicit-def: $vgpr3
	v_cmpx_gt_u32_e32 0x47800000, v7
	s_xor_b32 s3, exec_lo, s3
	s_cbranch_execz .LBB18_1839
; %bb.1834:
	s_mov_b32 s5, exec_lo
                                        ; implicit-def: $vgpr3
	v_cmpx_lt_u32_e32 0x387fffff, v7
	s_xor_b32 s5, exec_lo, s5
; %bb.1835:
	v_bfe_u32 v3, v2, 21, 1
	v_add3_u32 v3, v2, v3, 0x80fffff
	v_lshrrev_b32_e32 v3, 21, v3
; %bb.1836:
	s_andn2_saveexec_b32 s5, s5
; %bb.1837:
	v_add_f32_e64 v3, 0x43000000, |v2|
; %bb.1838:
	s_or_b32 exec_lo, exec_lo, s5
                                        ; implicit-def: $vgpr7
.LBB18_1839:
	s_andn2_saveexec_b32 s3, s3
; %bb.1840:
	v_mov_b32_e32 v3, 0x7f
	v_cmp_lt_u32_e32 vcc_lo, 0x7f800000, v7
	v_cndmask_b32_e32 v3, 0x7c, v3, vcc_lo
; %bb.1841:
	s_or_b32 exec_lo, exec_lo, s3
	v_lshrrev_b32_e32 v7, 24, v2
	v_and_or_b32 v3, 0x80, v7, v3
	global_store_byte v[0:1], v3, off
.LBB18_1842:
	s_mov_b32 s3, 0
	s_mov_b32 s5, -1
.LBB18_1843:
	s_andn2_b32 vcc_lo, exec_lo, s3
	s_mov_b32 s3, 0
	s_cbranch_vccnz .LBB18_1850
; %bb.1844:
	s_cmp_gt_i32 s2, 14
	s_mov_b32 s3, -1
	s_cbranch_scc0 .LBB18_1848
; %bb.1845:
	s_cmp_eq_u32 s2, 15
	s_mov_b32 s0, -1
	s_cbranch_scc0 .LBB18_1847
; %bb.1846:
	v_bfe_u32 v3, v2, 16, 1
	v_cmp_o_f32_e32 vcc_lo, v2, v2
	v_mov_b32_e32 v7, 0x7fc0
	s_mov_b32 s0, 0
	s_mov_b32 s5, -1
	v_add3_u32 v3, v2, v3, 0x7fff
	v_cndmask_b32_sdwa v3, v7, v3, vcc_lo dst_sel:DWORD dst_unused:UNUSED_PAD src0_sel:DWORD src1_sel:WORD_1
	global_store_short v[0:1], v3, off
.LBB18_1847:
	s_mov_b32 s3, 0
.LBB18_1848:
	s_and_b32 vcc_lo, exec_lo, s3
	s_mov_b32 s3, 0
	s_cbranch_vccz .LBB18_1850
; %bb.1849:
	s_cmp_lg_u32 s2, 11
	s_mov_b32 s3, -1
	s_cselect_b32 s0, -1, 0
.LBB18_1850:
	s_and_b32 vcc_lo, exec_lo, s0
	s_cbranch_vccnz .LBB18_2100
; %bb.1851:
	s_andn2_b32 vcc_lo, exec_lo, s3
	s_cbranch_vccnz .LBB18_1853
.LBB18_1852:
	v_cmp_neq_f32_e32 vcc_lo, 0, v2
	s_mov_b32 s5, -1
	v_cndmask_b32_e64 v3, 0, 1, vcc_lo
	global_store_byte v[0:1], v3, off
.LBB18_1853:
	s_mov_b32 s0, 0
	s_branch .LBB18_1855
.LBB18_1854:
	s_mov_b32 s0, -1
	s_mov_b32 s5, 0
.LBB18_1855:
	s_and_b32 vcc_lo, exec_lo, s0
	s_cbranch_vccz .LBB18_1894
; %bb.1856:
	s_and_b32 s0, 0xffff, s12
	s_mov_b32 s2, -1
	s_cmp_lt_i32 s0, 5
	s_cbranch_scc1 .LBB18_1877
; %bb.1857:
	s_cmp_lt_i32 s0, 8
	s_cbranch_scc1 .LBB18_1867
; %bb.1858:
	;; [unrolled: 3-line block ×3, first 2 shown]
	s_cmp_gt_i32 s0, 9
	s_cbranch_scc0 .LBB18_1861
; %bb.1860:
	v_cvt_f64_f32_e32 v[7:8], v2
	v_mov_b32_e32 v9, 0
	s_mov_b32 s2, 0
	v_mov_b32_e32 v10, v9
	global_store_dwordx4 v[0:1], v[7:10], off
.LBB18_1861:
	s_andn2_b32 vcc_lo, exec_lo, s2
	s_cbranch_vccnz .LBB18_1863
; %bb.1862:
	v_mov_b32_e32 v3, 0
	global_store_dwordx2 v[0:1], v[2:3], off
.LBB18_1863:
	s_mov_b32 s2, 0
.LBB18_1864:
	s_andn2_b32 vcc_lo, exec_lo, s2
	s_cbranch_vccnz .LBB18_1866
; %bb.1865:
	v_cvt_f16_f32_e32 v3, v2
	v_and_b32_e32 v3, 0xffff, v3
	global_store_dword v[0:1], v3, off
.LBB18_1866:
	s_mov_b32 s2, 0
.LBB18_1867:
	s_andn2_b32 vcc_lo, exec_lo, s2
	s_cbranch_vccnz .LBB18_1876
; %bb.1868:
	s_cmp_lt_i32 s0, 6
	s_mov_b32 s2, -1
	s_cbranch_scc1 .LBB18_1874
; %bb.1869:
	s_cmp_gt_i32 s0, 6
	s_cbranch_scc0 .LBB18_1871
; %bb.1870:
	v_cvt_f64_f32_e32 v[7:8], v2
	s_mov_b32 s2, 0
	global_store_dwordx2 v[0:1], v[7:8], off
.LBB18_1871:
	s_andn2_b32 vcc_lo, exec_lo, s2
	s_cbranch_vccnz .LBB18_1873
; %bb.1872:
	global_store_dword v[0:1], v2, off
.LBB18_1873:
	s_mov_b32 s2, 0
.LBB18_1874:
	s_andn2_b32 vcc_lo, exec_lo, s2
	s_cbranch_vccnz .LBB18_1876
; %bb.1875:
	v_cvt_f16_f32_e32 v3, v2
	global_store_short v[0:1], v3, off
.LBB18_1876:
	s_mov_b32 s2, 0
.LBB18_1877:
	s_andn2_b32 vcc_lo, exec_lo, s2
	s_cbranch_vccnz .LBB18_1893
; %bb.1878:
	s_cmp_lt_i32 s0, 2
	s_mov_b32 s2, -1
	s_cbranch_scc1 .LBB18_1888
; %bb.1879:
	s_cmp_lt_i32 s0, 3
	s_cbranch_scc1 .LBB18_1885
; %bb.1880:
	s_cmp_gt_i32 s0, 3
	s_cbranch_scc0 .LBB18_1882
; %bb.1881:
	v_trunc_f32_e32 v3, v2
	s_mov_b32 s2, 0
	v_mul_f32_e64 v7, 0x2f800000, |v3|
	v_floor_f32_e32 v7, v7
	v_fma_f32 v8, 0xcf800000, v7, |v3|
	v_ashrrev_i32_e32 v3, 31, v3
	v_cvt_u32_f32_e32 v7, v7
	v_cvt_u32_f32_e32 v8, v8
	v_xor_b32_e32 v9, v7, v3
	v_xor_b32_e32 v8, v8, v3
	v_sub_co_u32 v7, vcc_lo, v8, v3
	v_sub_co_ci_u32_e64 v8, null, v9, v3, vcc_lo
	global_store_dwordx2 v[0:1], v[7:8], off
.LBB18_1882:
	s_andn2_b32 vcc_lo, exec_lo, s2
	s_cbranch_vccnz .LBB18_1884
; %bb.1883:
	v_cvt_i32_f32_e32 v3, v2
	global_store_dword v[0:1], v3, off
.LBB18_1884:
	s_mov_b32 s2, 0
.LBB18_1885:
	s_andn2_b32 vcc_lo, exec_lo, s2
	s_cbranch_vccnz .LBB18_1887
; %bb.1886:
	v_cvt_i32_f32_e32 v3, v2
	global_store_short v[0:1], v3, off
.LBB18_1887:
	s_mov_b32 s2, 0
.LBB18_1888:
	s_andn2_b32 vcc_lo, exec_lo, s2
	s_cbranch_vccnz .LBB18_1893
; %bb.1889:
	s_cmp_gt_i32 s0, 0
	s_mov_b32 s0, -1
	s_cbranch_scc0 .LBB18_1891
; %bb.1890:
	v_cvt_i32_f32_e32 v3, v2
	s_mov_b32 s0, 0
	global_store_byte v[0:1], v3, off
.LBB18_1891:
	s_andn2_b32 vcc_lo, exec_lo, s0
	s_cbranch_vccnz .LBB18_1893
; %bb.1892:
	v_trunc_f32_e32 v2, v2
	v_mul_f32_e64 v3, 0x2f800000, |v2|
	v_floor_f32_e32 v3, v3
	v_fma_f32 v3, 0xcf800000, v3, |v2|
	v_ashrrev_i32_e32 v2, 31, v2
	v_cvt_u32_f32_e32 v3, v3
	v_xor_b32_e32 v3, v3, v2
	v_sub_nc_u32_e32 v2, v3, v2
	global_store_byte v[0:1], v2, off
.LBB18_1893:
	s_mov_b32 s5, -1
.LBB18_1894:
	s_andn2_b32 vcc_lo, exec_lo, s5
	s_cbranch_vccnz .LBB18_2090
; %bb.1895:
	v_add_nc_u32_e32 v2, s1, v5
	s_cmp_lt_i32 s12, 11
	v_ashrrev_i32_e32 v1, 31, v2
	v_add_co_u32 v0, vcc_lo, s8, v2
	v_add_co_ci_u32_e64 v1, null, s9, v1, vcc_lo
	s_cbranch_scc1 .LBB18_1973
; %bb.1896:
	s_and_b32 s2, 0xffff, s12
	s_mov_b32 s10, -1
	s_mov_b32 s3, 0
	s_cmp_gt_i32 s2, 25
	s_mov_b32 s5, 0
	s_mov_b32 s0, 0
	s_cbranch_scc0 .LBB18_1929
; %bb.1897:
	s_cmp_gt_i32 s2, 28
	s_cbranch_scc0 .LBB18_1912
; %bb.1898:
	s_cmp_gt_i32 s2, 43
	;; [unrolled: 3-line block ×3, first 2 shown]
	s_cbranch_scc0 .LBB18_1902
; %bb.1900:
	s_mov_b32 s0, -1
	s_mov_b32 s10, 0
	s_cmp_eq_u32 s2, 46
	s_cbranch_scc0 .LBB18_1902
; %bb.1901:
	v_bfe_u32 v3, v4, 16, 1
	v_cmp_o_f32_e32 vcc_lo, v4, v4
	v_mov_b32_e32 v5, 0x7fc0
	s_mov_b32 s0, 0
	s_mov_b32 s5, -1
	v_add3_u32 v3, v4, v3, 0x7fff
	v_cndmask_b32_sdwa v3, v5, v3, vcc_lo dst_sel:DWORD dst_unused:UNUSED_PAD src0_sel:DWORD src1_sel:WORD_1
	global_store_dword v[0:1], v3, off
.LBB18_1902:
	s_and_b32 vcc_lo, exec_lo, s10
	s_cbranch_vccz .LBB18_1907
; %bb.1903:
	s_cmp_eq_u32 s2, 44
	s_mov_b32 s0, -1
	s_cbranch_scc0 .LBB18_1907
; %bb.1904:
	v_bfe_u32 v5, v4, 23, 8
	v_mov_b32_e32 v3, 0xff
	s_mov_b32 s5, exec_lo
	v_cmpx_ne_u32_e32 0xff, v5
	s_cbranch_execz .LBB18_1906
; %bb.1905:
	v_and_b32_e32 v3, 0x400000, v4
	v_and_or_b32 v5, 0x3fffff, v4, v5
	v_cmp_ne_u32_e32 vcc_lo, 0, v3
	v_cmp_ne_u32_e64 s0, 0, v5
	v_lshrrev_b32_e32 v3, 23, v4
	s_and_b32 s0, vcc_lo, s0
	v_cndmask_b32_e64 v5, 0, 1, s0
	v_add_nc_u32_e32 v3, v3, v5
.LBB18_1906:
	s_or_b32 exec_lo, exec_lo, s5
	s_mov_b32 s0, 0
	s_mov_b32 s5, -1
	global_store_byte v[0:1], v3, off
.LBB18_1907:
	s_mov_b32 s10, 0
.LBB18_1908:
	s_and_b32 vcc_lo, exec_lo, s10
	s_cbranch_vccz .LBB18_1911
; %bb.1909:
	s_cmp_eq_u32 s2, 29
	s_mov_b32 s0, -1
	s_cbranch_scc0 .LBB18_1911
; %bb.1910:
	v_trunc_f32_e32 v3, v4
	s_mov_b32 s0, 0
	s_mov_b32 s5, -1
	v_mul_f32_e32 v5, 0x2f800000, v3
	v_floor_f32_e32 v5, v5
	v_fmamk_f32 v3, v5, 0xcf800000, v3
	v_cvt_u32_f32_e32 v8, v5
	v_cvt_u32_f32_e32 v7, v3
	global_store_dwordx2 v[0:1], v[7:8], off
.LBB18_1911:
	s_mov_b32 s10, 0
.LBB18_1912:
	s_and_b32 vcc_lo, exec_lo, s10
	s_cbranch_vccz .LBB18_1928
; %bb.1913:
	s_cmp_lt_i32 s2, 27
	s_mov_b32 s5, -1
	s_cbranch_scc1 .LBB18_1919
; %bb.1914:
	v_cvt_u32_f32_e32 v3, v4
	s_cmp_gt_i32 s2, 27
	s_cbranch_scc0 .LBB18_1916
; %bb.1915:
	s_mov_b32 s5, 0
	global_store_dword v[0:1], v3, off
.LBB18_1916:
	s_andn2_b32 vcc_lo, exec_lo, s5
	s_cbranch_vccnz .LBB18_1918
; %bb.1917:
	global_store_short v[0:1], v3, off
.LBB18_1918:
	s_mov_b32 s5, 0
.LBB18_1919:
	s_andn2_b32 vcc_lo, exec_lo, s5
	s_cbranch_vccnz .LBB18_1927
; %bb.1920:
	v_and_b32_e32 v3, 0x7fffffff, v4
	v_mov_b32_e32 v5, 0x80
	s_mov_b32 s5, exec_lo
	v_cmpx_gt_u32_e32 0x43800000, v3
	s_cbranch_execz .LBB18_1926
; %bb.1921:
	v_cmp_lt_u32_e32 vcc_lo, 0x3bffffff, v3
	s_mov_b32 s10, 0
                                        ; implicit-def: $vgpr3
	s_and_saveexec_b32 s11, vcc_lo
	s_xor_b32 s11, exec_lo, s11
	s_cbranch_execz .LBB18_2103
; %bb.1922:
	v_bfe_u32 v3, v4, 20, 1
	s_mov_b32 s10, exec_lo
	v_add3_u32 v3, v4, v3, 0x487ffff
	v_lshrrev_b32_e32 v3, 20, v3
	s_andn2_saveexec_b32 s11, s11
	s_cbranch_execnz .LBB18_2104
.LBB18_1923:
	s_or_b32 exec_lo, exec_lo, s11
	v_mov_b32_e32 v5, 0
	s_and_saveexec_b32 s11, s10
.LBB18_1924:
	v_lshrrev_b32_e32 v5, 24, v4
	v_and_or_b32 v5, 0x80, v5, v3
.LBB18_1925:
	s_or_b32 exec_lo, exec_lo, s11
.LBB18_1926:
	s_or_b32 exec_lo, exec_lo, s5
	global_store_byte v[0:1], v5, off
.LBB18_1927:
	s_mov_b32 s5, -1
.LBB18_1928:
	s_mov_b32 s10, 0
.LBB18_1929:
	s_and_b32 vcc_lo, exec_lo, s10
	s_cbranch_vccz .LBB18_1969
; %bb.1930:
	s_cmp_gt_i32 s2, 22
	s_mov_b32 s3, -1
	s_cbranch_scc0 .LBB18_1962
; %bb.1931:
	s_cmp_lt_i32 s2, 24
	s_cbranch_scc1 .LBB18_1951
; %bb.1932:
	s_cmp_gt_i32 s2, 24
	s_cbranch_scc0 .LBB18_1940
; %bb.1933:
	v_and_b32_e32 v3, 0x7fffffff, v4
	v_mov_b32_e32 v5, 0x80
	s_mov_b32 s3, exec_lo
	v_cmpx_gt_u32_e32 0x47800000, v3
	s_cbranch_execz .LBB18_1939
; %bb.1934:
	v_cmp_lt_u32_e32 vcc_lo, 0x37ffffff, v3
	s_mov_b32 s5, 0
                                        ; implicit-def: $vgpr3
	s_and_saveexec_b32 s10, vcc_lo
	s_xor_b32 s10, exec_lo, s10
	s_cbranch_execz .LBB18_2106
; %bb.1935:
	v_bfe_u32 v3, v4, 21, 1
	s_mov_b32 s5, exec_lo
	v_add3_u32 v3, v4, v3, 0x88fffff
	v_lshrrev_b32_e32 v3, 21, v3
	s_andn2_saveexec_b32 s10, s10
	s_cbranch_execnz .LBB18_2107
.LBB18_1936:
	s_or_b32 exec_lo, exec_lo, s10
	v_mov_b32_e32 v5, 0
	s_and_saveexec_b32 s10, s5
.LBB18_1937:
	v_lshrrev_b32_e32 v5, 24, v4
	v_and_or_b32 v5, 0x80, v5, v3
.LBB18_1938:
	s_or_b32 exec_lo, exec_lo, s10
.LBB18_1939:
	s_or_b32 exec_lo, exec_lo, s3
	s_mov_b32 s3, 0
	global_store_byte v[0:1], v5, off
.LBB18_1940:
	s_and_b32 vcc_lo, exec_lo, s3
	s_cbranch_vccz .LBB18_1950
; %bb.1941:
	v_and_b32_e32 v5, 0x7fffffff, v4
	s_mov_b32 s3, exec_lo
                                        ; implicit-def: $vgpr3
	v_cmpx_gt_u32_e32 0x43f00000, v5
	s_xor_b32 s3, exec_lo, s3
	s_cbranch_execz .LBB18_1947
; %bb.1942:
	s_mov_b32 s5, exec_lo
                                        ; implicit-def: $vgpr3
	v_cmpx_lt_u32_e32 0x3c7fffff, v5
	s_xor_b32 s5, exec_lo, s5
; %bb.1943:
	v_bfe_u32 v3, v4, 20, 1
	v_add3_u32 v3, v4, v3, 0x407ffff
	v_and_b32_e32 v5, 0xff00000, v3
	v_lshrrev_b32_e32 v3, 20, v3
	v_cmp_ne_u32_e32 vcc_lo, 0x7f00000, v5
	v_cndmask_b32_e32 v3, 0x7e, v3, vcc_lo
; %bb.1944:
	s_andn2_saveexec_b32 s5, s5
; %bb.1945:
	v_add_f32_e64 v3, 0x46800000, |v4|
; %bb.1946:
	s_or_b32 exec_lo, exec_lo, s5
                                        ; implicit-def: $vgpr5
.LBB18_1947:
	s_andn2_saveexec_b32 s3, s3
; %bb.1948:
	v_mov_b32_e32 v3, 0x7f
	v_cmp_lt_u32_e32 vcc_lo, 0x7f800000, v5
	v_cndmask_b32_e32 v3, 0x7e, v3, vcc_lo
; %bb.1949:
	s_or_b32 exec_lo, exec_lo, s3
	v_lshrrev_b32_e32 v5, 24, v4
	v_and_or_b32 v3, 0x80, v5, v3
	global_store_byte v[0:1], v3, off
.LBB18_1950:
	s_mov_b32 s3, 0
.LBB18_1951:
	s_andn2_b32 vcc_lo, exec_lo, s3
	s_cbranch_vccnz .LBB18_1961
; %bb.1952:
	v_and_b32_e32 v5, 0x7fffffff, v4
	s_mov_b32 s3, exec_lo
                                        ; implicit-def: $vgpr3
	v_cmpx_gt_u32_e32 0x47800000, v5
	s_xor_b32 s3, exec_lo, s3
	s_cbranch_execz .LBB18_1958
; %bb.1953:
	s_mov_b32 s5, exec_lo
                                        ; implicit-def: $vgpr3
	v_cmpx_lt_u32_e32 0x387fffff, v5
	s_xor_b32 s5, exec_lo, s5
; %bb.1954:
	v_bfe_u32 v3, v4, 21, 1
	v_add3_u32 v3, v4, v3, 0x80fffff
	v_lshrrev_b32_e32 v3, 21, v3
; %bb.1955:
	s_andn2_saveexec_b32 s5, s5
; %bb.1956:
	v_add_f32_e64 v3, 0x43000000, |v4|
; %bb.1957:
	s_or_b32 exec_lo, exec_lo, s5
                                        ; implicit-def: $vgpr5
.LBB18_1958:
	s_andn2_saveexec_b32 s3, s3
; %bb.1959:
	v_mov_b32_e32 v3, 0x7f
	v_cmp_lt_u32_e32 vcc_lo, 0x7f800000, v5
	v_cndmask_b32_e32 v3, 0x7c, v3, vcc_lo
; %bb.1960:
	s_or_b32 exec_lo, exec_lo, s3
	v_lshrrev_b32_e32 v5, 24, v4
	v_and_or_b32 v3, 0x80, v5, v3
	global_store_byte v[0:1], v3, off
.LBB18_1961:
	s_mov_b32 s3, 0
	s_mov_b32 s5, -1
.LBB18_1962:
	s_andn2_b32 vcc_lo, exec_lo, s3
	s_mov_b32 s3, 0
	s_cbranch_vccnz .LBB18_1969
; %bb.1963:
	s_cmp_gt_i32 s2, 14
	s_mov_b32 s3, -1
	s_cbranch_scc0 .LBB18_1967
; %bb.1964:
	s_cmp_eq_u32 s2, 15
	s_mov_b32 s0, -1
	s_cbranch_scc0 .LBB18_1966
; %bb.1965:
	v_bfe_u32 v3, v4, 16, 1
	v_cmp_o_f32_e32 vcc_lo, v4, v4
	v_mov_b32_e32 v5, 0x7fc0
	s_mov_b32 s0, 0
	s_mov_b32 s5, -1
	v_add3_u32 v3, v4, v3, 0x7fff
	v_cndmask_b32_sdwa v3, v5, v3, vcc_lo dst_sel:DWORD dst_unused:UNUSED_PAD src0_sel:DWORD src1_sel:WORD_1
	global_store_short v[0:1], v3, off
.LBB18_1966:
	s_mov_b32 s3, 0
.LBB18_1967:
	s_and_b32 vcc_lo, exec_lo, s3
	s_mov_b32 s3, 0
	s_cbranch_vccz .LBB18_1969
; %bb.1968:
	s_cmp_lg_u32 s2, 11
	s_mov_b32 s3, -1
	s_cselect_b32 s0, -1, 0
.LBB18_1969:
	s_and_b32 vcc_lo, exec_lo, s0
	s_cbranch_vccnz .LBB18_2105
; %bb.1970:
	s_andn2_b32 vcc_lo, exec_lo, s3
	s_cbranch_vccnz .LBB18_1972
.LBB18_1971:
	v_cmp_neq_f32_e32 vcc_lo, 0, v4
	s_mov_b32 s5, -1
	v_cndmask_b32_e64 v3, 0, 1, vcc_lo
	global_store_byte v[0:1], v3, off
.LBB18_1972:
	s_mov_b32 s0, 0
	s_branch .LBB18_1974
.LBB18_1973:
	s_mov_b32 s0, -1
	s_mov_b32 s5, 0
.LBB18_1974:
	s_and_b32 vcc_lo, exec_lo, s0
	s_cbranch_vccz .LBB18_2013
; %bb.1975:
	s_and_b32 s0, 0xffff, s12
	s_mov_b32 s2, -1
	s_cmp_lt_i32 s0, 5
	s_cbranch_scc1 .LBB18_1996
; %bb.1976:
	s_cmp_lt_i32 s0, 8
	s_cbranch_scc1 .LBB18_1986
; %bb.1977:
	;; [unrolled: 3-line block ×3, first 2 shown]
	s_cmp_gt_i32 s0, 9
	s_cbranch_scc0 .LBB18_1980
; %bb.1979:
	v_cvt_f64_f32_e32 v[7:8], v4
	v_mov_b32_e32 v9, 0
	s_mov_b32 s2, 0
	v_mov_b32_e32 v10, v9
	global_store_dwordx4 v[0:1], v[7:10], off
.LBB18_1980:
	s_andn2_b32 vcc_lo, exec_lo, s2
	s_cbranch_vccnz .LBB18_1982
; %bb.1981:
	v_mov_b32_e32 v5, 0
	global_store_dwordx2 v[0:1], v[4:5], off
.LBB18_1982:
	s_mov_b32 s2, 0
.LBB18_1983:
	s_andn2_b32 vcc_lo, exec_lo, s2
	s_cbranch_vccnz .LBB18_1985
; %bb.1984:
	v_cvt_f16_f32_e32 v3, v4
	v_and_b32_e32 v3, 0xffff, v3
	global_store_dword v[0:1], v3, off
.LBB18_1985:
	s_mov_b32 s2, 0
.LBB18_1986:
	s_andn2_b32 vcc_lo, exec_lo, s2
	s_cbranch_vccnz .LBB18_1995
; %bb.1987:
	s_cmp_lt_i32 s0, 6
	s_mov_b32 s2, -1
	s_cbranch_scc1 .LBB18_1993
; %bb.1988:
	s_cmp_gt_i32 s0, 6
	s_cbranch_scc0 .LBB18_1990
; %bb.1989:
	v_cvt_f64_f32_e32 v[7:8], v4
	s_mov_b32 s2, 0
	global_store_dwordx2 v[0:1], v[7:8], off
.LBB18_1990:
	s_andn2_b32 vcc_lo, exec_lo, s2
	s_cbranch_vccnz .LBB18_1992
; %bb.1991:
	global_store_dword v[0:1], v4, off
.LBB18_1992:
	s_mov_b32 s2, 0
.LBB18_1993:
	s_andn2_b32 vcc_lo, exec_lo, s2
	s_cbranch_vccnz .LBB18_1995
; %bb.1994:
	v_cvt_f16_f32_e32 v3, v4
	global_store_short v[0:1], v3, off
.LBB18_1995:
	s_mov_b32 s2, 0
.LBB18_1996:
	s_andn2_b32 vcc_lo, exec_lo, s2
	s_cbranch_vccnz .LBB18_2012
; %bb.1997:
	s_cmp_lt_i32 s0, 2
	s_mov_b32 s2, -1
	s_cbranch_scc1 .LBB18_2007
; %bb.1998:
	s_cmp_lt_i32 s0, 3
	s_cbranch_scc1 .LBB18_2004
; %bb.1999:
	s_cmp_gt_i32 s0, 3
	s_cbranch_scc0 .LBB18_2001
; %bb.2000:
	v_trunc_f32_e32 v3, v4
	s_mov_b32 s2, 0
	v_mul_f32_e64 v5, 0x2f800000, |v3|
	v_floor_f32_e32 v5, v5
	v_fma_f32 v7, 0xcf800000, v5, |v3|
	v_ashrrev_i32_e32 v3, 31, v3
	v_cvt_u32_f32_e32 v5, v5
	v_cvt_u32_f32_e32 v7, v7
	v_xor_b32_e32 v5, v5, v3
	v_xor_b32_e32 v7, v7, v3
	v_sub_co_u32 v7, vcc_lo, v7, v3
	v_sub_co_ci_u32_e64 v8, null, v5, v3, vcc_lo
	global_store_dwordx2 v[0:1], v[7:8], off
.LBB18_2001:
	s_andn2_b32 vcc_lo, exec_lo, s2
	s_cbranch_vccnz .LBB18_2003
; %bb.2002:
	v_cvt_i32_f32_e32 v3, v4
	global_store_dword v[0:1], v3, off
.LBB18_2003:
	s_mov_b32 s2, 0
.LBB18_2004:
	s_andn2_b32 vcc_lo, exec_lo, s2
	s_cbranch_vccnz .LBB18_2006
; %bb.2005:
	v_cvt_i32_f32_e32 v3, v4
	global_store_short v[0:1], v3, off
.LBB18_2006:
	s_mov_b32 s2, 0
.LBB18_2007:
	s_andn2_b32 vcc_lo, exec_lo, s2
	s_cbranch_vccnz .LBB18_2012
; %bb.2008:
	s_cmp_gt_i32 s0, 0
	s_mov_b32 s0, -1
	s_cbranch_scc0 .LBB18_2010
; %bb.2009:
	v_cvt_i32_f32_e32 v3, v4
	s_mov_b32 s0, 0
	global_store_byte v[0:1], v3, off
.LBB18_2010:
	s_andn2_b32 vcc_lo, exec_lo, s0
	s_cbranch_vccnz .LBB18_2012
; %bb.2011:
	v_trunc_f32_e32 v3, v4
	v_mul_f32_e64 v4, 0x2f800000, |v3|
	v_floor_f32_e32 v4, v4
	v_fma_f32 v4, 0xcf800000, v4, |v3|
	v_ashrrev_i32_e32 v3, 31, v3
	v_cvt_u32_f32_e32 v4, v4
	v_xor_b32_e32 v4, v4, v3
	v_sub_nc_u32_e32 v3, v4, v3
	global_store_byte v[0:1], v3, off
.LBB18_2012:
	s_mov_b32 s5, -1
.LBB18_2013:
	s_andn2_b32 vcc_lo, exec_lo, s5
	s_cbranch_vccnz .LBB18_2090
; %bb.2014:
	v_add_nc_u32_e32 v0, s1, v2
	s_cmp_lt_i32 s12, 11
	v_ashrrev_i32_e32 v1, 31, v0
	v_add_co_u32 v0, vcc_lo, s8, v0
	v_add_co_ci_u32_e64 v1, null, s9, v1, vcc_lo
	s_cbranch_scc1 .LBB18_2091
; %bb.2015:
	s_and_b32 s1, 0xffff, s12
	s_mov_b32 s3, -1
	s_mov_b32 s2, 0
	s_cmp_gt_i32 s1, 25
	s_mov_b32 s0, 0
	s_cbranch_scc0 .LBB18_2048
; %bb.2016:
	s_cmp_gt_i32 s1, 28
	s_cbranch_scc0 .LBB18_2032
; %bb.2017:
	s_cmp_gt_i32 s1, 43
	;; [unrolled: 3-line block ×3, first 2 shown]
	s_cbranch_scc0 .LBB18_2022
; %bb.2019:
	s_cmp_eq_u32 s1, 46
	s_mov_b32 s0, -1
	s_cbranch_scc0 .LBB18_2021
; %bb.2020:
	v_bfe_u32 v2, v6, 16, 1
	v_cmp_o_f32_e32 vcc_lo, v6, v6
	v_mov_b32_e32 v3, 0x7fc0
	s_mov_b32 s0, 0
	v_add3_u32 v2, v6, v2, 0x7fff
	v_cndmask_b32_sdwa v2, v3, v2, vcc_lo dst_sel:DWORD dst_unused:UNUSED_PAD src0_sel:DWORD src1_sel:WORD_1
	global_store_dword v[0:1], v2, off
.LBB18_2021:
	s_mov_b32 s3, 0
.LBB18_2022:
	s_and_b32 vcc_lo, exec_lo, s3
	s_cbranch_vccz .LBB18_2027
; %bb.2023:
	s_cmp_eq_u32 s1, 44
	s_mov_b32 s0, -1
	s_cbranch_scc0 .LBB18_2027
; %bb.2024:
	v_bfe_u32 v3, v6, 23, 8
	v_mov_b32_e32 v2, 0xff
	s_mov_b32 s3, exec_lo
	v_cmpx_ne_u32_e32 0xff, v3
	s_cbranch_execz .LBB18_2026
; %bb.2025:
	v_and_b32_e32 v2, 0x400000, v6
	v_and_or_b32 v3, 0x3fffff, v6, v3
	v_cmp_ne_u32_e32 vcc_lo, 0, v2
	v_cmp_ne_u32_e64 s0, 0, v3
	v_lshrrev_b32_e32 v2, 23, v6
	s_and_b32 s0, vcc_lo, s0
	v_cndmask_b32_e64 v3, 0, 1, s0
	v_add_nc_u32_e32 v2, v2, v3
.LBB18_2026:
	s_or_b32 exec_lo, exec_lo, s3
	s_mov_b32 s0, 0
	global_store_byte v[0:1], v2, off
.LBB18_2027:
	s_mov_b32 s3, 0
.LBB18_2028:
	s_and_b32 vcc_lo, exec_lo, s3
	s_cbranch_vccz .LBB18_2031
; %bb.2029:
	s_cmp_eq_u32 s1, 29
	s_mov_b32 s0, -1
	s_cbranch_scc0 .LBB18_2031
; %bb.2030:
	v_trunc_f32_e32 v2, v6
	s_mov_b32 s0, 0
	v_mul_f32_e32 v3, 0x2f800000, v2
	v_floor_f32_e32 v3, v3
	v_fmamk_f32 v2, v3, 0xcf800000, v2
	v_cvt_u32_f32_e32 v3, v3
	v_cvt_u32_f32_e32 v2, v2
	global_store_dwordx2 v[0:1], v[2:3], off
.LBB18_2031:
	s_mov_b32 s3, 0
.LBB18_2032:
	s_and_b32 vcc_lo, exec_lo, s3
	s_cbranch_vccz .LBB18_2047
; %bb.2033:
	s_cmp_lt_i32 s1, 27
	s_mov_b32 s3, -1
	s_cbranch_scc1 .LBB18_2039
; %bb.2034:
	v_cvt_u32_f32_e32 v2, v6
	s_cmp_gt_i32 s1, 27
	s_cbranch_scc0 .LBB18_2036
; %bb.2035:
	s_mov_b32 s3, 0
	global_store_dword v[0:1], v2, off
.LBB18_2036:
	s_andn2_b32 vcc_lo, exec_lo, s3
	s_cbranch_vccnz .LBB18_2038
; %bb.2037:
	global_store_short v[0:1], v2, off
.LBB18_2038:
	s_mov_b32 s3, 0
.LBB18_2039:
	s_andn2_b32 vcc_lo, exec_lo, s3
	s_cbranch_vccnz .LBB18_2047
; %bb.2040:
	v_and_b32_e32 v2, 0x7fffffff, v6
	v_mov_b32_e32 v3, 0x80
	s_mov_b32 s3, exec_lo
	v_cmpx_gt_u32_e32 0x43800000, v2
	s_cbranch_execz .LBB18_2046
; %bb.2041:
	v_cmp_lt_u32_e32 vcc_lo, 0x3bffffff, v2
	s_mov_b32 s5, 0
                                        ; implicit-def: $vgpr2
	s_and_saveexec_b32 s8, vcc_lo
	s_xor_b32 s8, exec_lo, s8
	s_cbranch_execz .LBB18_2108
; %bb.2042:
	v_bfe_u32 v2, v6, 20, 1
	s_mov_b32 s5, exec_lo
	v_add3_u32 v2, v6, v2, 0x487ffff
	v_lshrrev_b32_e32 v2, 20, v2
	s_andn2_saveexec_b32 s8, s8
	s_cbranch_execnz .LBB18_2109
.LBB18_2043:
	s_or_b32 exec_lo, exec_lo, s8
	v_mov_b32_e32 v3, 0
	s_and_saveexec_b32 s8, s5
.LBB18_2044:
	v_lshrrev_b32_e32 v3, 24, v6
	v_and_or_b32 v3, 0x80, v3, v2
.LBB18_2045:
	s_or_b32 exec_lo, exec_lo, s8
.LBB18_2046:
	s_or_b32 exec_lo, exec_lo, s3
	global_store_byte v[0:1], v3, off
.LBB18_2047:
	s_mov_b32 s3, 0
.LBB18_2048:
	s_and_b32 vcc_lo, exec_lo, s3
	s_cbranch_vccz .LBB18_2088
; %bb.2049:
	s_cmp_gt_i32 s1, 22
	s_mov_b32 s2, -1
	s_cbranch_scc0 .LBB18_2081
; %bb.2050:
	s_cmp_lt_i32 s1, 24
	s_cbranch_scc1 .LBB18_2070
; %bb.2051:
	s_cmp_gt_i32 s1, 24
	s_cbranch_scc0 .LBB18_2059
; %bb.2052:
	v_and_b32_e32 v2, 0x7fffffff, v6
	v_mov_b32_e32 v3, 0x80
	s_mov_b32 s2, exec_lo
	v_cmpx_gt_u32_e32 0x47800000, v2
	s_cbranch_execz .LBB18_2058
; %bb.2053:
	v_cmp_lt_u32_e32 vcc_lo, 0x37ffffff, v2
	s_mov_b32 s3, 0
                                        ; implicit-def: $vgpr2
	s_and_saveexec_b32 s5, vcc_lo
	s_xor_b32 s5, exec_lo, s5
	s_cbranch_execz .LBB18_2111
; %bb.2054:
	v_bfe_u32 v2, v6, 21, 1
	s_mov_b32 s3, exec_lo
	v_add3_u32 v2, v6, v2, 0x88fffff
	v_lshrrev_b32_e32 v2, 21, v2
	s_andn2_saveexec_b32 s5, s5
	s_cbranch_execnz .LBB18_2112
.LBB18_2055:
	s_or_b32 exec_lo, exec_lo, s5
	v_mov_b32_e32 v3, 0
	s_and_saveexec_b32 s5, s3
.LBB18_2056:
	v_lshrrev_b32_e32 v3, 24, v6
	v_and_or_b32 v3, 0x80, v3, v2
.LBB18_2057:
	s_or_b32 exec_lo, exec_lo, s5
.LBB18_2058:
	s_or_b32 exec_lo, exec_lo, s2
	s_mov_b32 s2, 0
	global_store_byte v[0:1], v3, off
.LBB18_2059:
	s_and_b32 vcc_lo, exec_lo, s2
	s_cbranch_vccz .LBB18_2069
; %bb.2060:
	v_and_b32_e32 v3, 0x7fffffff, v6
	s_mov_b32 s2, exec_lo
                                        ; implicit-def: $vgpr2
	v_cmpx_gt_u32_e32 0x43f00000, v3
	s_xor_b32 s2, exec_lo, s2
	s_cbranch_execz .LBB18_2066
; %bb.2061:
	s_mov_b32 s3, exec_lo
                                        ; implicit-def: $vgpr2
	v_cmpx_lt_u32_e32 0x3c7fffff, v3
	s_xor_b32 s3, exec_lo, s3
; %bb.2062:
	v_bfe_u32 v2, v6, 20, 1
	v_add3_u32 v2, v6, v2, 0x407ffff
	v_and_b32_e32 v3, 0xff00000, v2
	v_lshrrev_b32_e32 v2, 20, v2
	v_cmp_ne_u32_e32 vcc_lo, 0x7f00000, v3
	v_cndmask_b32_e32 v2, 0x7e, v2, vcc_lo
; %bb.2063:
	s_andn2_saveexec_b32 s3, s3
; %bb.2064:
	v_add_f32_e64 v2, 0x46800000, |v6|
; %bb.2065:
	s_or_b32 exec_lo, exec_lo, s3
                                        ; implicit-def: $vgpr3
.LBB18_2066:
	s_andn2_saveexec_b32 s2, s2
; %bb.2067:
	v_mov_b32_e32 v2, 0x7f
	v_cmp_lt_u32_e32 vcc_lo, 0x7f800000, v3
	v_cndmask_b32_e32 v2, 0x7e, v2, vcc_lo
; %bb.2068:
	s_or_b32 exec_lo, exec_lo, s2
	v_lshrrev_b32_e32 v3, 24, v6
	v_and_or_b32 v2, 0x80, v3, v2
	global_store_byte v[0:1], v2, off
.LBB18_2069:
	s_mov_b32 s2, 0
.LBB18_2070:
	s_andn2_b32 vcc_lo, exec_lo, s2
	s_cbranch_vccnz .LBB18_2080
; %bb.2071:
	v_and_b32_e32 v3, 0x7fffffff, v6
	s_mov_b32 s2, exec_lo
                                        ; implicit-def: $vgpr2
	v_cmpx_gt_u32_e32 0x47800000, v3
	s_xor_b32 s2, exec_lo, s2
	s_cbranch_execz .LBB18_2077
; %bb.2072:
	s_mov_b32 s3, exec_lo
                                        ; implicit-def: $vgpr2
	v_cmpx_lt_u32_e32 0x387fffff, v3
	s_xor_b32 s3, exec_lo, s3
; %bb.2073:
	v_bfe_u32 v2, v6, 21, 1
	v_add3_u32 v2, v6, v2, 0x80fffff
	v_lshrrev_b32_e32 v2, 21, v2
; %bb.2074:
	s_andn2_saveexec_b32 s3, s3
; %bb.2075:
	v_add_f32_e64 v2, 0x43000000, |v6|
; %bb.2076:
	s_or_b32 exec_lo, exec_lo, s3
                                        ; implicit-def: $vgpr3
.LBB18_2077:
	s_andn2_saveexec_b32 s2, s2
; %bb.2078:
	v_mov_b32_e32 v2, 0x7f
	v_cmp_lt_u32_e32 vcc_lo, 0x7f800000, v3
	v_cndmask_b32_e32 v2, 0x7c, v2, vcc_lo
; %bb.2079:
	s_or_b32 exec_lo, exec_lo, s2
	v_lshrrev_b32_e32 v3, 24, v6
	v_and_or_b32 v2, 0x80, v3, v2
	global_store_byte v[0:1], v2, off
.LBB18_2080:
	s_mov_b32 s2, 0
.LBB18_2081:
	s_andn2_b32 vcc_lo, exec_lo, s2
	s_mov_b32 s2, 0
	s_cbranch_vccnz .LBB18_2088
; %bb.2082:
	s_cmp_gt_i32 s1, 14
	s_mov_b32 s2, -1
	s_cbranch_scc0 .LBB18_2086
; %bb.2083:
	s_cmp_eq_u32 s1, 15
	s_mov_b32 s0, -1
	s_cbranch_scc0 .LBB18_2085
; %bb.2084:
	v_bfe_u32 v2, v6, 16, 1
	v_cmp_o_f32_e32 vcc_lo, v6, v6
	v_mov_b32_e32 v3, 0x7fc0
	s_mov_b32 s0, 0
	v_add3_u32 v2, v6, v2, 0x7fff
	v_cndmask_b32_sdwa v2, v3, v2, vcc_lo dst_sel:DWORD dst_unused:UNUSED_PAD src0_sel:DWORD src1_sel:WORD_1
	global_store_short v[0:1], v2, off
.LBB18_2085:
	s_mov_b32 s2, 0
.LBB18_2086:
	s_and_b32 vcc_lo, exec_lo, s2
	s_mov_b32 s2, 0
	s_cbranch_vccz .LBB18_2088
; %bb.2087:
	s_cmp_lg_u32 s1, 11
	s_mov_b32 s2, -1
	s_cselect_b32 s0, -1, 0
.LBB18_2088:
	s_and_b32 vcc_lo, exec_lo, s0
	s_cbranch_vccnz .LBB18_2110
.LBB18_2089:
	s_mov_b32 s0, 0
	s_branch .LBB18_1691
.LBB18_2090:
	s_mov_b32 s0, 0
	s_mov_b32 s2, 0
                                        ; implicit-def: $sgpr12
                                        ; implicit-def: $vgpr0_vgpr1
	s_branch .LBB18_1691
.LBB18_2091:
	s_mov_b32 s2, 0
	s_mov_b32 s0, -1
	s_branch .LBB18_1691
.LBB18_2092:
	s_or_b32 s4, s4, exec_lo
	s_trap 2
	s_cbranch_execz .LBB18_1552
	s_branch .LBB18_1553
.LBB18_2093:
	s_andn2_saveexec_b32 s11, s11
	s_cbranch_execz .LBB18_1640
.LBB18_2094:
	v_add_f32_e64 v1, 0x46000000, |v0|
	s_andn2_b32 s10, s10, exec_lo
	v_and_b32_e32 v1, 0xff, v1
	v_cmp_ne_u32_e32 vcc_lo, 0, v1
	s_and_b32 s13, vcc_lo, exec_lo
	s_or_b32 s10, s10, s13
	s_or_b32 exec_lo, exec_lo, s11
	v_mov_b32_e32 v5, 0
	s_and_saveexec_b32 s11, s10
	s_cbranch_execnz .LBB18_1641
	s_branch .LBB18_1642
.LBB18_2095:
	s_or_b32 s4, s4, exec_lo
	s_trap 2
	s_cbranch_execz .LBB18_1688
	s_branch .LBB18_1689
.LBB18_2096:
	s_andn2_saveexec_b32 s10, s10
	s_cbranch_execz .LBB18_1653
.LBB18_2097:
	v_add_f32_e64 v1, 0x42800000, |v0|
	s_andn2_b32 s5, s5, exec_lo
	v_and_b32_e32 v1, 0xff, v1
	v_cmp_ne_u32_e32 vcc_lo, 0, v1
	s_and_b32 s11, vcc_lo, exec_lo
	s_or_b32 s5, s5, s11
	s_or_b32 exec_lo, exec_lo, s10
	v_mov_b32_e32 v5, 0
	s_and_saveexec_b32 s10, s5
	s_cbranch_execnz .LBB18_1654
	s_branch .LBB18_1655
.LBB18_2098:
	s_andn2_saveexec_b32 s11, s11
	s_cbranch_execz .LBB18_1804
.LBB18_2099:
	v_add_f32_e64 v3, 0x46000000, |v2|
	s_andn2_b32 s10, s10, exec_lo
	v_and_b32_e32 v3, 0xff, v3
	v_cmp_ne_u32_e32 vcc_lo, 0, v3
	s_and_b32 s13, vcc_lo, exec_lo
	s_or_b32 s10, s10, s13
	s_or_b32 exec_lo, exec_lo, s11
	v_mov_b32_e32 v7, 0
	s_and_saveexec_b32 s11, s10
	s_cbranch_execnz .LBB18_1805
	s_branch .LBB18_1806
.LBB18_2100:
	s_or_b32 s4, s4, exec_lo
	s_trap 2
	s_cbranch_execz .LBB18_1852
	s_branch .LBB18_1853
.LBB18_2101:
	s_andn2_saveexec_b32 s10, s10
	s_cbranch_execz .LBB18_1817
.LBB18_2102:
	v_add_f32_e64 v3, 0x42800000, |v2|
	s_andn2_b32 s5, s5, exec_lo
	v_and_b32_e32 v3, 0xff, v3
	v_cmp_ne_u32_e32 vcc_lo, 0, v3
	s_and_b32 s11, vcc_lo, exec_lo
	s_or_b32 s5, s5, s11
	s_or_b32 exec_lo, exec_lo, s10
	v_mov_b32_e32 v7, 0
	s_and_saveexec_b32 s10, s5
	s_cbranch_execnz .LBB18_1818
	s_branch .LBB18_1819
.LBB18_2103:
	s_andn2_saveexec_b32 s11, s11
	s_cbranch_execz .LBB18_1923
.LBB18_2104:
	v_add_f32_e64 v3, 0x46000000, |v4|
	s_andn2_b32 s10, s10, exec_lo
	v_and_b32_e32 v3, 0xff, v3
	v_cmp_ne_u32_e32 vcc_lo, 0, v3
	s_and_b32 s13, vcc_lo, exec_lo
	s_or_b32 s10, s10, s13
	s_or_b32 exec_lo, exec_lo, s11
	v_mov_b32_e32 v5, 0
	s_and_saveexec_b32 s11, s10
	s_cbranch_execnz .LBB18_1924
	s_branch .LBB18_1925
.LBB18_2105:
	s_or_b32 s4, s4, exec_lo
	s_trap 2
	s_cbranch_execz .LBB18_1971
	s_branch .LBB18_1972
.LBB18_2106:
	s_andn2_saveexec_b32 s10, s10
	s_cbranch_execz .LBB18_1936
.LBB18_2107:
	v_add_f32_e64 v3, 0x42800000, |v4|
	s_andn2_b32 s5, s5, exec_lo
	v_and_b32_e32 v3, 0xff, v3
	v_cmp_ne_u32_e32 vcc_lo, 0, v3
	s_and_b32 s11, vcc_lo, exec_lo
	s_or_b32 s5, s5, s11
	s_or_b32 exec_lo, exec_lo, s10
	v_mov_b32_e32 v5, 0
	s_and_saveexec_b32 s10, s5
	s_cbranch_execnz .LBB18_1937
	s_branch .LBB18_1938
.LBB18_2108:
	s_andn2_saveexec_b32 s8, s8
	s_cbranch_execz .LBB18_2043
.LBB18_2109:
	v_add_f32_e64 v2, 0x46000000, |v6|
	s_andn2_b32 s5, s5, exec_lo
	v_and_b32_e32 v2, 0xff, v2
	v_cmp_ne_u32_e32 vcc_lo, 0, v2
	s_and_b32 s9, vcc_lo, exec_lo
	s_or_b32 s5, s5, s9
	s_or_b32 exec_lo, exec_lo, s8
	v_mov_b32_e32 v3, 0
	s_and_saveexec_b32 s8, s5
	s_cbranch_execnz .LBB18_2044
	s_branch .LBB18_2045
.LBB18_2110:
	s_mov_b32 s2, 0
	s_or_b32 s4, s4, exec_lo
	s_trap 2
	s_branch .LBB18_2089
.LBB18_2111:
	s_andn2_saveexec_b32 s5, s5
	s_cbranch_execz .LBB18_2055
.LBB18_2112:
	v_add_f32_e64 v2, 0x42800000, |v6|
	s_andn2_b32 s3, s3, exec_lo
	v_and_b32_e32 v2, 0xff, v2
	v_cmp_ne_u32_e32 vcc_lo, 0, v2
	s_and_b32 s8, vcc_lo, exec_lo
	s_or_b32 s3, s3, s8
	s_or_b32 exec_lo, exec_lo, s5
	v_mov_b32_e32 v3, 0
	s_and_saveexec_b32 s5, s3
	s_cbranch_execnz .LBB18_2056
	s_branch .LBB18_2057
	.section	.rodata,"a",@progbits
	.p2align	6, 0x0
	.amdhsa_kernel _ZN2at6native32elementwise_kernel_manual_unrollILi128ELi4EZNS0_15gpu_kernel_implIZZZNS0_12_GLOBAL__N_130modified_bessel_k1_kernel_cudaERNS_18TensorIteratorBaseEENKUlvE_clEvENKUlvE0_clEvEUlfE_EEvS5_RKT_EUlibE_EEviT1_
		.amdhsa_group_segment_fixed_size 0
		.amdhsa_private_segment_fixed_size 0
		.amdhsa_kernarg_size 40
		.amdhsa_user_sgpr_count 6
		.amdhsa_user_sgpr_private_segment_buffer 1
		.amdhsa_user_sgpr_dispatch_ptr 0
		.amdhsa_user_sgpr_queue_ptr 0
		.amdhsa_user_sgpr_kernarg_segment_ptr 1
		.amdhsa_user_sgpr_dispatch_id 0
		.amdhsa_user_sgpr_flat_scratch_init 0
		.amdhsa_user_sgpr_private_segment_size 0
		.amdhsa_wavefront_size32 1
		.amdhsa_uses_dynamic_stack 0
		.amdhsa_system_sgpr_private_segment_wavefront_offset 0
		.amdhsa_system_sgpr_workgroup_id_x 1
		.amdhsa_system_sgpr_workgroup_id_y 0
		.amdhsa_system_sgpr_workgroup_id_z 0
		.amdhsa_system_sgpr_workgroup_info 0
		.amdhsa_system_vgpr_workitem_id 0
		.amdhsa_next_free_vgpr 17
		.amdhsa_next_free_sgpr 26
		.amdhsa_reserve_vcc 1
		.amdhsa_reserve_flat_scratch 0
		.amdhsa_float_round_mode_32 0
		.amdhsa_float_round_mode_16_64 0
		.amdhsa_float_denorm_mode_32 3
		.amdhsa_float_denorm_mode_16_64 3
		.amdhsa_dx10_clamp 1
		.amdhsa_ieee_mode 1
		.amdhsa_fp16_overflow 0
		.amdhsa_workgroup_processor_mode 1
		.amdhsa_memory_ordered 1
		.amdhsa_forward_progress 1
		.amdhsa_shared_vgpr_count 0
		.amdhsa_exception_fp_ieee_invalid_op 0
		.amdhsa_exception_fp_denorm_src 0
		.amdhsa_exception_fp_ieee_div_zero 0
		.amdhsa_exception_fp_ieee_overflow 0
		.amdhsa_exception_fp_ieee_underflow 0
		.amdhsa_exception_fp_ieee_inexact 0
		.amdhsa_exception_int_div_zero 0
	.end_amdhsa_kernel
	.section	.text._ZN2at6native32elementwise_kernel_manual_unrollILi128ELi4EZNS0_15gpu_kernel_implIZZZNS0_12_GLOBAL__N_130modified_bessel_k1_kernel_cudaERNS_18TensorIteratorBaseEENKUlvE_clEvENKUlvE0_clEvEUlfE_EEvS5_RKT_EUlibE_EEviT1_,"axG",@progbits,_ZN2at6native32elementwise_kernel_manual_unrollILi128ELi4EZNS0_15gpu_kernel_implIZZZNS0_12_GLOBAL__N_130modified_bessel_k1_kernel_cudaERNS_18TensorIteratorBaseEENKUlvE_clEvENKUlvE0_clEvEUlfE_EEvS5_RKT_EUlibE_EEviT1_,comdat
.Lfunc_end18:
	.size	_ZN2at6native32elementwise_kernel_manual_unrollILi128ELi4EZNS0_15gpu_kernel_implIZZZNS0_12_GLOBAL__N_130modified_bessel_k1_kernel_cudaERNS_18TensorIteratorBaseEENKUlvE_clEvENKUlvE0_clEvEUlfE_EEvS5_RKT_EUlibE_EEviT1_, .Lfunc_end18-_ZN2at6native32elementwise_kernel_manual_unrollILi128ELi4EZNS0_15gpu_kernel_implIZZZNS0_12_GLOBAL__N_130modified_bessel_k1_kernel_cudaERNS_18TensorIteratorBaseEENKUlvE_clEvENKUlvE0_clEvEUlfE_EEvS5_RKT_EUlibE_EEviT1_
                                        ; -- End function
	.set _ZN2at6native32elementwise_kernel_manual_unrollILi128ELi4EZNS0_15gpu_kernel_implIZZZNS0_12_GLOBAL__N_130modified_bessel_k1_kernel_cudaERNS_18TensorIteratorBaseEENKUlvE_clEvENKUlvE0_clEvEUlfE_EEvS5_RKT_EUlibE_EEviT1_.num_vgpr, 17
	.set _ZN2at6native32elementwise_kernel_manual_unrollILi128ELi4EZNS0_15gpu_kernel_implIZZZNS0_12_GLOBAL__N_130modified_bessel_k1_kernel_cudaERNS_18TensorIteratorBaseEENKUlvE_clEvENKUlvE0_clEvEUlfE_EEvS5_RKT_EUlibE_EEviT1_.num_agpr, 0
	.set _ZN2at6native32elementwise_kernel_manual_unrollILi128ELi4EZNS0_15gpu_kernel_implIZZZNS0_12_GLOBAL__N_130modified_bessel_k1_kernel_cudaERNS_18TensorIteratorBaseEENKUlvE_clEvENKUlvE0_clEvEUlfE_EEvS5_RKT_EUlibE_EEviT1_.numbered_sgpr, 26
	.set _ZN2at6native32elementwise_kernel_manual_unrollILi128ELi4EZNS0_15gpu_kernel_implIZZZNS0_12_GLOBAL__N_130modified_bessel_k1_kernel_cudaERNS_18TensorIteratorBaseEENKUlvE_clEvENKUlvE0_clEvEUlfE_EEvS5_RKT_EUlibE_EEviT1_.num_named_barrier, 0
	.set _ZN2at6native32elementwise_kernel_manual_unrollILi128ELi4EZNS0_15gpu_kernel_implIZZZNS0_12_GLOBAL__N_130modified_bessel_k1_kernel_cudaERNS_18TensorIteratorBaseEENKUlvE_clEvENKUlvE0_clEvEUlfE_EEvS5_RKT_EUlibE_EEviT1_.private_seg_size, 0
	.set _ZN2at6native32elementwise_kernel_manual_unrollILi128ELi4EZNS0_15gpu_kernel_implIZZZNS0_12_GLOBAL__N_130modified_bessel_k1_kernel_cudaERNS_18TensorIteratorBaseEENKUlvE_clEvENKUlvE0_clEvEUlfE_EEvS5_RKT_EUlibE_EEviT1_.uses_vcc, 1
	.set _ZN2at6native32elementwise_kernel_manual_unrollILi128ELi4EZNS0_15gpu_kernel_implIZZZNS0_12_GLOBAL__N_130modified_bessel_k1_kernel_cudaERNS_18TensorIteratorBaseEENKUlvE_clEvENKUlvE0_clEvEUlfE_EEvS5_RKT_EUlibE_EEviT1_.uses_flat_scratch, 0
	.set _ZN2at6native32elementwise_kernel_manual_unrollILi128ELi4EZNS0_15gpu_kernel_implIZZZNS0_12_GLOBAL__N_130modified_bessel_k1_kernel_cudaERNS_18TensorIteratorBaseEENKUlvE_clEvENKUlvE0_clEvEUlfE_EEvS5_RKT_EUlibE_EEviT1_.has_dyn_sized_stack, 0
	.set _ZN2at6native32elementwise_kernel_manual_unrollILi128ELi4EZNS0_15gpu_kernel_implIZZZNS0_12_GLOBAL__N_130modified_bessel_k1_kernel_cudaERNS_18TensorIteratorBaseEENKUlvE_clEvENKUlvE0_clEvEUlfE_EEvS5_RKT_EUlibE_EEviT1_.has_recursion, 0
	.set _ZN2at6native32elementwise_kernel_manual_unrollILi128ELi4EZNS0_15gpu_kernel_implIZZZNS0_12_GLOBAL__N_130modified_bessel_k1_kernel_cudaERNS_18TensorIteratorBaseEENKUlvE_clEvENKUlvE0_clEvEUlfE_EEvS5_RKT_EUlibE_EEviT1_.has_indirect_call, 0
	.section	.AMDGPU.csdata,"",@progbits
; Kernel info:
; codeLenInByte = 45456
; TotalNumSgprs: 28
; NumVgprs: 17
; ScratchSize: 0
; MemoryBound: 1
; FloatMode: 240
; IeeeMode: 1
; LDSByteSize: 0 bytes/workgroup (compile time only)
; SGPRBlocks: 0
; VGPRBlocks: 2
; NumSGPRsForWavesPerEU: 28
; NumVGPRsForWavesPerEU: 17
; Occupancy: 16
; WaveLimiterHint : 0
; COMPUTE_PGM_RSRC2:SCRATCH_EN: 0
; COMPUTE_PGM_RSRC2:USER_SGPR: 6
; COMPUTE_PGM_RSRC2:TRAP_HANDLER: 0
; COMPUTE_PGM_RSRC2:TGID_X_EN: 1
; COMPUTE_PGM_RSRC2:TGID_Y_EN: 0
; COMPUTE_PGM_RSRC2:TGID_Z_EN: 0
; COMPUTE_PGM_RSRC2:TIDIG_COMP_CNT: 0
	.section	.text._ZN2at6native32elementwise_kernel_manual_unrollILi128ELi4EZNS0_15gpu_kernel_implIZZZNS0_12_GLOBAL__N_130modified_bessel_k1_kernel_cudaERNS_18TensorIteratorBaseEENKUlvE_clEvENKUlvE0_clEvEUlfE_EEvS5_RKT_EUlibE0_EEviT1_,"axG",@progbits,_ZN2at6native32elementwise_kernel_manual_unrollILi128ELi4EZNS0_15gpu_kernel_implIZZZNS0_12_GLOBAL__N_130modified_bessel_k1_kernel_cudaERNS_18TensorIteratorBaseEENKUlvE_clEvENKUlvE0_clEvEUlfE_EEvS5_RKT_EUlibE0_EEviT1_,comdat
	.globl	_ZN2at6native32elementwise_kernel_manual_unrollILi128ELi4EZNS0_15gpu_kernel_implIZZZNS0_12_GLOBAL__N_130modified_bessel_k1_kernel_cudaERNS_18TensorIteratorBaseEENKUlvE_clEvENKUlvE0_clEvEUlfE_EEvS5_RKT_EUlibE0_EEviT1_ ; -- Begin function _ZN2at6native32elementwise_kernel_manual_unrollILi128ELi4EZNS0_15gpu_kernel_implIZZZNS0_12_GLOBAL__N_130modified_bessel_k1_kernel_cudaERNS_18TensorIteratorBaseEENKUlvE_clEvENKUlvE0_clEvEUlfE_EEvS5_RKT_EUlibE0_EEviT1_
	.p2align	8
	.type	_ZN2at6native32elementwise_kernel_manual_unrollILi128ELi4EZNS0_15gpu_kernel_implIZZZNS0_12_GLOBAL__N_130modified_bessel_k1_kernel_cudaERNS_18TensorIteratorBaseEENKUlvE_clEvENKUlvE0_clEvEUlfE_EEvS5_RKT_EUlibE0_EEviT1_,@function
_ZN2at6native32elementwise_kernel_manual_unrollILi128ELi4EZNS0_15gpu_kernel_implIZZZNS0_12_GLOBAL__N_130modified_bessel_k1_kernel_cudaERNS_18TensorIteratorBaseEENKUlvE_clEvENKUlvE0_clEvEUlfE_EEvS5_RKT_EUlibE0_EEviT1_: ; @_ZN2at6native32elementwise_kernel_manual_unrollILi128ELi4EZNS0_15gpu_kernel_implIZZZNS0_12_GLOBAL__N_130modified_bessel_k1_kernel_cudaERNS_18TensorIteratorBaseEENKUlvE_clEvENKUlvE0_clEvEUlfE_EEvS5_RKT_EUlibE0_EEviT1_
; %bb.0:
	s_clause 0x1
	s_load_dword s24, s[4:5], 0x8
	s_load_dword s33, s[4:5], 0x0
	v_lshl_or_b32 v8, s6, 9, v0
	s_add_u32 s2, s4, 8
	s_addc_u32 s3, s5, 0
	s_mov_b32 s1, -1
	s_mov_b32 s26, 0
	v_or_b32_e32 v15, 0x180, v8
	s_mov_b32 s12, 0
	s_mov_b32 s0, exec_lo
	s_waitcnt lgkmcnt(0)
	s_add_i32 s25, s24, -1
	s_cmp_gt_u32 s25, 1
	s_cselect_b32 s27, -1, 0
	v_cmpx_le_i32_e64 s33, v15
	s_xor_b32 s28, exec_lo, s0
	s_cbranch_execz .LBB19_1121
; %bb.1:
	v_mov_b32_e32 v0, 0
	s_clause 0x3
	s_load_dwordx4 s[16:19], s[2:3], 0x4
	s_load_dwordx2 s[6:7], s[2:3], 0x14
	s_load_dwordx4 s[12:15], s[2:3], 0xc4
	s_load_dwordx4 s[8:11], s[2:3], 0x148
	s_cmp_lg_u32 s24, 0
	s_mov_b32 s39, 0
	s_cselect_b32 s34, -1, 0
	global_load_ushort v0, v0, s[2:3] offset:345
	s_add_u32 s20, s2, 0xc4
	s_addc_u32 s21, s3, 0
	s_min_u32 s35, s25, 15
	s_cmp_gt_u32 s24, 1
	s_mov_b32 s37, 0
	s_cselect_b32 s31, -1, 0
	s_mov_b32 s36, 0
	s_mov_b32 s38, exec_lo
	s_waitcnt vmcnt(0)
	v_readfirstlane_b32 s29, v0
	s_and_b32 s0, 0xffff, s29
	s_lshr_b32 s30, s0, 8
	v_cmpx_gt_i32_e64 s33, v8
	s_cbranch_execz .LBB19_274
; %bb.2:
	s_andn2_b32 vcc_lo, exec_lo, s27
	s_cbranch_vccnz .LBB19_7
; %bb.3:
	s_andn2_b32 vcc_lo, exec_lo, s34
	s_cbranch_vccnz .LBB19_8
; %bb.4:
	s_add_i32 s37, s35, 1
	s_cmp_eq_u32 s25, 2
	s_cbranch_scc1 .LBB19_9
; %bb.5:
	v_mov_b32_e32 v2, 0
	v_mov_b32_e32 v0, 0
	;; [unrolled: 1-line block ×3, first 2 shown]
	s_and_b32 s36, s37, 28
	s_mov_b32 s40, 0
	s_mov_b64 s[0:1], s[2:3]
	s_mov_b64 s[22:23], s[20:21]
.LBB19_6:                               ; =>This Inner Loop Header: Depth=1
	s_clause 0x1
	s_load_dwordx8 s[44:51], s[0:1], 0x4
	s_load_dwordx4 s[60:63], s[0:1], 0x24
	s_load_dwordx8 s[52:59], s[22:23], 0x0
	s_add_u32 s0, s0, 48
	s_addc_u32 s1, s1, 0
	s_add_i32 s40, s40, 4
	s_add_u32 s22, s22, 32
	s_addc_u32 s23, s23, 0
	s_cmp_lg_u32 s36, s40
	s_waitcnt lgkmcnt(0)
	v_mul_hi_u32 v3, s45, v1
	v_add_nc_u32_e32 v3, v1, v3
	v_lshrrev_b32_e32 v3, s46, v3
	v_mul_hi_u32 v4, s48, v3
	v_mul_lo_u32 v6, v3, s44
	v_add_nc_u32_e32 v4, v3, v4
	v_sub_nc_u32_e32 v1, v1, v6
	v_lshrrev_b32_e32 v4, s49, v4
	v_mul_lo_u32 v6, v1, s52
	v_mul_lo_u32 v9, v1, s53
	v_mul_hi_u32 v5, s51, v4
	v_add_nc_u32_e32 v5, v4, v5
	v_lshrrev_b32_e32 v5, s60, v5
	v_mul_hi_u32 v7, s62, v5
	v_mul_lo_u32 v10, v5, s50
	v_add_nc_u32_e32 v1, v5, v7
	v_mul_lo_u32 v7, v4, s47
	v_sub_nc_u32_e32 v4, v4, v10
	v_lshrrev_b32_e32 v1, s63, v1
	v_mul_lo_u32 v10, v4, s56
	v_mul_lo_u32 v4, v4, s57
	v_sub_nc_u32_e32 v3, v3, v7
	v_mul_lo_u32 v11, v1, s61
	v_mul_lo_u32 v7, v3, s54
	;; [unrolled: 1-line block ×3, first 2 shown]
	v_sub_nc_u32_e32 v5, v5, v11
	v_add3_u32 v0, v6, v0, v7
	v_mul_lo_u32 v11, v5, s58
	v_mul_lo_u32 v5, v5, s59
	v_add3_u32 v2, v9, v2, v3
	v_add3_u32 v0, v10, v0, v11
	;; [unrolled: 1-line block ×3, first 2 shown]
	s_cbranch_scc1 .LBB19_6
	s_branch .LBB19_10
.LBB19_7:
                                        ; implicit-def: $vgpr0
                                        ; implicit-def: $vgpr2
	s_branch .LBB19_14
.LBB19_8:
	v_mov_b32_e32 v0, 0
	v_mov_b32_e32 v2, 0
	s_branch .LBB19_13
.LBB19_9:
	v_mov_b32_e32 v0, 0
	v_mov_b32_e32 v2, 0
	;; [unrolled: 1-line block ×3, first 2 shown]
.LBB19_10:
	s_and_b32 s37, s37, 3
	s_cmp_eq_u32 s37, 0
	s_cbranch_scc1 .LBB19_13
; %bb.11:
	s_lshl_b32 s0, s36, 3
	s_mul_i32 s22, s36, 12
	s_add_u32 s0, s2, s0
	s_addc_u32 s1, s3, 0
	s_add_u32 s0, s0, 0xc4
	s_addc_u32 s1, s1, 0
	;; [unrolled: 2-line block ×3, first 2 shown]
	.p2align	6
.LBB19_12:                              ; =>This Inner Loop Header: Depth=1
	s_clause 0x1
	s_load_dwordx2 s[40:41], s[22:23], 0x4
	s_load_dword s36, s[22:23], 0xc
	s_load_dwordx2 s[42:43], s[0:1], 0x0
	s_add_u32 s22, s22, 12
	s_addc_u32 s23, s23, 0
	s_add_u32 s0, s0, 8
	s_addc_u32 s1, s1, 0
	s_add_i32 s37, s37, -1
	s_cmp_lg_u32 s37, 0
	s_waitcnt lgkmcnt(0)
	v_mul_hi_u32 v3, s41, v1
	v_add_nc_u32_e32 v3, v1, v3
	v_lshrrev_b32_e32 v4, s36, v3
	v_mul_lo_u32 v3, v4, s40
	v_sub_nc_u32_e32 v3, v1, v3
	v_mad_u64_u32 v[0:1], null, v3, s42, v[0:1]
	v_mad_u64_u32 v[2:3], null, v3, s43, v[2:3]
	v_mov_b32_e32 v1, v4
	s_cbranch_scc1 .LBB19_12
.LBB19_13:
	s_cbranch_execnz .LBB19_16
.LBB19_14:
	s_waitcnt lgkmcnt(0)
	v_mul_hi_u32 v0, s17, v8
	s_andn2_b32 vcc_lo, exec_lo, s31
	v_add_nc_u32_e32 v0, v8, v0
	v_lshrrev_b32_e32 v1, s18, v0
	v_mul_lo_u32 v0, v1, s16
	v_sub_nc_u32_e32 v2, v8, v0
	v_mul_lo_u32 v0, v2, s12
	v_mul_lo_u32 v2, v2, s13
	s_cbranch_vccnz .LBB19_16
; %bb.15:
	v_mul_hi_u32 v3, s6, v1
	v_add_nc_u32_e32 v3, v1, v3
	v_lshrrev_b32_e32 v3, s7, v3
	v_mul_lo_u32 v3, v3, s19
	v_sub_nc_u32_e32 v3, v1, v3
	v_mad_u64_u32 v[0:1], null, v3, s14, v[0:1]
	v_mad_u64_u32 v[2:3], null, v3, s15, v[2:3]
.LBB19_16:
	s_waitcnt lgkmcnt(0)
	v_add_co_u32 v1, s0, s10, v2
	v_add_co_ci_u32_e64 v2, null, s11, 0, s0
	s_and_b32 s0, 0xffff, s30
	s_cmp_lt_i32 s0, 11
	s_cbranch_scc1 .LBB19_23
; %bb.17:
	s_cmp_gt_i32 s0, 25
	s_cbranch_scc0 .LBB19_40
; %bb.18:
	s_cmp_gt_i32 s0, 28
	s_cbranch_scc0 .LBB19_43
	;; [unrolled: 3-line block ×4, first 2 shown]
; %bb.21:
	s_cmp_eq_u32 s0, 46
	s_mov_b32 s23, 0
	s_cbranch_scc0 .LBB19_49
; %bb.22:
	global_load_dword v3, v[1:2], off
	s_mov_b32 s22, -1
	s_mov_b32 s1, 0
	s_waitcnt vmcnt(0)
	v_lshlrev_b32_e32 v3, 16, v3
	s_branch .LBB19_51
.LBB19_23:
	s_mov_b32 s1, 0
	s_mov_b32 s22, 0
                                        ; implicit-def: $vgpr3
	s_cbranch_execnz .LBB19_224
.LBB19_24:
	s_andn2_b32 vcc_lo, exec_lo, s22
	s_cbranch_vccnz .LBB19_271
.LBB19_25:
	v_mov_b32_e32 v1, 0x7f800000
	s_mov_b32 s22, exec_lo
	s_waitcnt vmcnt(0)
	v_cmpx_neq_f32_e32 0, v3
	s_cbranch_execz .LBB19_33
; %bb.26:
	v_mov_b32_e32 v1, 0x7fc00000
	s_mov_b32 s23, exec_lo
	v_cmpx_ngt_f32_e32 0, v3
	s_cbranch_execz .LBB19_32
; %bb.27:
                                        ; implicit-def: $vgpr1
	s_mov_b32 s0, exec_lo
	v_cmpx_ge_f32_e32 2.0, v3
	s_xor_b32 s36, exec_lo, s0
	s_cbranch_execz .LBB19_29
; %bb.28:
	v_fma_f32 v1, v3, 0.5, -2.0
	s_mov_b32 s0, 0x224cf950
	v_fma_f32 v5, v3, v3, -2.0
	v_fmaak_f32 v2, s0, v1, 0xa3c2be86
	s_mov_b32 s0, 0xa3019142
	v_fmaak_f32 v6, s0, v5, 0xa72eea8c
	v_fmaak_f32 v4, v1, v2, 0xa24cf950
	;; [unrolled: 1-line block ×3, first 2 shown]
	v_add_f32_e32 v4, 0x25331f1f, v4
	v_add_f32_e32 v7, 0xab3ba817, v7
	v_fma_f32 v2, v1, v4, -v2
	v_fma_f32 v6, v5, v7, -v6
	v_add_f32_e32 v2, 0xa69f5554, v2
	v_add_f32_e32 v6, 0xaf1b31de, v6
	v_fma_f32 v4, v1, v2, -v4
	v_fma_f32 v7, v5, v6, -v7
	v_add_f32_e32 v4, 0x2808ebf8, v4
	v_add_f32_e32 v7, 0xb2be20e9, v7
	v_fma_f32 v2, v1, v4, -v2
	v_fma_f32 v6, v5, v7, -v6
	v_add_f32_e32 v2, 0xa9631471, v2
	v_add_f32_e32 v6, 0xb6234d99, v6
	v_fma_f32 v4, v1, v2, -v4
	v_fma_f32 v7, v5, v6, -v7
	v_add_f32_e32 v4, 0x2ab57bc2, v4
	v_add_f32_e32 v7, 0xb9356f17, v7
	v_fma_f32 v2, v1, v4, -v2
	v_fma_f32 v6, v5, v7, -v6
	v_add_f32_e32 v2, 0xac0b9c1b, v2
	v_add_f32_e32 v6, 0xbbe4949d, v6
	v_fma_f32 v4, v1, v2, -v4
	v_fma_f32 v7, v5, v6, -v7
	v_add_f32_e32 v4, 0x2d4e7716, v4
	v_add_f32_e32 v7, 0xbdfb1b92, v7
	v_fma_f32 v2, v1, v4, -v2
	v_fma_f32 v6, v5, v7, -v6
	v_add_f32_e32 v2, 0xae92881d, v2
	v_add_f32_e32 v6, 0xbeb4d0dc, v6
	v_fma_f32 v4, v1, v2, -v4
	v_fma_f32 v5, v5, v6, -v7
	v_mul_f32_e32 v6, 0.5, v3
	v_add_f32_e32 v4, 0x2fc751a6, v4
	v_add_f32_e32 v5, 0x3fc33d0a, v5
	v_cmp_gt_f32_e32 vcc_lo, 0x800000, v6
	v_fma_f32 v2, v1, v4, -v2
	v_sub_f32_e32 v5, v5, v7
	v_mul_f32_e32 v7, 0x3fb8aa3b, v3
	v_add_f32_e32 v2, 0xb101b0d9, v2
	v_cndmask_b32_e64 v9, 0, 32, vcc_lo
	v_cndmask_b32_e64 v14, 0, 0x41b17218, vcc_lo
	v_mul_f32_e32 v5, 0.5, v5
	v_rndne_f32_e32 v10, v7
	v_fma_f32 v4, v1, v2, -v4
	v_fma_f32 v12, 0x3fb8aa3b, v3, -v7
	v_ldexp_f32 v6, v6, v9
	v_div_scale_f32 v11, null, v3, v3, v5
	v_add_f32_e32 v4, 0x32212c70, v4
	v_sub_f32_e32 v7, v7, v10
	v_fmamk_f32 v12, v3, 0x32a5705f, v12
	v_rcp_f32_e32 v9, v11
	v_log_f32_e32 v6, v6
	v_fma_f32 v2, v1, v4, -v2
	v_div_scale_f32 v13, s0, v5, v3, v5
	v_add_f32_e32 v7, v7, v12
	v_cmp_ngt_f32_e32 vcc_lo, 0xc2ce8ed0, v3
	v_add_f32_e32 v2, 0xb33ee9f1, v2
	v_exp_f32_e32 v7, v7
	v_fma_f32 v12, -v11, v9, 1.0
	v_fma_f32 v4, v1, v2, -v4
	v_fmac_f32_e32 v9, v12, v9
	v_add_f32_e32 v4, 0x34571a26, v4
	v_mul_f32_e32 v12, 0x3f317217, v6
	v_fma_f32 v2, v1, v4, -v2
	v_fma_f32 v12, 0x3f317217, v6, -v12
	v_add_f32_e32 v2, 0xb56603cc, v2
	v_fmamk_f32 v12, v6, 0x3377d1cf, v12
	v_fma_f32 v4, v1, v2, -v4
	v_fmac_f32_e32 v12, 0x3f317217, v6
	v_add_f32_e32 v4, 0x3668e277, v4
	v_fma_f32 v2, v1, v4, -v2
	v_add_f32_e32 v2, 0xb75eafce, v2
	v_fma_f32 v4, v1, v2, -v4
	;; [unrolled: 2-line block ×12, first 2 shown]
	v_cvt_i32_f32_e32 v2, v10
	v_mul_f32_e32 v10, v13, v9
	v_add_f32_e32 v1, 0x3e81531c, v1
	v_ldexp_f32 v2, v7, v2
	v_fma_f32 v7, -v11, v10, v13
	v_sub_f32_e32 v1, v1, v4
	v_cndmask_b32_e32 v2, 0, v2, vcc_lo
	v_cmp_nlt_f32_e32 vcc_lo, 0x42b17218, v3
	v_fmac_f32_e32 v10, v7, v9
	v_mul_f32_e32 v1, 0.5, v1
	v_cndmask_b32_e32 v2, 0x7f800000, v2, vcc_lo
	v_cmp_gt_f32_e64 vcc_lo, 0x7f800000, |v6|
	v_fma_f32 v4, -v11, v10, v13
	v_mul_f32_e32 v1, v3, v1
	v_cndmask_b32_e32 v6, v6, v12, vcc_lo
	s_mov_b32 vcc_lo, s0
	v_mul_f32_e32 v2, v2, v1
	v_div_fmas_f32 v4, v4, v9, v10
	v_sub_f32_e32 v6, v6, v14
	v_div_fixup_f32 v1, v4, v3, v5
                                        ; implicit-def: $vgpr3
	v_fmac_f32_e32 v1, v6, v2
.LBB19_29:
	s_andn2_saveexec_b32 s36, s36
	s_cbranch_execz .LBB19_31
; %bb.30:
	v_div_scale_f32 v1, null, v3, v3, 0x41000000
	v_div_scale_f32 v5, vcc_lo, 0x41000000, v3, 0x41000000
	s_mov_b32 s0, 0xa2d462ea
	v_rcp_f32_e32 v2, v1
	v_fma_f32 v4, -v1, v2, 1.0
	v_fmac_f32_e32 v2, v4, v2
	v_mul_f32_e32 v4, v5, v2
	v_fma_f32 v6, -v1, v4, v5
	v_fmac_f32_e32 v4, v6, v2
	v_mul_f32_e32 v6, 0xbfb8aa3b, v3
	v_fma_f32 v1, -v1, v4, v5
	v_mul_f32_e32 v5, 0x4f800000, v3
	v_rndne_f32_e32 v7, v6
	v_fma_f32 v9, 0xbfb8aa3b, v3, -v6
	v_div_fmas_f32 v1, v1, v2, v4
	v_cmp_gt_f32_e32 vcc_lo, 0xf800000, v3
	v_sub_f32_e32 v6, v6, v7
	v_fmamk_f32 v9, v3, 0xb2a5705f, v9
	v_cvt_i32_f32_e32 v7, v7
	v_div_fixup_f32 v1, v1, v3, 0x41000000
	v_cndmask_b32_e32 v5, v3, v5, vcc_lo
	v_add_f32_e32 v6, v6, v9
	v_add_f32_e32 v1, -2.0, v1
	v_sqrt_f32_e32 v10, v5
	v_exp_f32_e32 v6, v6
	v_fmaak_f32 v2, s0, v1, 0x23a578d4
	v_fmaak_f32 v4, v1, v2, 0x22d462ea
	v_add_nc_u32_e32 v9, -1, v10
	v_add_nc_u32_e32 v11, 1, v10
	v_add_f32_e32 v4, 0xa48330a9, v4
	v_fma_f32 v12, -v9, v10, v5
	v_fma_f32 v13, -v11, v10, v5
	v_fma_f32 v2, v1, v4, -v2
	v_cmp_ge_f32_e64 s0, 0, v12
	v_add_f32_e32 v2, 0x2553eaf2, v2
	v_cndmask_b32_e64 v9, v10, v9, s0
	v_cmp_lt_f32_e64 s0, 0, v13
	v_fma_f32 v4, v1, v2, -v4
	v_add_f32_e32 v4, 0xa62e951f, v4
	v_fma_f32 v2, v1, v4, -v2
	v_add_f32_e32 v2, 0x2712e76f, v2
	v_fma_f32 v4, v1, v2, -v4
	v_add_f32_e32 v4, 0xa7fcea92, v4
	v_fma_f32 v2, v1, v4, -v2
	v_add_f32_e32 v2, 0x28df1f4b, v2
	v_fma_f32 v4, v1, v2, -v4
	v_add_f32_e32 v4, 0xa9ca232f, v4
	v_fma_f32 v2, v1, v4, -v2
	v_add_f32_e32 v2, 0x2abc7fd0, v2
	v_fma_f32 v4, v1, v2, -v4
	v_add_f32_e32 v4, 0xabb56f63, v4
	v_fma_f32 v2, v1, v4, -v2
	v_add_f32_e32 v2, 0x2cb4d5c2, v2
	v_fma_f32 v4, v1, v2, -v4
	v_add_f32_e32 v4, 0xadbb5a9d, v4
	v_fma_f32 v2, v1, v4, -v2
	v_add_f32_e32 v2, 0x2ecab680, v2
	v_fma_f32 v4, v1, v2, -v4
	v_add_f32_e32 v4, 0xafe65e00, v4
	v_fma_f32 v2, v1, v4, -v2
	v_add_f32_e32 v2, 0x310a7921, v2
	v_fma_f32 v4, v1, v2, -v4
	v_add_f32_e32 v4, 0xb231bd25, v4
	v_fma_f32 v2, v1, v4, -v2
	v_add_f32_e32 v2, 0x337693e3, v2
	v_fma_f32 v4, v1, v2, -v4
	v_add_f32_e32 v4, 0xb4bc0294, v4
	v_fma_f32 v2, v1, v4, -v2
	v_add_f32_e32 v2, 0x36217f19, v2
	v_fma_f32 v4, v1, v2, -v4
	v_add_f32_e32 v4, 0xb7a26b89, v4
	v_fma_f32 v2, v1, v4, -v2
	v_add_f32_e32 v2, 0x394cb2c4, v2
	v_fma_f32 v4, v1, v2, -v4
	v_add_f32_e32 v4, 0xbb3b4a36, v4
	v_fma_f32 v2, v1, v4, -v2
	v_add_f32_e32 v2, 0x3dd4d5f8, v2
	v_fma_f32 v1, v1, v2, -v4
	v_ldexp_f32 v2, v6, v7
	v_cndmask_b32_e64 v6, v9, v11, s0
	v_cmp_nlt_f32_e64 s0, 0x42ce8ed0, v3
	v_add_f32_e32 v1, 0x402e1ebd, v1
	v_mul_f32_e32 v7, 0x37800000, v6
	v_cndmask_b32_e64 v2, 0, v2, s0
	v_cmp_ngt_f32_e64 s0, 0xc2b17218, v3
	v_sub_f32_e32 v1, v1, v4
	v_cndmask_b32_e32 v3, v6, v7, vcc_lo
	v_cmp_class_f32_e64 vcc_lo, v5, 0x260
	v_cndmask_b32_e64 v2, 0x7f800000, v2, s0
	v_mul_f32_e32 v1, 0.5, v1
	v_cndmask_b32_e32 v3, v3, v5, vcc_lo
	v_mul_f32_e32 v1, v2, v1
	v_div_scale_f32 v2, null, v3, v3, v1
	v_rcp_f32_e32 v4, v2
	v_fma_f32 v5, -v2, v4, 1.0
	v_fmac_f32_e32 v4, v5, v4
	v_div_scale_f32 v5, vcc_lo, v1, v3, v1
	v_mul_f32_e32 v6, v5, v4
	v_fma_f32 v7, -v2, v6, v5
	v_fmac_f32_e32 v6, v7, v4
	v_fma_f32 v2, -v2, v6, v5
	v_div_fmas_f32 v2, v2, v4, v6
	v_div_fixup_f32 v1, v2, v3, v1
.LBB19_31:
	s_or_b32 exec_lo, exec_lo, s36
.LBB19_32:
	s_or_b32 exec_lo, exec_lo, s23
.LBB19_33:
	s_or_b32 exec_lo, exec_lo, s22
	v_add_co_u32 v3, s0, s8, v0
	v_add_co_ci_u32_e64 v4, null, s9, 0, s0
	s_and_b32 s22, s29, 0xff
	s_cmp_lt_i32 s22, 11
	s_cbranch_scc1 .LBB19_41
; %bb.34:
	s_and_b32 s23, 0xffff, s22
	s_cmp_gt_i32 s23, 25
	s_cbranch_scc0 .LBB19_44
; %bb.35:
	s_cmp_gt_i32 s23, 28
	s_cbranch_scc0 .LBB19_46
; %bb.36:
	;; [unrolled: 3-line block ×4, first 2 shown]
	s_mov_b32 s37, 0
	s_mov_b32 s0, -1
	s_cmp_eq_u32 s23, 46
	s_mov_b32 s36, 0
	s_cbranch_scc0 .LBB19_55
; %bb.39:
	v_bfe_u32 v0, v1, 16, 1
	v_cmp_o_f32_e32 vcc_lo, v1, v1
	v_mov_b32_e32 v2, 0x7fc0
	s_mov_b32 s36, -1
	s_mov_b32 s0, 0
	v_add3_u32 v0, v1, v0, 0x7fff
	v_cndmask_b32_sdwa v0, v2, v0, vcc_lo dst_sel:DWORD dst_unused:UNUSED_PAD src0_sel:DWORD src1_sel:WORD_1
	global_store_dword v[3:4], v0, off
	s_branch .LBB19_55
.LBB19_40:
	s_mov_b32 s1, 0
	s_mov_b32 s22, 0
                                        ; implicit-def: $vgpr3
	s_cbranch_execnz .LBB19_189
	s_branch .LBB19_223
.LBB19_41:
	s_mov_b32 s0, 0
	s_mov_b32 s36, 0
	s_cbranch_execnz .LBB19_124
.LBB19_42:
	s_andn2_b32 vcc_lo, exec_lo, s36
	s_cbranch_vccz .LBB19_162
	s_branch .LBB19_272
.LBB19_43:
	s_mov_b32 s23, -1
	s_mov_b32 s1, 0
	s_mov_b32 s22, 0
                                        ; implicit-def: $vgpr3
	s_branch .LBB19_170
.LBB19_44:
	s_mov_b32 s37, -1
	s_mov_b32 s0, 0
	s_mov_b32 s36, 0
	s_branch .LBB19_82
.LBB19_45:
	s_mov_b32 s23, -1
	s_mov_b32 s1, 0
	s_mov_b32 s22, 0
                                        ; implicit-def: $vgpr3
	s_branch .LBB19_165
.LBB19_46:
	s_mov_b32 s37, -1
	s_mov_b32 s0, 0
	s_mov_b32 s36, 0
	s_branch .LBB19_65
.LBB19_47:
	s_mov_b32 s23, -1
	s_mov_b32 s1, 0
	s_branch .LBB19_50
.LBB19_48:
	s_mov_b32 s37, -1
	s_mov_b32 s0, 0
	s_mov_b32 s36, 0
	s_branch .LBB19_61
.LBB19_49:
	s_mov_b32 s1, -1
.LBB19_50:
	s_mov_b32 s22, 0
                                        ; implicit-def: $vgpr3
.LBB19_51:
	s_and_b32 vcc_lo, exec_lo, s23
	s_cbranch_vccz .LBB19_164
; %bb.52:
	s_cmp_eq_u32 s0, 44
	s_cbranch_scc0 .LBB19_163
; %bb.53:
	global_load_ubyte v3, v[1:2], off
	s_mov_b32 s1, 0
	s_mov_b32 s22, -1
	s_waitcnt vmcnt(0)
	v_lshlrev_b32_e32 v4, 23, v3
	v_cmp_ne_u32_e32 vcc_lo, 0xff, v3
	v_cndmask_b32_e32 v4, 0x7f800001, v4, vcc_lo
	v_cmp_ne_u32_e32 vcc_lo, 0, v3
	v_cndmask_b32_e32 v3, 0x400000, v4, vcc_lo
	s_branch .LBB19_164
.LBB19_54:
	s_mov_b32 s37, -1
	s_mov_b32 s0, 0
	s_mov_b32 s36, 0
.LBB19_55:
	s_and_b32 vcc_lo, exec_lo, s37
	s_cbranch_vccz .LBB19_60
; %bb.56:
	s_cmp_eq_u32 s23, 44
	s_mov_b32 s0, -1
	s_cbranch_scc0 .LBB19_60
; %bb.57:
	v_bfe_u32 v2, v1, 23, 8
	v_mov_b32_e32 v0, 0xff
	s_mov_b32 s36, exec_lo
	v_cmpx_ne_u32_e32 0xff, v2
	s_cbranch_execz .LBB19_59
; %bb.58:
	v_and_b32_e32 v0, 0x400000, v1
	v_and_or_b32 v2, 0x3fffff, v1, v2
	v_cmp_ne_u32_e32 vcc_lo, 0, v0
	v_cmp_ne_u32_e64 s0, 0, v2
	v_lshrrev_b32_e32 v0, 23, v1
	s_and_b32 s0, vcc_lo, s0
	v_cndmask_b32_e64 v2, 0, 1, s0
	v_add_nc_u32_e32 v0, v0, v2
.LBB19_59:
	s_or_b32 exec_lo, exec_lo, s36
	s_mov_b32 s36, -1
	s_mov_b32 s0, 0
	global_store_byte v[3:4], v0, off
.LBB19_60:
	s_mov_b32 s37, 0
.LBB19_61:
	s_and_b32 vcc_lo, exec_lo, s37
	s_cbranch_vccz .LBB19_64
; %bb.62:
	s_cmp_eq_u32 s23, 29
	s_mov_b32 s0, -1
	s_cbranch_scc0 .LBB19_64
; %bb.63:
	v_trunc_f32_e32 v0, v1
	s_mov_b32 s36, -1
	s_mov_b32 s0, 0
	s_mov_b32 s37, 0
	v_mul_f32_e32 v2, 0x2f800000, v0
	v_floor_f32_e32 v2, v2
	v_fmamk_f32 v0, v2, 0xcf800000, v0
	v_cvt_u32_f32_e32 v6, v2
	v_cvt_u32_f32_e32 v5, v0
	global_store_dwordx2 v[3:4], v[5:6], off
	s_branch .LBB19_65
.LBB19_64:
	s_mov_b32 s37, 0
.LBB19_65:
	s_and_b32 vcc_lo, exec_lo, s37
	s_cbranch_vccz .LBB19_81
; %bb.66:
	s_cmp_lt_i32 s23, 27
	s_mov_b32 s36, -1
	s_cbranch_scc1 .LBB19_72
; %bb.67:
	v_cvt_u32_f32_e32 v0, v1
	s_cmp_gt_i32 s23, 27
	s_cbranch_scc0 .LBB19_69
; %bb.68:
	s_mov_b32 s36, 0
	global_store_dword v[3:4], v0, off
.LBB19_69:
	s_andn2_b32 vcc_lo, exec_lo, s36
	s_cbranch_vccnz .LBB19_71
; %bb.70:
	global_store_short v[3:4], v0, off
.LBB19_71:
	s_mov_b32 s36, 0
.LBB19_72:
	s_andn2_b32 vcc_lo, exec_lo, s36
	s_cbranch_vccnz .LBB19_80
; %bb.73:
	v_and_b32_e32 v0, 0x7fffffff, v1
	v_mov_b32_e32 v2, 0x80
	s_mov_b32 s36, exec_lo
	v_cmpx_gt_u32_e32 0x43800000, v0
	s_cbranch_execz .LBB19_79
; %bb.74:
	v_cmp_lt_u32_e32 vcc_lo, 0x3bffffff, v0
	s_mov_b32 s37, 0
                                        ; implicit-def: $vgpr0
	s_and_saveexec_b32 s40, vcc_lo
	s_xor_b32 s40, exec_lo, s40
	s_cbranch_execz .LBB19_323
; %bb.75:
	v_bfe_u32 v0, v1, 20, 1
	s_mov_b32 s37, exec_lo
	v_add3_u32 v0, v1, v0, 0x487ffff
	v_lshrrev_b32_e32 v0, 20, v0
	s_andn2_saveexec_b32 s40, s40
	s_cbranch_execnz .LBB19_324
.LBB19_76:
	s_or_b32 exec_lo, exec_lo, s40
	v_mov_b32_e32 v2, 0
	s_and_saveexec_b32 s40, s37
.LBB19_77:
	v_lshrrev_b32_e32 v2, 24, v1
	v_and_or_b32 v2, 0x80, v2, v0
.LBB19_78:
	s_or_b32 exec_lo, exec_lo, s40
.LBB19_79:
	s_or_b32 exec_lo, exec_lo, s36
	global_store_byte v[3:4], v2, off
.LBB19_80:
	s_mov_b32 s36, -1
.LBB19_81:
	s_mov_b32 s37, 0
.LBB19_82:
	s_and_b32 vcc_lo, exec_lo, s37
	s_cbranch_vccz .LBB19_123
; %bb.83:
	s_cmp_gt_i32 s23, 22
	s_mov_b32 s37, -1
	s_cbranch_scc0 .LBB19_115
; %bb.84:
	s_cmp_lt_i32 s23, 24
	s_mov_b32 s36, -1
	s_cbranch_scc1 .LBB19_104
; %bb.85:
	s_cmp_gt_i32 s23, 24
	s_cbranch_scc0 .LBB19_93
; %bb.86:
	v_and_b32_e32 v0, 0x7fffffff, v1
	v_mov_b32_e32 v2, 0x80
	s_mov_b32 s36, exec_lo
	v_cmpx_gt_u32_e32 0x47800000, v0
	s_cbranch_execz .LBB19_92
; %bb.87:
	v_cmp_lt_u32_e32 vcc_lo, 0x37ffffff, v0
	s_mov_b32 s37, 0
                                        ; implicit-def: $vgpr0
	s_and_saveexec_b32 s40, vcc_lo
	s_xor_b32 s40, exec_lo, s40
	s_cbranch_execz .LBB19_327
; %bb.88:
	v_bfe_u32 v0, v1, 21, 1
	s_mov_b32 s37, exec_lo
	v_add3_u32 v0, v1, v0, 0x88fffff
	v_lshrrev_b32_e32 v0, 21, v0
	s_andn2_saveexec_b32 s40, s40
	s_cbranch_execnz .LBB19_328
.LBB19_89:
	s_or_b32 exec_lo, exec_lo, s40
	v_mov_b32_e32 v2, 0
	s_and_saveexec_b32 s40, s37
.LBB19_90:
	v_lshrrev_b32_e32 v2, 24, v1
	v_and_or_b32 v2, 0x80, v2, v0
.LBB19_91:
	s_or_b32 exec_lo, exec_lo, s40
.LBB19_92:
	s_or_b32 exec_lo, exec_lo, s36
	s_mov_b32 s36, 0
	global_store_byte v[3:4], v2, off
.LBB19_93:
	s_and_b32 vcc_lo, exec_lo, s36
	s_cbranch_vccz .LBB19_103
; %bb.94:
	v_and_b32_e32 v2, 0x7fffffff, v1
	s_mov_b32 s36, exec_lo
                                        ; implicit-def: $vgpr0
	v_cmpx_gt_u32_e32 0x43f00000, v2
	s_xor_b32 s36, exec_lo, s36
	s_cbranch_execz .LBB19_100
; %bb.95:
	s_mov_b32 s37, exec_lo
                                        ; implicit-def: $vgpr0
	v_cmpx_lt_u32_e32 0x3c7fffff, v2
	s_xor_b32 s37, exec_lo, s37
; %bb.96:
	v_bfe_u32 v0, v1, 20, 1
	v_add3_u32 v0, v1, v0, 0x407ffff
	v_and_b32_e32 v2, 0xff00000, v0
	v_lshrrev_b32_e32 v0, 20, v0
	v_cmp_ne_u32_e32 vcc_lo, 0x7f00000, v2
	v_cndmask_b32_e32 v0, 0x7e, v0, vcc_lo
; %bb.97:
	s_andn2_saveexec_b32 s37, s37
; %bb.98:
	v_add_f32_e64 v0, 0x46800000, |v1|
; %bb.99:
	s_or_b32 exec_lo, exec_lo, s37
                                        ; implicit-def: $vgpr2
.LBB19_100:
	s_andn2_saveexec_b32 s36, s36
; %bb.101:
	v_mov_b32_e32 v0, 0x7f
	v_cmp_lt_u32_e32 vcc_lo, 0x7f800000, v2
	v_cndmask_b32_e32 v0, 0x7e, v0, vcc_lo
; %bb.102:
	s_or_b32 exec_lo, exec_lo, s36
	v_lshrrev_b32_e32 v2, 24, v1
	v_and_or_b32 v0, 0x80, v2, v0
	global_store_byte v[3:4], v0, off
.LBB19_103:
	s_mov_b32 s36, 0
.LBB19_104:
	s_andn2_b32 vcc_lo, exec_lo, s36
	s_cbranch_vccnz .LBB19_114
; %bb.105:
	v_and_b32_e32 v2, 0x7fffffff, v1
	s_mov_b32 s36, exec_lo
                                        ; implicit-def: $vgpr0
	v_cmpx_gt_u32_e32 0x47800000, v2
	s_xor_b32 s36, exec_lo, s36
	s_cbranch_execz .LBB19_111
; %bb.106:
	s_mov_b32 s37, exec_lo
                                        ; implicit-def: $vgpr0
	v_cmpx_lt_u32_e32 0x387fffff, v2
	s_xor_b32 s37, exec_lo, s37
; %bb.107:
	v_bfe_u32 v0, v1, 21, 1
	v_add3_u32 v0, v1, v0, 0x80fffff
	v_lshrrev_b32_e32 v0, 21, v0
; %bb.108:
	s_andn2_saveexec_b32 s37, s37
; %bb.109:
	v_add_f32_e64 v0, 0x43000000, |v1|
; %bb.110:
	s_or_b32 exec_lo, exec_lo, s37
                                        ; implicit-def: $vgpr2
.LBB19_111:
	s_andn2_saveexec_b32 s36, s36
; %bb.112:
	v_mov_b32_e32 v0, 0x7f
	v_cmp_lt_u32_e32 vcc_lo, 0x7f800000, v2
	v_cndmask_b32_e32 v0, 0x7c, v0, vcc_lo
; %bb.113:
	s_or_b32 exec_lo, exec_lo, s36
	v_lshrrev_b32_e32 v2, 24, v1
	v_and_or_b32 v0, 0x80, v2, v0
	global_store_byte v[3:4], v0, off
.LBB19_114:
	s_mov_b32 s37, 0
	s_mov_b32 s36, -1
.LBB19_115:
	s_andn2_b32 vcc_lo, exec_lo, s37
	s_cbranch_vccnz .LBB19_123
; %bb.116:
	s_cmp_gt_i32 s23, 14
	s_mov_b32 s37, -1
	s_cbranch_scc0 .LBB19_120
; %bb.117:
	s_cmp_eq_u32 s23, 15
	s_mov_b32 s0, -1
	s_cbranch_scc0 .LBB19_119
; %bb.118:
	v_bfe_u32 v0, v1, 16, 1
	v_cmp_o_f32_e32 vcc_lo, v1, v1
	v_mov_b32_e32 v2, 0x7fc0
	s_mov_b32 s36, -1
	s_mov_b32 s0, 0
	v_add3_u32 v0, v1, v0, 0x7fff
	v_cndmask_b32_sdwa v0, v2, v0, vcc_lo dst_sel:DWORD dst_unused:UNUSED_PAD src0_sel:DWORD src1_sel:WORD_1
	global_store_short v[3:4], v0, off
.LBB19_119:
	s_mov_b32 s37, 0
.LBB19_120:
	s_and_b32 vcc_lo, exec_lo, s37
	s_cbranch_vccz .LBB19_123
; %bb.121:
	s_cmp_eq_u32 s23, 11
	s_mov_b32 s0, -1
	s_cbranch_scc0 .LBB19_123
; %bb.122:
	v_cmp_neq_f32_e32 vcc_lo, 0, v1
	s_mov_b32 s0, 0
	s_mov_b32 s36, -1
	v_cndmask_b32_e64 v0, 0, 1, vcc_lo
	global_store_byte v[3:4], v0, off
.LBB19_123:
	s_branch .LBB19_42
.LBB19_124:
	s_and_b32 s22, 0xffff, s22
	s_mov_b32 s23, -1
	s_cmp_lt_i32 s22, 5
	s_cbranch_scc1 .LBB19_145
; %bb.125:
	s_cmp_lt_i32 s22, 8
	s_cbranch_scc1 .LBB19_135
; %bb.126:
	;; [unrolled: 3-line block ×3, first 2 shown]
	s_cmp_gt_i32 s22, 9
	s_cbranch_scc0 .LBB19_129
; %bb.128:
	v_cvt_f64_f32_e32 v[9:10], v1
	v_mov_b32_e32 v11, 0
	s_mov_b32 s23, 0
	v_mov_b32_e32 v12, v11
	global_store_dwordx4 v[3:4], v[9:12], off
.LBB19_129:
	s_andn2_b32 vcc_lo, exec_lo, s23
	s_cbranch_vccnz .LBB19_131
; %bb.130:
	v_mov_b32_e32 v2, 0
	global_store_dwordx2 v[3:4], v[1:2], off
.LBB19_131:
	s_mov_b32 s23, 0
.LBB19_132:
	s_andn2_b32 vcc_lo, exec_lo, s23
	s_cbranch_vccnz .LBB19_134
; %bb.133:
	v_cvt_f16_f32_e32 v0, v1
	v_and_b32_e32 v0, 0xffff, v0
	global_store_dword v[3:4], v0, off
.LBB19_134:
	s_mov_b32 s23, 0
.LBB19_135:
	s_andn2_b32 vcc_lo, exec_lo, s23
	s_cbranch_vccnz .LBB19_144
; %bb.136:
	s_cmp_lt_i32 s22, 6
	s_mov_b32 s23, -1
	s_cbranch_scc1 .LBB19_142
; %bb.137:
	s_cmp_gt_i32 s22, 6
	s_cbranch_scc0 .LBB19_139
; %bb.138:
	v_cvt_f64_f32_e32 v[5:6], v1
	s_mov_b32 s23, 0
	global_store_dwordx2 v[3:4], v[5:6], off
.LBB19_139:
	s_andn2_b32 vcc_lo, exec_lo, s23
	s_cbranch_vccnz .LBB19_141
; %bb.140:
	global_store_dword v[3:4], v1, off
.LBB19_141:
	s_mov_b32 s23, 0
.LBB19_142:
	s_andn2_b32 vcc_lo, exec_lo, s23
	s_cbranch_vccnz .LBB19_144
; %bb.143:
	v_cvt_f16_f32_e32 v0, v1
	global_store_short v[3:4], v0, off
.LBB19_144:
	s_mov_b32 s23, 0
.LBB19_145:
	s_andn2_b32 vcc_lo, exec_lo, s23
	s_cbranch_vccnz .LBB19_161
; %bb.146:
	s_cmp_lt_i32 s22, 2
	s_mov_b32 s23, -1
	s_cbranch_scc1 .LBB19_156
; %bb.147:
	s_cmp_lt_i32 s22, 3
	s_cbranch_scc1 .LBB19_153
; %bb.148:
	s_cmp_gt_i32 s22, 3
	s_cbranch_scc0 .LBB19_150
; %bb.149:
	v_trunc_f32_e32 v0, v1
	s_mov_b32 s23, 0
	v_mul_f32_e64 v2, 0x2f800000, |v0|
	v_floor_f32_e32 v2, v2
	v_fma_f32 v5, 0xcf800000, v2, |v0|
	v_ashrrev_i32_e32 v0, 31, v0
	v_cvt_u32_f32_e32 v2, v2
	v_cvt_u32_f32_e32 v5, v5
	v_xor_b32_e32 v2, v2, v0
	v_xor_b32_e32 v5, v5, v0
	v_sub_co_u32 v5, vcc_lo, v5, v0
	v_sub_co_ci_u32_e64 v6, null, v2, v0, vcc_lo
	global_store_dwordx2 v[3:4], v[5:6], off
.LBB19_150:
	s_andn2_b32 vcc_lo, exec_lo, s23
	s_cbranch_vccnz .LBB19_152
; %bb.151:
	v_cvt_i32_f32_e32 v0, v1
	global_store_dword v[3:4], v0, off
.LBB19_152:
	s_mov_b32 s23, 0
.LBB19_153:
	s_andn2_b32 vcc_lo, exec_lo, s23
	s_cbranch_vccnz .LBB19_155
; %bb.154:
	v_cvt_i32_f32_e32 v0, v1
	global_store_short v[3:4], v0, off
.LBB19_155:
	s_mov_b32 s23, 0
.LBB19_156:
	s_andn2_b32 vcc_lo, exec_lo, s23
	s_cbranch_vccnz .LBB19_161
; %bb.157:
	s_cmp_gt_i32 s22, 0
	s_mov_b32 s22, -1
	s_cbranch_scc0 .LBB19_159
; %bb.158:
	v_cvt_i32_f32_e32 v0, v1
	s_mov_b32 s22, 0
	global_store_byte v[3:4], v0, off
.LBB19_159:
	s_andn2_b32 vcc_lo, exec_lo, s22
	s_cbranch_vccnz .LBB19_161
; %bb.160:
	v_trunc_f32_e32 v0, v1
	v_mul_f32_e64 v1, 0x2f800000, |v0|
	v_floor_f32_e32 v1, v1
	v_fma_f32 v1, 0xcf800000, v1, |v0|
	v_ashrrev_i32_e32 v0, 31, v0
	v_cvt_u32_f32_e32 v1, v1
	v_xor_b32_e32 v1, v1, v0
	v_sub_nc_u32_e32 v0, v1, v0
	global_store_byte v[3:4], v0, off
.LBB19_161:
.LBB19_162:
	v_add_nc_u32_e32 v8, 0x80, v8
	s_mov_b32 s22, -1
	s_branch .LBB19_273
.LBB19_163:
	s_mov_b32 s1, -1
                                        ; implicit-def: $vgpr3
.LBB19_164:
	s_mov_b32 s23, 0
.LBB19_165:
	s_and_b32 vcc_lo, exec_lo, s23
	s_cbranch_vccz .LBB19_169
; %bb.166:
	s_cmp_eq_u32 s0, 29
	s_cbranch_scc0 .LBB19_168
; %bb.167:
	global_load_dwordx2 v[3:4], v[1:2], off
	s_mov_b32 s22, -1
	s_mov_b32 s1, 0
	s_mov_b32 s23, 0
	s_waitcnt vmcnt(0)
	v_ffbh_u32_e32 v5, v4
	v_min_u32_e32 v5, 32, v5
	v_lshlrev_b64 v[3:4], v5, v[3:4]
	v_min_u32_e32 v3, 1, v3
	v_or_b32_e32 v3, v4, v3
	v_sub_nc_u32_e32 v4, 32, v5
	v_cvt_f32_u32_e32 v3, v3
	v_ldexp_f32 v3, v3, v4
	s_branch .LBB19_170
.LBB19_168:
	s_mov_b32 s1, -1
                                        ; implicit-def: $vgpr3
.LBB19_169:
	s_mov_b32 s23, 0
.LBB19_170:
	s_and_b32 vcc_lo, exec_lo, s23
	s_cbranch_vccz .LBB19_188
; %bb.171:
	s_cmp_lt_i32 s0, 27
	s_cbranch_scc1 .LBB19_174
; %bb.172:
	s_cmp_gt_i32 s0, 27
	s_cbranch_scc0 .LBB19_175
; %bb.173:
	global_load_dword v3, v[1:2], off
	s_mov_b32 s22, 0
	s_waitcnt vmcnt(0)
	v_cvt_f32_u32_e32 v3, v3
	s_branch .LBB19_176
.LBB19_174:
	s_mov_b32 s22, -1
                                        ; implicit-def: $vgpr3
	s_branch .LBB19_179
.LBB19_175:
	s_mov_b32 s22, -1
                                        ; implicit-def: $vgpr3
.LBB19_176:
	s_andn2_b32 vcc_lo, exec_lo, s22
	s_cbranch_vccnz .LBB19_178
; %bb.177:
	global_load_ushort v3, v[1:2], off
	s_waitcnt vmcnt(0)
	v_cvt_f32_u32_e32 v3, v3
.LBB19_178:
	s_mov_b32 s22, 0
.LBB19_179:
	s_andn2_b32 vcc_lo, exec_lo, s22
	s_cbranch_vccnz .LBB19_187
; %bb.180:
	global_load_ubyte v4, v[1:2], off
	s_mov_b32 s22, 0
	s_mov_b32 s23, exec_lo
	s_waitcnt vmcnt(0)
	v_cmpx_lt_i16_e32 0x7f, v4
	s_xor_b32 s23, exec_lo, s23
	s_cbranch_execz .LBB19_200
; %bb.181:
	s_mov_b32 s22, -1
	s_mov_b32 s36, exec_lo
	v_cmpx_eq_u16_e32 0x80, v4
; %bb.182:
	s_xor_b32 s22, exec_lo, -1
; %bb.183:
	s_or_b32 exec_lo, exec_lo, s36
	s_and_b32 s22, s22, exec_lo
	s_or_saveexec_b32 s23, s23
	v_mov_b32_e32 v3, 0x7f800001
	s_xor_b32 exec_lo, exec_lo, s23
	s_cbranch_execnz .LBB19_201
.LBB19_184:
	s_or_b32 exec_lo, exec_lo, s23
	s_and_saveexec_b32 s23, s22
	s_cbranch_execz .LBB19_186
.LBB19_185:
	v_and_b32_e32 v3, 0xffff, v4
	v_lshlrev_b32_e32 v4, 24, v4
	v_and_b32_e32 v5, 7, v3
	v_bfe_u32 v9, v3, 3, 4
	v_and_b32_e32 v4, 0x80000000, v4
	v_ffbh_u32_e32 v6, v5
	v_cmp_eq_u32_e32 vcc_lo, 0, v9
	v_min_u32_e32 v6, 32, v6
	v_subrev_nc_u32_e32 v7, 28, v6
	v_sub_nc_u32_e32 v6, 29, v6
	v_lshlrev_b32_e32 v3, v7, v3
	v_cndmask_b32_e32 v6, v9, v6, vcc_lo
	v_and_b32_e32 v3, 7, v3
	v_cndmask_b32_e32 v3, v5, v3, vcc_lo
	v_lshl_add_u32 v5, v6, 23, 0x3b800000
	v_lshlrev_b32_e32 v3, 20, v3
	v_or3_b32 v3, v4, v5, v3
.LBB19_186:
	s_or_b32 exec_lo, exec_lo, s23
.LBB19_187:
	s_mov_b32 s22, -1
.LBB19_188:
	s_branch .LBB19_223
.LBB19_189:
	s_cmp_gt_i32 s0, 22
	s_cbranch_scc0 .LBB19_199
; %bb.190:
	s_cmp_lt_i32 s0, 24
	s_cbranch_scc1 .LBB19_202
; %bb.191:
	s_cmp_gt_i32 s0, 24
	s_cbranch_scc0 .LBB19_203
; %bb.192:
	global_load_ubyte v4, v[1:2], off
	s_mov_b32 s22, 0
	s_mov_b32 s23, exec_lo
	s_waitcnt vmcnt(0)
	v_cmpx_lt_i16_e32 0x7f, v4
	s_xor_b32 s23, exec_lo, s23
	s_cbranch_execz .LBB19_215
; %bb.193:
	s_mov_b32 s22, -1
	s_mov_b32 s36, exec_lo
	v_cmpx_eq_u16_e32 0x80, v4
; %bb.194:
	s_xor_b32 s22, exec_lo, -1
; %bb.195:
	s_or_b32 exec_lo, exec_lo, s36
	s_and_b32 s22, s22, exec_lo
	s_or_saveexec_b32 s23, s23
	v_mov_b32_e32 v3, 0x7f800001
	s_xor_b32 exec_lo, exec_lo, s23
	s_cbranch_execnz .LBB19_216
.LBB19_196:
	s_or_b32 exec_lo, exec_lo, s23
	s_and_saveexec_b32 s23, s22
	s_cbranch_execz .LBB19_198
.LBB19_197:
	v_and_b32_e32 v3, 0xffff, v4
	v_lshlrev_b32_e32 v4, 24, v4
	v_and_b32_e32 v5, 3, v3
	v_bfe_u32 v9, v3, 2, 5
	v_and_b32_e32 v4, 0x80000000, v4
	v_ffbh_u32_e32 v6, v5
	v_cmp_eq_u32_e32 vcc_lo, 0, v9
	v_min_u32_e32 v6, 32, v6
	v_subrev_nc_u32_e32 v7, 29, v6
	v_sub_nc_u32_e32 v6, 30, v6
	v_lshlrev_b32_e32 v3, v7, v3
	v_cndmask_b32_e32 v6, v9, v6, vcc_lo
	v_and_b32_e32 v3, 3, v3
	v_cndmask_b32_e32 v3, v5, v3, vcc_lo
	v_lshl_add_u32 v5, v6, 23, 0x37800000
	v_lshlrev_b32_e32 v3, 21, v3
	v_or3_b32 v3, v4, v5, v3
.LBB19_198:
	s_or_b32 exec_lo, exec_lo, s23
	s_mov_b32 s22, 0
	s_branch .LBB19_204
.LBB19_199:
	s_mov_b32 s23, -1
                                        ; implicit-def: $vgpr3
	s_branch .LBB19_210
.LBB19_200:
	s_or_saveexec_b32 s23, s23
	v_mov_b32_e32 v3, 0x7f800001
	s_xor_b32 exec_lo, exec_lo, s23
	s_cbranch_execz .LBB19_184
.LBB19_201:
	v_cmp_ne_u16_e32 vcc_lo, 0, v4
	v_mov_b32_e32 v3, 0
	s_andn2_b32 s22, s22, exec_lo
	s_and_b32 s36, vcc_lo, exec_lo
	s_or_b32 s22, s22, s36
	s_or_b32 exec_lo, exec_lo, s23
	s_and_saveexec_b32 s23, s22
	s_cbranch_execnz .LBB19_185
	s_branch .LBB19_186
.LBB19_202:
	s_mov_b32 s22, -1
                                        ; implicit-def: $vgpr3
	s_branch .LBB19_207
.LBB19_203:
	s_mov_b32 s22, -1
                                        ; implicit-def: $vgpr3
.LBB19_204:
	s_and_b32 vcc_lo, exec_lo, s22
	s_cbranch_vccz .LBB19_206
; %bb.205:
	global_load_ubyte v3, v[1:2], off
	s_waitcnt vmcnt(0)
	v_lshlrev_b32_e32 v3, 24, v3
	v_and_b32_e32 v4, 0x7f000000, v3
	v_ffbh_u32_e32 v5, v4
	v_add_nc_u32_e32 v7, 0x1000000, v4
	v_cmp_ne_u32_e32 vcc_lo, 0, v4
	v_min_u32_e32 v5, 32, v5
	v_sub_nc_u32_e64 v5, v5, 4 clamp
	v_lshlrev_b32_e32 v6, v5, v4
	v_lshlrev_b32_e32 v5, 23, v5
	v_lshrrev_b32_e32 v6, 4, v6
	v_sub_nc_u32_e32 v5, v6, v5
	v_ashrrev_i32_e32 v6, 8, v7
	v_add_nc_u32_e32 v5, 0x3c000000, v5
	v_and_or_b32 v5, 0x7f800000, v6, v5
	v_cndmask_b32_e32 v4, 0, v5, vcc_lo
	v_and_or_b32 v3, 0x80000000, v3, v4
.LBB19_206:
	s_mov_b32 s22, 0
.LBB19_207:
	s_andn2_b32 vcc_lo, exec_lo, s22
	s_cbranch_vccnz .LBB19_209
; %bb.208:
	global_load_ubyte v3, v[1:2], off
	s_waitcnt vmcnt(0)
	v_lshlrev_b32_e32 v4, 25, v3
	v_lshlrev_b16 v3, 8, v3
	v_lshrrev_b32_e32 v5, 4, v4
	v_and_or_b32 v6, 0x7f00, v3, 0.5
	v_cmp_gt_u32_e32 vcc_lo, 0x8000000, v4
	v_bfe_i32 v3, v3, 0, 16
	v_or_b32_e32 v5, 0x70000000, v5
	v_add_f32_e32 v6, -0.5, v6
	v_mul_f32_e32 v5, 0x7800000, v5
	v_cndmask_b32_e32 v4, v5, v6, vcc_lo
	v_and_or_b32 v3, 0x80000000, v3, v4
.LBB19_209:
	s_mov_b32 s23, 0
	s_mov_b32 s22, -1
.LBB19_210:
	s_andn2_b32 vcc_lo, exec_lo, s23
	s_cbranch_vccnz .LBB19_223
; %bb.211:
	s_cmp_gt_i32 s0, 14
	s_cbranch_scc0 .LBB19_214
; %bb.212:
	s_cmp_eq_u32 s0, 15
	s_cbranch_scc0 .LBB19_217
; %bb.213:
	global_load_ushort v3, v[1:2], off
	s_mov_b32 s22, -1
	s_mov_b32 s1, 0
	s_waitcnt vmcnt(0)
	v_lshlrev_b32_e32 v3, 16, v3
	s_branch .LBB19_218
.LBB19_214:
	s_mov_b32 s23, -1
                                        ; implicit-def: $vgpr3
	s_branch .LBB19_219
.LBB19_215:
	s_or_saveexec_b32 s23, s23
	v_mov_b32_e32 v3, 0x7f800001
	s_xor_b32 exec_lo, exec_lo, s23
	s_cbranch_execz .LBB19_196
.LBB19_216:
	v_cmp_ne_u16_e32 vcc_lo, 0, v4
	v_mov_b32_e32 v3, 0
	s_andn2_b32 s22, s22, exec_lo
	s_and_b32 s36, vcc_lo, exec_lo
	s_or_b32 s22, s22, s36
	s_or_b32 exec_lo, exec_lo, s23
	s_and_saveexec_b32 s23, s22
	s_cbranch_execnz .LBB19_197
	s_branch .LBB19_198
.LBB19_217:
	s_mov_b32 s1, -1
                                        ; implicit-def: $vgpr3
.LBB19_218:
	s_mov_b32 s23, 0
.LBB19_219:
	s_and_b32 vcc_lo, exec_lo, s23
	s_cbranch_vccz .LBB19_223
; %bb.220:
	s_cmp_eq_u32 s0, 11
	s_cbranch_scc0 .LBB19_222
; %bb.221:
	global_load_ubyte v3, v[1:2], off
	s_mov_b32 s1, 0
	s_mov_b32 s22, -1
	s_waitcnt vmcnt(0)
	v_cmp_ne_u16_e32 vcc_lo, 0, v3
	v_cndmask_b32_e64 v3, 0, 1.0, vcc_lo
	s_branch .LBB19_223
.LBB19_222:
	s_mov_b32 s1, -1
                                        ; implicit-def: $vgpr3
.LBB19_223:
	s_branch .LBB19_24
.LBB19_224:
	s_cmp_lt_i32 s0, 5
	s_cbranch_scc1 .LBB19_229
; %bb.225:
	s_cmp_lt_i32 s0, 8
	s_cbranch_scc1 .LBB19_230
; %bb.226:
	s_cmp_lt_i32 s0, 9
	s_cbranch_scc1 .LBB19_231
; %bb.227:
	s_cmp_gt_i32 s0, 9
	s_cbranch_scc0 .LBB19_232
; %bb.228:
	global_load_dwordx2 v[3:4], v[1:2], off
	s_mov_b32 s22, 0
	s_waitcnt vmcnt(0)
	v_cvt_f32_f64_e32 v3, v[3:4]
	s_branch .LBB19_233
.LBB19_229:
                                        ; implicit-def: $vgpr3
	s_branch .LBB19_251
.LBB19_230:
	s_mov_b32 s22, -1
                                        ; implicit-def: $vgpr3
	s_branch .LBB19_239
.LBB19_231:
	s_mov_b32 s22, -1
                                        ; implicit-def: $vgpr3
	s_branch .LBB19_236
.LBB19_232:
	s_mov_b32 s22, -1
                                        ; implicit-def: $vgpr3
.LBB19_233:
	s_andn2_b32 vcc_lo, exec_lo, s22
	s_cbranch_vccnz .LBB19_235
; %bb.234:
	global_load_dword v3, v[1:2], off
.LBB19_235:
	s_mov_b32 s22, 0
.LBB19_236:
	s_andn2_b32 vcc_lo, exec_lo, s22
	s_cbranch_vccnz .LBB19_238
; %bb.237:
	global_load_dword v3, v[1:2], off
	s_waitcnt vmcnt(0)
	v_cvt_f32_f16_e32 v3, v3
.LBB19_238:
	s_mov_b32 s22, 0
.LBB19_239:
	s_andn2_b32 vcc_lo, exec_lo, s22
	s_cbranch_vccnz .LBB19_250
; %bb.240:
	s_cmp_lt_i32 s0, 6
	s_cbranch_scc1 .LBB19_243
; %bb.241:
	s_cmp_gt_i32 s0, 6
	s_cbranch_scc0 .LBB19_244
; %bb.242:
	global_load_dwordx2 v[3:4], v[1:2], off
	s_mov_b32 s22, 0
	s_waitcnt vmcnt(0)
	v_cvt_f32_f64_e32 v3, v[3:4]
	s_branch .LBB19_245
.LBB19_243:
	s_mov_b32 s22, -1
                                        ; implicit-def: $vgpr3
	s_branch .LBB19_248
.LBB19_244:
	s_mov_b32 s22, -1
                                        ; implicit-def: $vgpr3
.LBB19_245:
	s_andn2_b32 vcc_lo, exec_lo, s22
	s_cbranch_vccnz .LBB19_247
; %bb.246:
	global_load_dword v3, v[1:2], off
.LBB19_247:
	s_mov_b32 s22, 0
.LBB19_248:
	s_andn2_b32 vcc_lo, exec_lo, s22
	s_cbranch_vccnz .LBB19_250
; %bb.249:
	global_load_ushort v3, v[1:2], off
	s_waitcnt vmcnt(0)
	v_cvt_f32_f16_e32 v3, v3
.LBB19_250:
	s_cbranch_execnz .LBB19_270
.LBB19_251:
	s_cmp_lt_i32 s0, 2
	s_cbranch_scc1 .LBB19_255
; %bb.252:
	s_cmp_lt_i32 s0, 3
	s_cbranch_scc1 .LBB19_256
; %bb.253:
	s_cmp_gt_i32 s0, 3
	s_cbranch_scc0 .LBB19_257
; %bb.254:
	global_load_dwordx2 v[3:4], v[1:2], off
	s_mov_b32 s22, 0
	s_waitcnt vmcnt(0)
	v_xor_b32_e32 v5, v3, v4
	v_ffbh_i32_e32 v6, v4
	v_ashrrev_i32_e32 v5, 31, v5
	v_add_nc_u32_e32 v6, -1, v6
	v_add_nc_u32_e32 v5, 32, v5
	v_min_u32_e32 v5, v6, v5
	v_lshlrev_b64 v[3:4], v5, v[3:4]
	v_min_u32_e32 v3, 1, v3
	v_or_b32_e32 v3, v4, v3
	v_sub_nc_u32_e32 v4, 32, v5
	v_cvt_f32_i32_e32 v3, v3
	v_ldexp_f32 v3, v3, v4
	s_branch .LBB19_258
.LBB19_255:
	s_mov_b32 s22, -1
                                        ; implicit-def: $vgpr3
	s_branch .LBB19_264
.LBB19_256:
	s_mov_b32 s22, -1
                                        ; implicit-def: $vgpr3
	s_branch .LBB19_261
.LBB19_257:
	s_mov_b32 s22, -1
                                        ; implicit-def: $vgpr3
.LBB19_258:
	s_andn2_b32 vcc_lo, exec_lo, s22
	s_cbranch_vccnz .LBB19_260
; %bb.259:
	global_load_dword v3, v[1:2], off
	s_waitcnt vmcnt(0)
	v_cvt_f32_i32_e32 v3, v3
.LBB19_260:
	s_mov_b32 s22, 0
.LBB19_261:
	s_andn2_b32 vcc_lo, exec_lo, s22
	s_cbranch_vccnz .LBB19_263
; %bb.262:
	global_load_sshort v3, v[1:2], off
	s_waitcnt vmcnt(0)
	v_cvt_f32_i32_e32 v3, v3
.LBB19_263:
	s_mov_b32 s22, 0
.LBB19_264:
	s_andn2_b32 vcc_lo, exec_lo, s22
	s_cbranch_vccnz .LBB19_270
; %bb.265:
	s_cmp_gt_i32 s0, 0
	s_mov_b32 s0, 0
	s_cbranch_scc0 .LBB19_267
; %bb.266:
	global_load_sbyte v3, v[1:2], off
	s_waitcnt vmcnt(0)
	v_cvt_f32_i32_e32 v3, v3
	s_branch .LBB19_268
.LBB19_267:
	s_mov_b32 s0, -1
                                        ; implicit-def: $vgpr3
.LBB19_268:
	s_andn2_b32 vcc_lo, exec_lo, s0
	s_cbranch_vccnz .LBB19_270
; %bb.269:
	global_load_ubyte v1, v[1:2], off
	s_waitcnt vmcnt(0)
	v_cvt_f32_ubyte0_e32 v3, v1
.LBB19_270:
	s_branch .LBB19_25
.LBB19_271:
	s_mov_b32 s0, 0
.LBB19_272:
	s_mov_b32 s22, 0
                                        ; implicit-def: $vgpr8
.LBB19_273:
	s_and_b32 s36, s0, exec_lo
	s_and_b32 s37, s1, exec_lo
	s_orn2_b32 s1, s22, exec_lo
.LBB19_274:
	s_or_b32 exec_lo, exec_lo, s38
	s_mov_b32 s22, 0
	s_mov_b32 s0, 0
                                        ; implicit-def: $vgpr1_vgpr2
                                        ; implicit-def: $vgpr0
                                        ; implicit-def: $vgpr5
	s_and_saveexec_b32 s38, s1
	s_cbranch_execz .LBB19_281
; %bb.275:
	s_mov_b32 s0, -1
	s_mov_b32 s39, s37
	s_mov_b32 s40, s36
	s_mov_b32 s41, exec_lo
	v_cmpx_gt_i32_e64 s33, v8
	s_cbranch_execz .LBB19_559
; %bb.276:
	s_andn2_b32 vcc_lo, exec_lo, s27
	s_cbranch_vccnz .LBB19_284
; %bb.277:
	s_andn2_b32 vcc_lo, exec_lo, s34
	s_cbranch_vccnz .LBB19_285
; %bb.278:
	s_add_i32 s40, s35, 1
	s_cmp_eq_u32 s25, 2
	s_cbranch_scc1 .LBB19_286
; %bb.279:
	v_mov_b32_e32 v2, 0
	v_mov_b32_e32 v0, 0
	;; [unrolled: 1-line block ×3, first 2 shown]
	s_and_b32 s39, s40, 28
	s_mov_b32 s42, 0
	s_mov_b64 s[0:1], s[2:3]
	s_mov_b64 s[22:23], s[20:21]
.LBB19_280:                             ; =>This Inner Loop Header: Depth=1
	s_clause 0x1
	s_load_dwordx8 s[44:51], s[0:1], 0x4
	s_load_dwordx4 s[60:63], s[0:1], 0x24
	s_load_dwordx8 s[52:59], s[22:23], 0x0
	s_add_u32 s0, s0, 48
	s_addc_u32 s1, s1, 0
	s_add_i32 s42, s42, 4
	s_add_u32 s22, s22, 32
	s_addc_u32 s23, s23, 0
	s_cmp_eq_u32 s39, s42
	s_waitcnt vmcnt(0) lgkmcnt(0)
	v_mul_hi_u32 v3, s45, v1
	v_add_nc_u32_e32 v3, v1, v3
	v_lshrrev_b32_e32 v3, s46, v3
	v_mul_hi_u32 v4, s48, v3
	v_mul_lo_u32 v6, v3, s44
	v_add_nc_u32_e32 v4, v3, v4
	v_sub_nc_u32_e32 v1, v1, v6
	v_lshrrev_b32_e32 v4, s49, v4
	v_mul_lo_u32 v6, v1, s52
	v_mul_lo_u32 v9, v1, s53
	v_mul_hi_u32 v5, s51, v4
	v_add_nc_u32_e32 v5, v4, v5
	v_lshrrev_b32_e32 v5, s60, v5
	v_mul_hi_u32 v7, s62, v5
	v_mul_lo_u32 v10, v5, s50
	v_add_nc_u32_e32 v1, v5, v7
	v_mul_lo_u32 v7, v4, s47
	v_sub_nc_u32_e32 v4, v4, v10
	v_lshrrev_b32_e32 v1, s63, v1
	v_mul_lo_u32 v10, v4, s56
	v_mul_lo_u32 v4, v4, s57
	v_sub_nc_u32_e32 v3, v3, v7
	v_mul_lo_u32 v11, v1, s61
	v_mul_lo_u32 v7, v3, s54
	;; [unrolled: 1-line block ×3, first 2 shown]
	v_sub_nc_u32_e32 v5, v5, v11
	v_add3_u32 v0, v6, v0, v7
	v_mul_lo_u32 v11, v5, s58
	v_mul_lo_u32 v5, v5, s59
	v_add3_u32 v2, v9, v2, v3
	v_add3_u32 v0, v10, v0, v11
	;; [unrolled: 1-line block ×3, first 2 shown]
	s_cbranch_scc0 .LBB19_280
	s_branch .LBB19_287
.LBB19_281:
	s_or_b32 exec_lo, exec_lo, s38
	s_mov_b32 s1, 0
	s_waitcnt lgkmcnt(0)
	s_and_saveexec_b32 s6, s37
	s_cbranch_execnz .LBB19_945
.LBB19_282:
	s_or_b32 exec_lo, exec_lo, s6
	s_and_saveexec_b32 s6, s39
	s_xor_b32 s6, exec_lo, s6
	s_cbranch_execz .LBB19_946
.LBB19_283:
	global_load_ubyte v3, v[1:2], off
	s_or_b32 s0, s0, exec_lo
	s_waitcnt vmcnt(0)
	v_cmp_ne_u16_e32 vcc_lo, 0, v3
	v_cndmask_b32_e64 v5, 0, 1.0, vcc_lo
	s_or_b32 exec_lo, exec_lo, s6
	s_and_saveexec_b32 s6, s22
	s_cbranch_execz .LBB19_992
	s_branch .LBB19_947
.LBB19_284:
                                        ; implicit-def: $vgpr0
                                        ; implicit-def: $vgpr2
	s_andn2_b32 vcc_lo, exec_lo, s0
	s_cbranch_vccz .LBB19_291
	s_branch .LBB19_293
.LBB19_285:
	v_mov_b32_e32 v0, 0
	v_mov_b32_e32 v2, 0
	s_branch .LBB19_290
.LBB19_286:
	v_mov_b32_e32 v0, 0
	v_mov_b32_e32 v2, 0
	;; [unrolled: 1-line block ×3, first 2 shown]
	s_mov_b32 s39, 0
.LBB19_287:
	s_and_b32 s40, s40, 3
	s_cmp_eq_u32 s40, 0
	s_cbranch_scc1 .LBB19_290
; %bb.288:
	s_lshl_b32 s0, s39, 3
	s_mul_i32 s22, s39, 12
	s_add_u32 s0, s2, s0
	s_addc_u32 s1, s3, 0
	s_add_u32 s0, s0, 0xc4
	s_addc_u32 s1, s1, 0
	;; [unrolled: 2-line block ×3, first 2 shown]
	.p2align	6
.LBB19_289:                             ; =>This Inner Loop Header: Depth=1
	s_clause 0x1
	s_load_dwordx2 s[42:43], s[22:23], 0x4
	s_load_dword s39, s[22:23], 0xc
	s_load_dwordx2 s[44:45], s[0:1], 0x0
	s_add_u32 s22, s22, 12
	s_addc_u32 s23, s23, 0
	s_add_u32 s0, s0, 8
	s_addc_u32 s1, s1, 0
	s_add_i32 s40, s40, -1
	s_cmp_lg_u32 s40, 0
	s_waitcnt vmcnt(0) lgkmcnt(0)
	v_mul_hi_u32 v3, s43, v1
	v_add_nc_u32_e32 v3, v1, v3
	v_lshrrev_b32_e32 v4, s39, v3
	v_mul_lo_u32 v3, v4, s42
	v_sub_nc_u32_e32 v3, v1, v3
	v_mad_u64_u32 v[0:1], null, v3, s44, v[0:1]
	v_mad_u64_u32 v[2:3], null, v3, s45, v[2:3]
	v_mov_b32_e32 v1, v4
	s_cbranch_scc1 .LBB19_289
.LBB19_290:
	s_cbranch_execnz .LBB19_293
.LBB19_291:
	s_waitcnt lgkmcnt(0)
	v_mul_hi_u32 v0, s17, v8
	s_andn2_b32 vcc_lo, exec_lo, s31
	v_add_nc_u32_e32 v0, v8, v0
	v_lshrrev_b32_e32 v1, s18, v0
	v_mul_lo_u32 v0, v1, s16
	v_sub_nc_u32_e32 v2, v8, v0
	v_mul_lo_u32 v0, v2, s12
	v_mul_lo_u32 v2, v2, s13
	s_cbranch_vccnz .LBB19_293
; %bb.292:
	s_waitcnt vmcnt(0)
	v_mul_hi_u32 v3, s6, v1
	v_add_nc_u32_e32 v3, v1, v3
	v_lshrrev_b32_e32 v3, s7, v3
	v_mul_lo_u32 v3, v3, s19
	v_sub_nc_u32_e32 v3, v1, v3
	v_mad_u64_u32 v[0:1], null, v3, s14, v[0:1]
	v_mad_u64_u32 v[2:3], null, v3, s15, v[2:3]
.LBB19_293:
	s_waitcnt lgkmcnt(0)
	v_add_co_u32 v1, s0, s10, v2
	v_add_co_ci_u32_e64 v2, null, s11, 0, s0
	s_and_b32 s0, 0xffff, s30
	s_cmp_lt_i32 s0, 11
	s_cbranch_scc1 .LBB19_300
; %bb.294:
	s_cmp_gt_i32 s0, 25
	s_cbranch_scc0 .LBB19_317
; %bb.295:
	s_cmp_gt_i32 s0, 28
	s_cbranch_scc0 .LBB19_319
	;; [unrolled: 3-line block ×4, first 2 shown]
; %bb.298:
	s_cmp_eq_u32 s0, 46
	s_mov_b32 s23, 0
	s_cbranch_scc0 .LBB19_329
; %bb.299:
	global_load_dword v3, v[1:2], off
	s_mov_b32 s22, -1
	s_mov_b32 s1, 0
	s_waitcnt vmcnt(0)
	v_lshlrev_b32_e32 v3, 16, v3
	s_branch .LBB19_331
.LBB19_300:
	s_mov_b32 s22, 0
	s_mov_b32 s1, s37
                                        ; implicit-def: $vgpr3
	s_cbranch_execnz .LBB19_508
.LBB19_301:
	s_andn2_b32 vcc_lo, exec_lo, s22
	s_cbranch_vccnz .LBB19_556
.LBB19_302:
	v_mov_b32_e32 v1, 0x7f800000
	s_mov_b32 s22, exec_lo
	s_waitcnt vmcnt(0)
	v_cmpx_neq_f32_e32 0, v3
	s_cbranch_execz .LBB19_310
; %bb.303:
	v_mov_b32_e32 v1, 0x7fc00000
	s_mov_b32 s23, exec_lo
	v_cmpx_ngt_f32_e32 0, v3
	s_cbranch_execz .LBB19_309
; %bb.304:
                                        ; implicit-def: $vgpr1
	s_mov_b32 s0, exec_lo
	v_cmpx_ge_f32_e32 2.0, v3
	s_xor_b32 s39, exec_lo, s0
	s_cbranch_execz .LBB19_306
; %bb.305:
	v_fma_f32 v1, v3, 0.5, -2.0
	s_mov_b32 s0, 0x224cf950
	v_fma_f32 v5, v3, v3, -2.0
	v_fmaak_f32 v2, s0, v1, 0xa3c2be86
	s_mov_b32 s0, 0xa3019142
	v_fmaak_f32 v6, s0, v5, 0xa72eea8c
	v_fmaak_f32 v4, v1, v2, 0xa24cf950
	;; [unrolled: 1-line block ×3, first 2 shown]
	v_add_f32_e32 v4, 0x25331f1f, v4
	v_add_f32_e32 v7, 0xab3ba817, v7
	v_fma_f32 v2, v1, v4, -v2
	v_fma_f32 v6, v5, v7, -v6
	v_add_f32_e32 v2, 0xa69f5554, v2
	v_add_f32_e32 v6, 0xaf1b31de, v6
	v_fma_f32 v4, v1, v2, -v4
	v_fma_f32 v7, v5, v6, -v7
	;; [unrolled: 4-line block ×8, first 2 shown]
	v_mul_f32_e32 v6, 0.5, v3
	v_add_f32_e32 v4, 0x2fc751a6, v4
	v_add_f32_e32 v5, 0x3fc33d0a, v5
	v_cmp_gt_f32_e32 vcc_lo, 0x800000, v6
	v_fma_f32 v2, v1, v4, -v2
	v_sub_f32_e32 v5, v5, v7
	v_mul_f32_e32 v7, 0x3fb8aa3b, v3
	v_add_f32_e32 v2, 0xb101b0d9, v2
	v_cndmask_b32_e64 v9, 0, 32, vcc_lo
	v_cndmask_b32_e64 v14, 0, 0x41b17218, vcc_lo
	v_mul_f32_e32 v5, 0.5, v5
	v_rndne_f32_e32 v10, v7
	v_fma_f32 v4, v1, v2, -v4
	v_fma_f32 v12, 0x3fb8aa3b, v3, -v7
	v_ldexp_f32 v6, v6, v9
	v_div_scale_f32 v11, null, v3, v3, v5
	v_add_f32_e32 v4, 0x32212c70, v4
	v_sub_f32_e32 v7, v7, v10
	v_fmamk_f32 v12, v3, 0x32a5705f, v12
	v_rcp_f32_e32 v9, v11
	v_log_f32_e32 v6, v6
	v_fma_f32 v2, v1, v4, -v2
	v_div_scale_f32 v13, s0, v5, v3, v5
	v_add_f32_e32 v7, v7, v12
	v_cmp_ngt_f32_e32 vcc_lo, 0xc2ce8ed0, v3
	v_add_f32_e32 v2, 0xb33ee9f1, v2
	v_exp_f32_e32 v7, v7
	v_fma_f32 v12, -v11, v9, 1.0
	v_fma_f32 v4, v1, v2, -v4
	v_fmac_f32_e32 v9, v12, v9
	v_add_f32_e32 v4, 0x34571a26, v4
	v_mul_f32_e32 v12, 0x3f317217, v6
	v_fma_f32 v2, v1, v4, -v2
	v_fma_f32 v12, 0x3f317217, v6, -v12
	v_add_f32_e32 v2, 0xb56603cc, v2
	v_fmamk_f32 v12, v6, 0x3377d1cf, v12
	v_fma_f32 v4, v1, v2, -v4
	v_fmac_f32_e32 v12, 0x3f317217, v6
	v_add_f32_e32 v4, 0x3668e277, v4
	v_fma_f32 v2, v1, v4, -v2
	v_add_f32_e32 v2, 0xb75eafce, v2
	v_fma_f32 v4, v1, v2, -v4
	;; [unrolled: 2-line block ×12, first 2 shown]
	v_cvt_i32_f32_e32 v2, v10
	v_mul_f32_e32 v10, v13, v9
	v_add_f32_e32 v1, 0x3e81531c, v1
	v_ldexp_f32 v2, v7, v2
	v_fma_f32 v7, -v11, v10, v13
	v_sub_f32_e32 v1, v1, v4
	v_cndmask_b32_e32 v2, 0, v2, vcc_lo
	v_cmp_nlt_f32_e32 vcc_lo, 0x42b17218, v3
	v_fmac_f32_e32 v10, v7, v9
	v_mul_f32_e32 v1, 0.5, v1
	v_cndmask_b32_e32 v2, 0x7f800000, v2, vcc_lo
	v_cmp_gt_f32_e64 vcc_lo, 0x7f800000, |v6|
	v_fma_f32 v4, -v11, v10, v13
	v_mul_f32_e32 v1, v3, v1
	v_cndmask_b32_e32 v6, v6, v12, vcc_lo
	s_mov_b32 vcc_lo, s0
	v_mul_f32_e32 v2, v2, v1
	v_div_fmas_f32 v4, v4, v9, v10
	v_sub_f32_e32 v6, v6, v14
	v_div_fixup_f32 v1, v4, v3, v5
                                        ; implicit-def: $vgpr3
	v_fmac_f32_e32 v1, v6, v2
.LBB19_306:
	s_andn2_saveexec_b32 s39, s39
	s_cbranch_execz .LBB19_308
; %bb.307:
	v_div_scale_f32 v1, null, v3, v3, 0x41000000
	v_div_scale_f32 v5, vcc_lo, 0x41000000, v3, 0x41000000
	s_mov_b32 s0, 0xa2d462ea
	v_rcp_f32_e32 v2, v1
	v_fma_f32 v4, -v1, v2, 1.0
	v_fmac_f32_e32 v2, v4, v2
	v_mul_f32_e32 v4, v5, v2
	v_fma_f32 v6, -v1, v4, v5
	v_fmac_f32_e32 v4, v6, v2
	v_mul_f32_e32 v6, 0xbfb8aa3b, v3
	v_fma_f32 v1, -v1, v4, v5
	v_mul_f32_e32 v5, 0x4f800000, v3
	v_rndne_f32_e32 v7, v6
	v_fma_f32 v9, 0xbfb8aa3b, v3, -v6
	v_div_fmas_f32 v1, v1, v2, v4
	v_cmp_gt_f32_e32 vcc_lo, 0xf800000, v3
	v_sub_f32_e32 v6, v6, v7
	v_fmamk_f32 v9, v3, 0xb2a5705f, v9
	v_cvt_i32_f32_e32 v7, v7
	v_div_fixup_f32 v1, v1, v3, 0x41000000
	v_cndmask_b32_e32 v5, v3, v5, vcc_lo
	v_add_f32_e32 v6, v6, v9
	v_add_f32_e32 v1, -2.0, v1
	v_sqrt_f32_e32 v10, v5
	v_exp_f32_e32 v6, v6
	v_fmaak_f32 v2, s0, v1, 0x23a578d4
	v_fmaak_f32 v4, v1, v2, 0x22d462ea
	v_add_nc_u32_e32 v9, -1, v10
	v_add_nc_u32_e32 v11, 1, v10
	v_add_f32_e32 v4, 0xa48330a9, v4
	v_fma_f32 v12, -v9, v10, v5
	v_fma_f32 v13, -v11, v10, v5
	v_fma_f32 v2, v1, v4, -v2
	v_cmp_ge_f32_e64 s0, 0, v12
	v_add_f32_e32 v2, 0x2553eaf2, v2
	v_cndmask_b32_e64 v9, v10, v9, s0
	v_cmp_lt_f32_e64 s0, 0, v13
	v_fma_f32 v4, v1, v2, -v4
	v_add_f32_e32 v4, 0xa62e951f, v4
	v_fma_f32 v2, v1, v4, -v2
	v_add_f32_e32 v2, 0x2712e76f, v2
	;; [unrolled: 2-line block ×20, first 2 shown]
	v_fma_f32 v1, v1, v2, -v4
	v_ldexp_f32 v2, v6, v7
	v_cndmask_b32_e64 v6, v9, v11, s0
	v_cmp_nlt_f32_e64 s0, 0x42ce8ed0, v3
	v_add_f32_e32 v1, 0x402e1ebd, v1
	v_mul_f32_e32 v7, 0x37800000, v6
	v_cndmask_b32_e64 v2, 0, v2, s0
	v_cmp_ngt_f32_e64 s0, 0xc2b17218, v3
	v_sub_f32_e32 v1, v1, v4
	v_cndmask_b32_e32 v3, v6, v7, vcc_lo
	v_cmp_class_f32_e64 vcc_lo, v5, 0x260
	v_cndmask_b32_e64 v2, 0x7f800000, v2, s0
	v_mul_f32_e32 v1, 0.5, v1
	v_cndmask_b32_e32 v3, v3, v5, vcc_lo
	v_mul_f32_e32 v1, v2, v1
	v_div_scale_f32 v2, null, v3, v3, v1
	v_rcp_f32_e32 v4, v2
	v_fma_f32 v5, -v2, v4, 1.0
	v_fmac_f32_e32 v4, v5, v4
	v_div_scale_f32 v5, vcc_lo, v1, v3, v1
	v_mul_f32_e32 v6, v5, v4
	v_fma_f32 v7, -v2, v6, v5
	v_fmac_f32_e32 v6, v7, v4
	v_fma_f32 v2, -v2, v6, v5
	v_div_fmas_f32 v2, v2, v4, v6
	v_div_fixup_f32 v1, v2, v3, v1
.LBB19_308:
	s_or_b32 exec_lo, exec_lo, s39
.LBB19_309:
	s_or_b32 exec_lo, exec_lo, s23
.LBB19_310:
	s_or_b32 exec_lo, exec_lo, s22
	v_add_co_u32 v3, s0, s8, v0
	v_add_co_ci_u32_e64 v4, null, s9, 0, s0
	s_and_b32 s22, s29, 0xff
	s_cmp_lt_i32 s22, 11
	s_cbranch_scc1 .LBB19_318
; %bb.311:
	s_and_b32 s23, 0xffff, s22
	s_cmp_gt_i32 s23, 25
	s_cbranch_scc0 .LBB19_320
; %bb.312:
	s_cmp_gt_i32 s23, 28
	s_cbranch_scc0 .LBB19_322
; %bb.313:
	s_cmp_gt_i32 s23, 43
	s_cbranch_scc0 .LBB19_326
; %bb.314:
	s_cmp_gt_i32 s23, 45
	s_cbranch_scc0 .LBB19_334
; %bb.315:
	s_mov_b32 s40, 0
	s_mov_b32 s0, -1
	s_cmp_eq_u32 s23, 46
	s_mov_b32 s39, 0
	s_cbranch_scc0 .LBB19_335
; %bb.316:
	v_bfe_u32 v0, v1, 16, 1
	v_cmp_o_f32_e32 vcc_lo, v1, v1
	v_mov_b32_e32 v2, 0x7fc0
	s_mov_b32 s39, -1
	s_mov_b32 s0, 0
	v_add3_u32 v0, v1, v0, 0x7fff
	v_cndmask_b32_sdwa v0, v2, v0, vcc_lo dst_sel:DWORD dst_unused:UNUSED_PAD src0_sel:DWORD src1_sel:WORD_1
	global_store_dword v[3:4], v0, off
	s_branch .LBB19_335
.LBB19_317:
	s_mov_b32 s23, -1
	s_mov_b32 s22, 0
	s_mov_b32 s1, s37
                                        ; implicit-def: $vgpr3
	s_branch .LBB19_472
.LBB19_318:
	s_mov_b32 s23, -1
	s_mov_b32 s39, 0
	s_mov_b32 s0, s36
	s_branch .LBB19_404
.LBB19_319:
	s_mov_b32 s23, -1
	s_mov_b32 s22, 0
	s_mov_b32 s1, s37
                                        ; implicit-def: $vgpr3
	s_branch .LBB19_453
.LBB19_320:
	s_mov_b32 s40, -1
	s_mov_b32 s39, 0
	s_mov_b32 s0, s36
	s_branch .LBB19_362
.LBB19_321:
	s_mov_b32 s23, -1
	s_mov_b32 s22, 0
	s_mov_b32 s1, s37
                                        ; implicit-def: $vgpr3
	s_branch .LBB19_448
.LBB19_322:
	s_mov_b32 s40, -1
	s_mov_b32 s39, 0
	s_mov_b32 s0, s36
	s_branch .LBB19_345
.LBB19_323:
	s_andn2_saveexec_b32 s40, s40
	s_cbranch_execz .LBB19_76
.LBB19_324:
	v_add_f32_e64 v0, 0x46000000, |v1|
	s_andn2_b32 s37, s37, exec_lo
	v_and_b32_e32 v0, 0xff, v0
	v_cmp_ne_u32_e32 vcc_lo, 0, v0
	s_and_b32 s41, vcc_lo, exec_lo
	s_or_b32 s37, s37, s41
	s_or_b32 exec_lo, exec_lo, s40
	v_mov_b32_e32 v2, 0
	s_and_saveexec_b32 s40, s37
	s_cbranch_execnz .LBB19_77
	s_branch .LBB19_78
.LBB19_325:
	s_mov_b32 s23, -1
	s_mov_b32 s22, 0
	s_mov_b32 s1, s37
	s_branch .LBB19_330
.LBB19_326:
	s_mov_b32 s40, -1
	s_mov_b32 s39, 0
	s_mov_b32 s0, s36
	s_branch .LBB19_341
.LBB19_327:
	s_andn2_saveexec_b32 s40, s40
	s_cbranch_execz .LBB19_89
.LBB19_328:
	v_add_f32_e64 v0, 0x42800000, |v1|
	s_andn2_b32 s37, s37, exec_lo
	v_and_b32_e32 v0, 0xff, v0
	v_cmp_ne_u32_e32 vcc_lo, 0, v0
	s_and_b32 s41, vcc_lo, exec_lo
	s_or_b32 s37, s37, s41
	s_or_b32 exec_lo, exec_lo, s40
	v_mov_b32_e32 v2, 0
	s_and_saveexec_b32 s40, s37
	s_cbranch_execnz .LBB19_90
	s_branch .LBB19_91
.LBB19_329:
	s_mov_b32 s1, -1
	s_mov_b32 s22, 0
.LBB19_330:
                                        ; implicit-def: $vgpr3
.LBB19_331:
	s_and_b32 vcc_lo, exec_lo, s23
	s_cbranch_vccz .LBB19_447
; %bb.332:
	s_cmp_eq_u32 s0, 44
	s_cbranch_scc0 .LBB19_446
; %bb.333:
	global_load_ubyte v3, v[1:2], off
	s_mov_b32 s1, 0
	s_mov_b32 s22, -1
	s_waitcnt vmcnt(0)
	v_lshlrev_b32_e32 v4, 23, v3
	v_cmp_ne_u32_e32 vcc_lo, 0xff, v3
	v_cndmask_b32_e32 v4, 0x7f800001, v4, vcc_lo
	v_cmp_ne_u32_e32 vcc_lo, 0, v3
	v_cndmask_b32_e32 v3, 0x400000, v4, vcc_lo
	s_branch .LBB19_447
.LBB19_334:
	s_mov_b32 s40, -1
	s_mov_b32 s39, 0
	s_mov_b32 s0, s36
.LBB19_335:
	s_and_b32 vcc_lo, exec_lo, s40
	s_cbranch_vccz .LBB19_340
; %bb.336:
	s_cmp_eq_u32 s23, 44
	s_mov_b32 s0, -1
	s_cbranch_scc0 .LBB19_340
; %bb.337:
	v_bfe_u32 v2, v1, 23, 8
	v_mov_b32_e32 v0, 0xff
	s_mov_b32 s39, exec_lo
	v_cmpx_ne_u32_e32 0xff, v2
	s_cbranch_execz .LBB19_339
; %bb.338:
	v_and_b32_e32 v0, 0x400000, v1
	v_and_or_b32 v2, 0x3fffff, v1, v2
	v_cmp_ne_u32_e32 vcc_lo, 0, v0
	v_cmp_ne_u32_e64 s0, 0, v2
	v_lshrrev_b32_e32 v0, 23, v1
	s_and_b32 s0, vcc_lo, s0
	v_cndmask_b32_e64 v2, 0, 1, s0
	v_add_nc_u32_e32 v0, v0, v2
.LBB19_339:
	s_or_b32 exec_lo, exec_lo, s39
	s_mov_b32 s39, -1
	s_mov_b32 s0, 0
	global_store_byte v[3:4], v0, off
.LBB19_340:
	s_mov_b32 s40, 0
.LBB19_341:
	s_and_b32 vcc_lo, exec_lo, s40
	s_cbranch_vccz .LBB19_344
; %bb.342:
	s_cmp_eq_u32 s23, 29
	s_mov_b32 s0, -1
	s_cbranch_scc0 .LBB19_344
; %bb.343:
	v_trunc_f32_e32 v0, v1
	s_mov_b32 s39, -1
	s_mov_b32 s0, 0
	s_mov_b32 s40, 0
	v_mul_f32_e32 v2, 0x2f800000, v0
	v_floor_f32_e32 v2, v2
	v_fmamk_f32 v0, v2, 0xcf800000, v0
	v_cvt_u32_f32_e32 v6, v2
	v_cvt_u32_f32_e32 v5, v0
	global_store_dwordx2 v[3:4], v[5:6], off
	s_branch .LBB19_345
.LBB19_344:
	s_mov_b32 s40, 0
.LBB19_345:
	s_and_b32 vcc_lo, exec_lo, s40
	s_cbranch_vccz .LBB19_361
; %bb.346:
	s_cmp_lt_i32 s23, 27
	s_mov_b32 s39, -1
	s_cbranch_scc1 .LBB19_352
; %bb.347:
	v_cvt_u32_f32_e32 v0, v1
	s_cmp_gt_i32 s23, 27
	s_cbranch_scc0 .LBB19_349
; %bb.348:
	s_mov_b32 s39, 0
	global_store_dword v[3:4], v0, off
.LBB19_349:
	s_andn2_b32 vcc_lo, exec_lo, s39
	s_cbranch_vccnz .LBB19_351
; %bb.350:
	global_store_short v[3:4], v0, off
.LBB19_351:
	s_mov_b32 s39, 0
.LBB19_352:
	s_andn2_b32 vcc_lo, exec_lo, s39
	s_cbranch_vccnz .LBB19_360
; %bb.353:
	v_and_b32_e32 v0, 0x7fffffff, v1
	v_mov_b32_e32 v2, 0x80
	s_mov_b32 s39, exec_lo
	v_cmpx_gt_u32_e32 0x43800000, v0
	s_cbranch_execz .LBB19_359
; %bb.354:
	v_cmp_lt_u32_e32 vcc_lo, 0x3bffffff, v0
	s_mov_b32 s40, 0
                                        ; implicit-def: $vgpr0
	s_and_saveexec_b32 s42, vcc_lo
	s_xor_b32 s42, exec_lo, s42
	s_cbranch_execz .LBB19_587
; %bb.355:
	v_bfe_u32 v0, v1, 20, 1
	s_mov_b32 s40, exec_lo
	v_add3_u32 v0, v1, v0, 0x487ffff
	v_lshrrev_b32_e32 v0, 20, v0
	s_andn2_saveexec_b32 s42, s42
	s_cbranch_execnz .LBB19_588
.LBB19_356:
	s_or_b32 exec_lo, exec_lo, s42
	v_mov_b32_e32 v2, 0
	s_and_saveexec_b32 s42, s40
.LBB19_357:
	v_lshrrev_b32_e32 v2, 24, v1
	v_and_or_b32 v2, 0x80, v2, v0
.LBB19_358:
	s_or_b32 exec_lo, exec_lo, s42
.LBB19_359:
	s_or_b32 exec_lo, exec_lo, s39
	global_store_byte v[3:4], v2, off
.LBB19_360:
	s_mov_b32 s39, -1
.LBB19_361:
	s_mov_b32 s40, 0
.LBB19_362:
	s_and_b32 vcc_lo, exec_lo, s40
	s_cbranch_vccz .LBB19_403
; %bb.363:
	s_cmp_gt_i32 s23, 22
	s_mov_b32 s40, -1
	s_cbranch_scc0 .LBB19_395
; %bb.364:
	s_cmp_lt_i32 s23, 24
	s_mov_b32 s39, -1
	s_cbranch_scc1 .LBB19_384
; %bb.365:
	s_cmp_gt_i32 s23, 24
	s_cbranch_scc0 .LBB19_373
; %bb.366:
	v_and_b32_e32 v0, 0x7fffffff, v1
	v_mov_b32_e32 v2, 0x80
	s_mov_b32 s39, exec_lo
	v_cmpx_gt_u32_e32 0x47800000, v0
	s_cbranch_execz .LBB19_372
; %bb.367:
	v_cmp_lt_u32_e32 vcc_lo, 0x37ffffff, v0
	s_mov_b32 s40, 0
                                        ; implicit-def: $vgpr0
	s_and_saveexec_b32 s42, vcc_lo
	s_xor_b32 s42, exec_lo, s42
	s_cbranch_execz .LBB19_590
; %bb.368:
	v_bfe_u32 v0, v1, 21, 1
	s_mov_b32 s40, exec_lo
	v_add3_u32 v0, v1, v0, 0x88fffff
	v_lshrrev_b32_e32 v0, 21, v0
	s_andn2_saveexec_b32 s42, s42
	s_cbranch_execnz .LBB19_591
.LBB19_369:
	s_or_b32 exec_lo, exec_lo, s42
	v_mov_b32_e32 v2, 0
	s_and_saveexec_b32 s42, s40
.LBB19_370:
	v_lshrrev_b32_e32 v2, 24, v1
	v_and_or_b32 v2, 0x80, v2, v0
.LBB19_371:
	s_or_b32 exec_lo, exec_lo, s42
.LBB19_372:
	s_or_b32 exec_lo, exec_lo, s39
	s_mov_b32 s39, 0
	global_store_byte v[3:4], v2, off
.LBB19_373:
	s_and_b32 vcc_lo, exec_lo, s39
	s_cbranch_vccz .LBB19_383
; %bb.374:
	v_and_b32_e32 v2, 0x7fffffff, v1
	s_mov_b32 s39, exec_lo
                                        ; implicit-def: $vgpr0
	v_cmpx_gt_u32_e32 0x43f00000, v2
	s_xor_b32 s39, exec_lo, s39
	s_cbranch_execz .LBB19_380
; %bb.375:
	s_mov_b32 s40, exec_lo
                                        ; implicit-def: $vgpr0
	v_cmpx_lt_u32_e32 0x3c7fffff, v2
	s_xor_b32 s40, exec_lo, s40
; %bb.376:
	v_bfe_u32 v0, v1, 20, 1
	v_add3_u32 v0, v1, v0, 0x407ffff
	v_and_b32_e32 v2, 0xff00000, v0
	v_lshrrev_b32_e32 v0, 20, v0
	v_cmp_ne_u32_e32 vcc_lo, 0x7f00000, v2
	v_cndmask_b32_e32 v0, 0x7e, v0, vcc_lo
; %bb.377:
	s_andn2_saveexec_b32 s40, s40
; %bb.378:
	v_add_f32_e64 v0, 0x46800000, |v1|
; %bb.379:
	s_or_b32 exec_lo, exec_lo, s40
                                        ; implicit-def: $vgpr2
.LBB19_380:
	s_andn2_saveexec_b32 s39, s39
; %bb.381:
	v_mov_b32_e32 v0, 0x7f
	v_cmp_lt_u32_e32 vcc_lo, 0x7f800000, v2
	v_cndmask_b32_e32 v0, 0x7e, v0, vcc_lo
; %bb.382:
	s_or_b32 exec_lo, exec_lo, s39
	v_lshrrev_b32_e32 v2, 24, v1
	v_and_or_b32 v0, 0x80, v2, v0
	global_store_byte v[3:4], v0, off
.LBB19_383:
	s_mov_b32 s39, 0
.LBB19_384:
	s_andn2_b32 vcc_lo, exec_lo, s39
	s_cbranch_vccnz .LBB19_394
; %bb.385:
	v_and_b32_e32 v2, 0x7fffffff, v1
	s_mov_b32 s39, exec_lo
                                        ; implicit-def: $vgpr0
	v_cmpx_gt_u32_e32 0x47800000, v2
	s_xor_b32 s39, exec_lo, s39
	s_cbranch_execz .LBB19_391
; %bb.386:
	s_mov_b32 s40, exec_lo
                                        ; implicit-def: $vgpr0
	v_cmpx_lt_u32_e32 0x387fffff, v2
	s_xor_b32 s40, exec_lo, s40
; %bb.387:
	v_bfe_u32 v0, v1, 21, 1
	v_add3_u32 v0, v1, v0, 0x80fffff
	v_lshrrev_b32_e32 v0, 21, v0
; %bb.388:
	s_andn2_saveexec_b32 s40, s40
; %bb.389:
	v_add_f32_e64 v0, 0x43000000, |v1|
; %bb.390:
	s_or_b32 exec_lo, exec_lo, s40
                                        ; implicit-def: $vgpr2
.LBB19_391:
	s_andn2_saveexec_b32 s39, s39
; %bb.392:
	v_mov_b32_e32 v0, 0x7f
	v_cmp_lt_u32_e32 vcc_lo, 0x7f800000, v2
	v_cndmask_b32_e32 v0, 0x7c, v0, vcc_lo
; %bb.393:
	s_or_b32 exec_lo, exec_lo, s39
	v_lshrrev_b32_e32 v2, 24, v1
	v_and_or_b32 v0, 0x80, v2, v0
	global_store_byte v[3:4], v0, off
.LBB19_394:
	s_mov_b32 s40, 0
	s_mov_b32 s39, -1
.LBB19_395:
	s_andn2_b32 vcc_lo, exec_lo, s40
	s_cbranch_vccnz .LBB19_403
; %bb.396:
	s_cmp_gt_i32 s23, 14
	s_mov_b32 s40, -1
	s_cbranch_scc0 .LBB19_400
; %bb.397:
	s_cmp_eq_u32 s23, 15
	s_mov_b32 s0, -1
	s_cbranch_scc0 .LBB19_399
; %bb.398:
	v_bfe_u32 v0, v1, 16, 1
	v_cmp_o_f32_e32 vcc_lo, v1, v1
	v_mov_b32_e32 v2, 0x7fc0
	s_mov_b32 s39, -1
	s_mov_b32 s0, 0
	v_add3_u32 v0, v1, v0, 0x7fff
	v_cndmask_b32_sdwa v0, v2, v0, vcc_lo dst_sel:DWORD dst_unused:UNUSED_PAD src0_sel:DWORD src1_sel:WORD_1
	global_store_short v[3:4], v0, off
.LBB19_399:
	s_mov_b32 s40, 0
.LBB19_400:
	s_and_b32 vcc_lo, exec_lo, s40
	s_cbranch_vccz .LBB19_403
; %bb.401:
	s_cmp_eq_u32 s23, 11
	s_mov_b32 s0, -1
	s_cbranch_scc0 .LBB19_403
; %bb.402:
	v_cmp_neq_f32_e32 vcc_lo, 0, v1
	s_mov_b32 s0, 0
	s_mov_b32 s39, -1
	v_cndmask_b32_e64 v0, 0, 1, vcc_lo
	global_store_byte v[3:4], v0, off
.LBB19_403:
	s_mov_b32 s23, 0
.LBB19_404:
	s_and_b32 vcc_lo, exec_lo, s23
	s_cbranch_vccz .LBB19_443
; %bb.405:
	s_and_b32 s22, 0xffff, s22
	s_mov_b32 s23, -1
	s_cmp_lt_i32 s22, 5
	s_cbranch_scc1 .LBB19_426
; %bb.406:
	s_cmp_lt_i32 s22, 8
	s_cbranch_scc1 .LBB19_416
; %bb.407:
	;; [unrolled: 3-line block ×3, first 2 shown]
	s_cmp_gt_i32 s22, 9
	s_cbranch_scc0 .LBB19_410
; %bb.409:
	v_cvt_f64_f32_e32 v[9:10], v1
	v_mov_b32_e32 v11, 0
	s_mov_b32 s23, 0
	v_mov_b32_e32 v12, v11
	global_store_dwordx4 v[3:4], v[9:12], off
.LBB19_410:
	s_andn2_b32 vcc_lo, exec_lo, s23
	s_cbranch_vccnz .LBB19_412
; %bb.411:
	v_mov_b32_e32 v2, 0
	global_store_dwordx2 v[3:4], v[1:2], off
.LBB19_412:
	s_mov_b32 s23, 0
.LBB19_413:
	s_andn2_b32 vcc_lo, exec_lo, s23
	s_cbranch_vccnz .LBB19_415
; %bb.414:
	v_cvt_f16_f32_e32 v0, v1
	v_and_b32_e32 v0, 0xffff, v0
	global_store_dword v[3:4], v0, off
.LBB19_415:
	s_mov_b32 s23, 0
.LBB19_416:
	s_andn2_b32 vcc_lo, exec_lo, s23
	s_cbranch_vccnz .LBB19_425
; %bb.417:
	s_cmp_lt_i32 s22, 6
	s_mov_b32 s23, -1
	s_cbranch_scc1 .LBB19_423
; %bb.418:
	s_cmp_gt_i32 s22, 6
	s_cbranch_scc0 .LBB19_420
; %bb.419:
	v_cvt_f64_f32_e32 v[5:6], v1
	s_mov_b32 s23, 0
	global_store_dwordx2 v[3:4], v[5:6], off
.LBB19_420:
	s_andn2_b32 vcc_lo, exec_lo, s23
	s_cbranch_vccnz .LBB19_422
; %bb.421:
	global_store_dword v[3:4], v1, off
.LBB19_422:
	s_mov_b32 s23, 0
.LBB19_423:
	s_andn2_b32 vcc_lo, exec_lo, s23
	s_cbranch_vccnz .LBB19_425
; %bb.424:
	v_cvt_f16_f32_e32 v0, v1
	global_store_short v[3:4], v0, off
.LBB19_425:
	s_mov_b32 s23, 0
.LBB19_426:
	s_andn2_b32 vcc_lo, exec_lo, s23
	s_cbranch_vccnz .LBB19_442
; %bb.427:
	s_cmp_lt_i32 s22, 2
	s_mov_b32 s23, -1
	s_cbranch_scc1 .LBB19_437
; %bb.428:
	s_cmp_lt_i32 s22, 3
	s_cbranch_scc1 .LBB19_434
; %bb.429:
	s_cmp_gt_i32 s22, 3
	s_cbranch_scc0 .LBB19_431
; %bb.430:
	v_trunc_f32_e32 v0, v1
	s_mov_b32 s23, 0
	v_mul_f32_e64 v2, 0x2f800000, |v0|
	v_floor_f32_e32 v2, v2
	v_fma_f32 v5, 0xcf800000, v2, |v0|
	v_ashrrev_i32_e32 v0, 31, v0
	v_cvt_u32_f32_e32 v2, v2
	v_cvt_u32_f32_e32 v5, v5
	v_xor_b32_e32 v2, v2, v0
	v_xor_b32_e32 v5, v5, v0
	v_sub_co_u32 v5, vcc_lo, v5, v0
	v_sub_co_ci_u32_e64 v6, null, v2, v0, vcc_lo
	global_store_dwordx2 v[3:4], v[5:6], off
.LBB19_431:
	s_andn2_b32 vcc_lo, exec_lo, s23
	s_cbranch_vccnz .LBB19_433
; %bb.432:
	v_cvt_i32_f32_e32 v0, v1
	global_store_dword v[3:4], v0, off
.LBB19_433:
	s_mov_b32 s23, 0
.LBB19_434:
	s_andn2_b32 vcc_lo, exec_lo, s23
	s_cbranch_vccnz .LBB19_436
; %bb.435:
	v_cvt_i32_f32_e32 v0, v1
	global_store_short v[3:4], v0, off
.LBB19_436:
	s_mov_b32 s23, 0
.LBB19_437:
	s_andn2_b32 vcc_lo, exec_lo, s23
	s_cbranch_vccnz .LBB19_442
; %bb.438:
	s_cmp_gt_i32 s22, 0
	s_mov_b32 s22, -1
	s_cbranch_scc0 .LBB19_440
; %bb.439:
	v_cvt_i32_f32_e32 v0, v1
	s_mov_b32 s22, 0
	global_store_byte v[3:4], v0, off
.LBB19_440:
	s_andn2_b32 vcc_lo, exec_lo, s22
	s_cbranch_vccnz .LBB19_442
; %bb.441:
	v_trunc_f32_e32 v0, v1
	v_mul_f32_e64 v1, 0x2f800000, |v0|
	v_floor_f32_e32 v1, v1
	v_fma_f32 v1, 0xcf800000, v1, |v0|
	v_ashrrev_i32_e32 v0, 31, v0
	v_cvt_u32_f32_e32 v1, v1
	v_xor_b32_e32 v1, v1, v0
	v_sub_nc_u32_e32 v0, v1, v0
	global_store_byte v[3:4], v0, off
.LBB19_442:
	s_mov_b32 s39, -1
.LBB19_443:
	s_andn2_b32 vcc_lo, exec_lo, s39
	s_cbranch_vccnz .LBB19_445
; %bb.444:
	v_add_nc_u32_e32 v8, 0x80, v8
	s_mov_b32 s22, -1
	s_branch .LBB19_558
.LBB19_445:
	s_mov_b32 s22, 0
	s_branch .LBB19_557
.LBB19_446:
	s_mov_b32 s1, -1
                                        ; implicit-def: $vgpr3
.LBB19_447:
	s_mov_b32 s23, 0
.LBB19_448:
	s_and_b32 vcc_lo, exec_lo, s23
	s_cbranch_vccz .LBB19_452
; %bb.449:
	s_cmp_eq_u32 s0, 29
	s_cbranch_scc0 .LBB19_451
; %bb.450:
	global_load_dwordx2 v[3:4], v[1:2], off
	s_mov_b32 s22, -1
	s_mov_b32 s1, 0
	s_mov_b32 s23, 0
	s_waitcnt vmcnt(0)
	v_ffbh_u32_e32 v5, v4
	v_min_u32_e32 v5, 32, v5
	v_lshlrev_b64 v[3:4], v5, v[3:4]
	v_min_u32_e32 v3, 1, v3
	v_or_b32_e32 v3, v4, v3
	v_sub_nc_u32_e32 v4, 32, v5
	v_cvt_f32_u32_e32 v3, v3
	v_ldexp_f32 v3, v3, v4
	s_branch .LBB19_453
.LBB19_451:
	s_mov_b32 s1, -1
                                        ; implicit-def: $vgpr3
.LBB19_452:
	s_mov_b32 s23, 0
.LBB19_453:
	s_and_b32 vcc_lo, exec_lo, s23
	s_cbranch_vccz .LBB19_471
; %bb.454:
	s_cmp_lt_i32 s0, 27
	s_cbranch_scc1 .LBB19_457
; %bb.455:
	s_cmp_gt_i32 s0, 27
	s_cbranch_scc0 .LBB19_458
; %bb.456:
	global_load_dword v3, v[1:2], off
	s_mov_b32 s22, 0
	s_waitcnt vmcnt(0)
	v_cvt_f32_u32_e32 v3, v3
	s_branch .LBB19_459
.LBB19_457:
	s_mov_b32 s22, -1
                                        ; implicit-def: $vgpr3
	s_branch .LBB19_462
.LBB19_458:
	s_mov_b32 s22, -1
                                        ; implicit-def: $vgpr3
.LBB19_459:
	s_andn2_b32 vcc_lo, exec_lo, s22
	s_cbranch_vccnz .LBB19_461
; %bb.460:
	global_load_ushort v3, v[1:2], off
	s_waitcnt vmcnt(0)
	v_cvt_f32_u32_e32 v3, v3
.LBB19_461:
	s_mov_b32 s22, 0
.LBB19_462:
	s_andn2_b32 vcc_lo, exec_lo, s22
	s_cbranch_vccnz .LBB19_470
; %bb.463:
	global_load_ubyte v4, v[1:2], off
	s_mov_b32 s22, 0
	s_mov_b32 s23, exec_lo
	s_waitcnt vmcnt(0)
	v_cmpx_lt_i16_e32 0x7f, v4
	s_xor_b32 s23, exec_lo, s23
	s_cbranch_execz .LBB19_484
; %bb.464:
	s_mov_b32 s22, -1
	s_mov_b32 s39, exec_lo
	v_cmpx_eq_u16_e32 0x80, v4
; %bb.465:
	s_xor_b32 s22, exec_lo, -1
; %bb.466:
	s_or_b32 exec_lo, exec_lo, s39
	s_and_b32 s22, s22, exec_lo
	s_or_saveexec_b32 s23, s23
	v_mov_b32_e32 v3, 0x7f800001
	s_xor_b32 exec_lo, exec_lo, s23
	s_cbranch_execnz .LBB19_485
.LBB19_467:
	s_or_b32 exec_lo, exec_lo, s23
	s_and_saveexec_b32 s23, s22
	s_cbranch_execz .LBB19_469
.LBB19_468:
	v_and_b32_e32 v3, 0xffff, v4
	v_lshlrev_b32_e32 v4, 24, v4
	v_and_b32_e32 v5, 7, v3
	v_bfe_u32 v9, v3, 3, 4
	v_and_b32_e32 v4, 0x80000000, v4
	v_ffbh_u32_e32 v6, v5
	v_cmp_eq_u32_e32 vcc_lo, 0, v9
	v_min_u32_e32 v6, 32, v6
	v_subrev_nc_u32_e32 v7, 28, v6
	v_sub_nc_u32_e32 v6, 29, v6
	v_lshlrev_b32_e32 v3, v7, v3
	v_cndmask_b32_e32 v6, v9, v6, vcc_lo
	v_and_b32_e32 v3, 7, v3
	v_cndmask_b32_e32 v3, v5, v3, vcc_lo
	v_lshl_add_u32 v5, v6, 23, 0x3b800000
	v_lshlrev_b32_e32 v3, 20, v3
	v_or3_b32 v3, v4, v5, v3
.LBB19_469:
	s_or_b32 exec_lo, exec_lo, s23
.LBB19_470:
	s_mov_b32 s22, -1
.LBB19_471:
	s_mov_b32 s23, 0
.LBB19_472:
	s_and_b32 vcc_lo, exec_lo, s23
	s_cbranch_vccz .LBB19_507
; %bb.473:
	s_cmp_gt_i32 s0, 22
	s_cbranch_scc0 .LBB19_483
; %bb.474:
	s_cmp_lt_i32 s0, 24
	s_cbranch_scc1 .LBB19_486
; %bb.475:
	s_cmp_gt_i32 s0, 24
	s_cbranch_scc0 .LBB19_487
; %bb.476:
	global_load_ubyte v4, v[1:2], off
	s_mov_b32 s22, 0
	s_mov_b32 s23, exec_lo
	s_waitcnt vmcnt(0)
	v_cmpx_lt_i16_e32 0x7f, v4
	s_xor_b32 s23, exec_lo, s23
	s_cbranch_execz .LBB19_499
; %bb.477:
	s_mov_b32 s22, -1
	s_mov_b32 s39, exec_lo
	v_cmpx_eq_u16_e32 0x80, v4
; %bb.478:
	s_xor_b32 s22, exec_lo, -1
; %bb.479:
	s_or_b32 exec_lo, exec_lo, s39
	s_and_b32 s22, s22, exec_lo
	s_or_saveexec_b32 s23, s23
	v_mov_b32_e32 v3, 0x7f800001
	s_xor_b32 exec_lo, exec_lo, s23
	s_cbranch_execnz .LBB19_500
.LBB19_480:
	s_or_b32 exec_lo, exec_lo, s23
	s_and_saveexec_b32 s23, s22
	s_cbranch_execz .LBB19_482
.LBB19_481:
	v_and_b32_e32 v3, 0xffff, v4
	v_lshlrev_b32_e32 v4, 24, v4
	v_and_b32_e32 v5, 3, v3
	v_bfe_u32 v9, v3, 2, 5
	v_and_b32_e32 v4, 0x80000000, v4
	v_ffbh_u32_e32 v6, v5
	v_cmp_eq_u32_e32 vcc_lo, 0, v9
	v_min_u32_e32 v6, 32, v6
	v_subrev_nc_u32_e32 v7, 29, v6
	v_sub_nc_u32_e32 v6, 30, v6
	v_lshlrev_b32_e32 v3, v7, v3
	v_cndmask_b32_e32 v6, v9, v6, vcc_lo
	v_and_b32_e32 v3, 3, v3
	v_cndmask_b32_e32 v3, v5, v3, vcc_lo
	v_lshl_add_u32 v5, v6, 23, 0x37800000
	v_lshlrev_b32_e32 v3, 21, v3
	v_or3_b32 v3, v4, v5, v3
.LBB19_482:
	s_or_b32 exec_lo, exec_lo, s23
	s_mov_b32 s22, 0
	s_branch .LBB19_488
.LBB19_483:
	s_mov_b32 s23, -1
                                        ; implicit-def: $vgpr3
	s_branch .LBB19_494
.LBB19_484:
	s_or_saveexec_b32 s23, s23
	v_mov_b32_e32 v3, 0x7f800001
	s_xor_b32 exec_lo, exec_lo, s23
	s_cbranch_execz .LBB19_467
.LBB19_485:
	v_cmp_ne_u16_e32 vcc_lo, 0, v4
	v_mov_b32_e32 v3, 0
	s_andn2_b32 s22, s22, exec_lo
	s_and_b32 s39, vcc_lo, exec_lo
	s_or_b32 s22, s22, s39
	s_or_b32 exec_lo, exec_lo, s23
	s_and_saveexec_b32 s23, s22
	s_cbranch_execnz .LBB19_468
	s_branch .LBB19_469
.LBB19_486:
	s_mov_b32 s22, -1
                                        ; implicit-def: $vgpr3
	s_branch .LBB19_491
.LBB19_487:
	s_mov_b32 s22, -1
                                        ; implicit-def: $vgpr3
.LBB19_488:
	s_and_b32 vcc_lo, exec_lo, s22
	s_cbranch_vccz .LBB19_490
; %bb.489:
	global_load_ubyte v3, v[1:2], off
	s_waitcnt vmcnt(0)
	v_lshlrev_b32_e32 v3, 24, v3
	v_and_b32_e32 v4, 0x7f000000, v3
	v_ffbh_u32_e32 v5, v4
	v_add_nc_u32_e32 v7, 0x1000000, v4
	v_cmp_ne_u32_e32 vcc_lo, 0, v4
	v_min_u32_e32 v5, 32, v5
	v_sub_nc_u32_e64 v5, v5, 4 clamp
	v_lshlrev_b32_e32 v6, v5, v4
	v_lshlrev_b32_e32 v5, 23, v5
	v_lshrrev_b32_e32 v6, 4, v6
	v_sub_nc_u32_e32 v5, v6, v5
	v_ashrrev_i32_e32 v6, 8, v7
	v_add_nc_u32_e32 v5, 0x3c000000, v5
	v_and_or_b32 v5, 0x7f800000, v6, v5
	v_cndmask_b32_e32 v4, 0, v5, vcc_lo
	v_and_or_b32 v3, 0x80000000, v3, v4
.LBB19_490:
	s_mov_b32 s22, 0
.LBB19_491:
	s_andn2_b32 vcc_lo, exec_lo, s22
	s_cbranch_vccnz .LBB19_493
; %bb.492:
	global_load_ubyte v3, v[1:2], off
	s_waitcnt vmcnt(0)
	v_lshlrev_b32_e32 v4, 25, v3
	v_lshlrev_b16 v3, 8, v3
	v_lshrrev_b32_e32 v5, 4, v4
	v_and_or_b32 v6, 0x7f00, v3, 0.5
	v_cmp_gt_u32_e32 vcc_lo, 0x8000000, v4
	v_bfe_i32 v3, v3, 0, 16
	v_or_b32_e32 v5, 0x70000000, v5
	v_add_f32_e32 v6, -0.5, v6
	v_mul_f32_e32 v5, 0x7800000, v5
	v_cndmask_b32_e32 v4, v5, v6, vcc_lo
	v_and_or_b32 v3, 0x80000000, v3, v4
.LBB19_493:
	s_mov_b32 s23, 0
	s_mov_b32 s22, -1
.LBB19_494:
	s_andn2_b32 vcc_lo, exec_lo, s23
	s_cbranch_vccnz .LBB19_507
; %bb.495:
	s_cmp_gt_i32 s0, 14
	s_cbranch_scc0 .LBB19_498
; %bb.496:
	s_cmp_eq_u32 s0, 15
	s_cbranch_scc0 .LBB19_501
; %bb.497:
	global_load_ushort v3, v[1:2], off
	s_mov_b32 s22, -1
	s_mov_b32 s1, 0
	s_waitcnt vmcnt(0)
	v_lshlrev_b32_e32 v3, 16, v3
	s_branch .LBB19_502
.LBB19_498:
	s_mov_b32 s23, -1
                                        ; implicit-def: $vgpr3
	s_branch .LBB19_503
.LBB19_499:
	s_or_saveexec_b32 s23, s23
	v_mov_b32_e32 v3, 0x7f800001
	s_xor_b32 exec_lo, exec_lo, s23
	s_cbranch_execz .LBB19_480
.LBB19_500:
	v_cmp_ne_u16_e32 vcc_lo, 0, v4
	v_mov_b32_e32 v3, 0
	s_andn2_b32 s22, s22, exec_lo
	s_and_b32 s39, vcc_lo, exec_lo
	s_or_b32 s22, s22, s39
	s_or_b32 exec_lo, exec_lo, s23
	s_and_saveexec_b32 s23, s22
	s_cbranch_execnz .LBB19_481
	s_branch .LBB19_482
.LBB19_501:
	s_mov_b32 s1, -1
                                        ; implicit-def: $vgpr3
.LBB19_502:
	s_mov_b32 s23, 0
.LBB19_503:
	s_and_b32 vcc_lo, exec_lo, s23
	s_cbranch_vccz .LBB19_507
; %bb.504:
	s_cmp_eq_u32 s0, 11
	s_cbranch_scc0 .LBB19_506
; %bb.505:
	global_load_ubyte v3, v[1:2], off
	s_mov_b32 s1, 0
	s_mov_b32 s22, -1
	s_waitcnt vmcnt(0)
	v_cmp_ne_u16_e32 vcc_lo, 0, v3
	v_cndmask_b32_e64 v3, 0, 1.0, vcc_lo
	s_branch .LBB19_507
.LBB19_506:
	s_mov_b32 s1, -1
                                        ; implicit-def: $vgpr3
.LBB19_507:
	s_branch .LBB19_301
.LBB19_508:
	s_cmp_lt_i32 s0, 5
	s_cbranch_scc1 .LBB19_513
; %bb.509:
	s_cmp_lt_i32 s0, 8
	s_cbranch_scc1 .LBB19_514
; %bb.510:
	;; [unrolled: 3-line block ×3, first 2 shown]
	s_cmp_gt_i32 s0, 9
	s_cbranch_scc0 .LBB19_516
; %bb.512:
	global_load_dwordx2 v[3:4], v[1:2], off
	s_mov_b32 s22, 0
	s_waitcnt vmcnt(0)
	v_cvt_f32_f64_e32 v3, v[3:4]
	s_branch .LBB19_517
.LBB19_513:
	s_mov_b32 s22, -1
                                        ; implicit-def: $vgpr3
	s_branch .LBB19_535
.LBB19_514:
	s_mov_b32 s22, -1
                                        ; implicit-def: $vgpr3
	s_branch .LBB19_523
.LBB19_515:
	s_mov_b32 s22, -1
                                        ; implicit-def: $vgpr3
	s_branch .LBB19_520
.LBB19_516:
	s_mov_b32 s22, -1
                                        ; implicit-def: $vgpr3
.LBB19_517:
	s_andn2_b32 vcc_lo, exec_lo, s22
	s_cbranch_vccnz .LBB19_519
; %bb.518:
	global_load_dword v3, v[1:2], off
.LBB19_519:
	s_mov_b32 s22, 0
.LBB19_520:
	s_andn2_b32 vcc_lo, exec_lo, s22
	s_cbranch_vccnz .LBB19_522
; %bb.521:
	global_load_dword v3, v[1:2], off
	s_waitcnt vmcnt(0)
	v_cvt_f32_f16_e32 v3, v3
.LBB19_522:
	s_mov_b32 s22, 0
.LBB19_523:
	s_andn2_b32 vcc_lo, exec_lo, s22
	s_cbranch_vccnz .LBB19_534
; %bb.524:
	s_cmp_lt_i32 s0, 6
	s_cbranch_scc1 .LBB19_527
; %bb.525:
	s_cmp_gt_i32 s0, 6
	s_cbranch_scc0 .LBB19_528
; %bb.526:
	global_load_dwordx2 v[3:4], v[1:2], off
	s_mov_b32 s22, 0
	s_waitcnt vmcnt(0)
	v_cvt_f32_f64_e32 v3, v[3:4]
	s_branch .LBB19_529
.LBB19_527:
	s_mov_b32 s22, -1
                                        ; implicit-def: $vgpr3
	s_branch .LBB19_532
.LBB19_528:
	s_mov_b32 s22, -1
                                        ; implicit-def: $vgpr3
.LBB19_529:
	s_andn2_b32 vcc_lo, exec_lo, s22
	s_cbranch_vccnz .LBB19_531
; %bb.530:
	global_load_dword v3, v[1:2], off
.LBB19_531:
	s_mov_b32 s22, 0
.LBB19_532:
	s_andn2_b32 vcc_lo, exec_lo, s22
	s_cbranch_vccnz .LBB19_534
; %bb.533:
	global_load_ushort v3, v[1:2], off
	s_waitcnt vmcnt(0)
	v_cvt_f32_f16_e32 v3, v3
.LBB19_534:
	s_mov_b32 s22, 0
.LBB19_535:
	s_andn2_b32 vcc_lo, exec_lo, s22
	s_cbranch_vccnz .LBB19_555
; %bb.536:
	s_cmp_lt_i32 s0, 2
	s_cbranch_scc1 .LBB19_540
; %bb.537:
	s_cmp_lt_i32 s0, 3
	s_cbranch_scc1 .LBB19_541
; %bb.538:
	s_cmp_gt_i32 s0, 3
	s_cbranch_scc0 .LBB19_542
; %bb.539:
	global_load_dwordx2 v[3:4], v[1:2], off
	s_mov_b32 s22, 0
	s_waitcnt vmcnt(0)
	v_xor_b32_e32 v5, v3, v4
	v_ffbh_i32_e32 v6, v4
	v_ashrrev_i32_e32 v5, 31, v5
	v_add_nc_u32_e32 v6, -1, v6
	v_add_nc_u32_e32 v5, 32, v5
	v_min_u32_e32 v5, v6, v5
	v_lshlrev_b64 v[3:4], v5, v[3:4]
	v_min_u32_e32 v3, 1, v3
	v_or_b32_e32 v3, v4, v3
	v_sub_nc_u32_e32 v4, 32, v5
	v_cvt_f32_i32_e32 v3, v3
	v_ldexp_f32 v3, v3, v4
	s_branch .LBB19_543
.LBB19_540:
	s_mov_b32 s22, -1
                                        ; implicit-def: $vgpr3
	s_branch .LBB19_549
.LBB19_541:
	s_mov_b32 s22, -1
                                        ; implicit-def: $vgpr3
	s_branch .LBB19_546
.LBB19_542:
	s_mov_b32 s22, -1
                                        ; implicit-def: $vgpr3
.LBB19_543:
	s_andn2_b32 vcc_lo, exec_lo, s22
	s_cbranch_vccnz .LBB19_545
; %bb.544:
	global_load_dword v3, v[1:2], off
	s_waitcnt vmcnt(0)
	v_cvt_f32_i32_e32 v3, v3
.LBB19_545:
	s_mov_b32 s22, 0
.LBB19_546:
	s_andn2_b32 vcc_lo, exec_lo, s22
	s_cbranch_vccnz .LBB19_548
; %bb.547:
	global_load_sshort v3, v[1:2], off
	s_waitcnt vmcnt(0)
	v_cvt_f32_i32_e32 v3, v3
.LBB19_548:
	s_mov_b32 s22, 0
.LBB19_549:
	s_andn2_b32 vcc_lo, exec_lo, s22
	s_cbranch_vccnz .LBB19_555
; %bb.550:
	s_cmp_gt_i32 s0, 0
	s_mov_b32 s0, 0
	s_cbranch_scc0 .LBB19_552
; %bb.551:
	global_load_sbyte v3, v[1:2], off
	s_waitcnt vmcnt(0)
	v_cvt_f32_i32_e32 v3, v3
	s_branch .LBB19_553
.LBB19_552:
	s_mov_b32 s0, -1
                                        ; implicit-def: $vgpr3
.LBB19_553:
	s_andn2_b32 vcc_lo, exec_lo, s0
	s_cbranch_vccnz .LBB19_555
; %bb.554:
	global_load_ubyte v1, v[1:2], off
	s_waitcnt vmcnt(0)
	v_cvt_f32_ubyte0_e32 v3, v1
.LBB19_555:
	s_branch .LBB19_302
.LBB19_556:
	s_mov_b32 s22, 0
	s_mov_b32 s0, s36
.LBB19_557:
                                        ; implicit-def: $vgpr8
.LBB19_558:
	s_andn2_b32 s23, s36, exec_lo
	s_and_b32 s0, s0, exec_lo
	s_andn2_b32 s39, s37, exec_lo
	s_and_b32 s1, s1, exec_lo
	s_or_b32 s40, s23, s0
	s_or_b32 s39, s39, s1
	s_orn2_b32 s0, s22, exec_lo
.LBB19_559:
	s_or_b32 exec_lo, exec_lo, s41
	s_mov_b32 s1, 0
	s_mov_b32 s23, 0
	;; [unrolled: 1-line block ×3, first 2 shown]
                                        ; implicit-def: $vgpr1_vgpr2
                                        ; implicit-def: $vgpr0
                                        ; implicit-def: $vgpr5
	s_and_saveexec_b32 s41, s0
	s_cbranch_execz .LBB19_944
; %bb.560:
	s_mov_b32 s44, -1
	s_mov_b32 s22, s39
	s_mov_b32 s23, s40
	s_mov_b32 s42, exec_lo
	v_cmpx_gt_i32_e64 s33, v8
	s_cbranch_execz .LBB19_843
; %bb.561:
	s_andn2_b32 vcc_lo, exec_lo, s27
	s_cbranch_vccnz .LBB19_566
; %bb.562:
	s_andn2_b32 vcc_lo, exec_lo, s34
	s_cbranch_vccnz .LBB19_567
; %bb.563:
	s_add_i32 s44, s35, 1
	s_cmp_eq_u32 s25, 2
	s_cbranch_scc1 .LBB19_568
; %bb.564:
	v_mov_b32_e32 v2, 0
	v_mov_b32_e32 v0, 0
	;; [unrolled: 1-line block ×3, first 2 shown]
	s_and_b32 s43, s44, 28
	s_mov_b32 s45, 0
	s_mov_b64 s[0:1], s[2:3]
	s_mov_b64 s[22:23], s[20:21]
.LBB19_565:                             ; =>This Inner Loop Header: Depth=1
	s_clause 0x1
	s_load_dwordx8 s[48:55], s[0:1], 0x4
	s_load_dwordx4 s[64:67], s[0:1], 0x24
	s_load_dwordx8 s[56:63], s[22:23], 0x0
	s_add_u32 s0, s0, 48
	s_addc_u32 s1, s1, 0
	s_add_i32 s45, s45, 4
	s_add_u32 s22, s22, 32
	s_addc_u32 s23, s23, 0
	s_cmp_eq_u32 s43, s45
	s_waitcnt vmcnt(0) lgkmcnt(0)
	v_mul_hi_u32 v3, s49, v1
	v_add_nc_u32_e32 v3, v1, v3
	v_lshrrev_b32_e32 v3, s50, v3
	v_mul_hi_u32 v4, s52, v3
	v_mul_lo_u32 v6, v3, s48
	v_add_nc_u32_e32 v4, v3, v4
	v_sub_nc_u32_e32 v1, v1, v6
	v_lshrrev_b32_e32 v4, s53, v4
	v_mul_lo_u32 v6, v1, s56
	v_mul_lo_u32 v9, v1, s57
	v_mul_hi_u32 v5, s55, v4
	v_add_nc_u32_e32 v5, v4, v5
	v_lshrrev_b32_e32 v5, s64, v5
	v_mul_hi_u32 v7, s66, v5
	v_mul_lo_u32 v10, v5, s54
	v_add_nc_u32_e32 v1, v5, v7
	v_mul_lo_u32 v7, v4, s51
	v_sub_nc_u32_e32 v4, v4, v10
	v_lshrrev_b32_e32 v1, s67, v1
	v_mul_lo_u32 v10, v4, s60
	v_mul_lo_u32 v4, v4, s61
	v_sub_nc_u32_e32 v3, v3, v7
	v_mul_lo_u32 v11, v1, s65
	v_mul_lo_u32 v7, v3, s58
	;; [unrolled: 1-line block ×3, first 2 shown]
	v_sub_nc_u32_e32 v5, v5, v11
	v_add3_u32 v0, v6, v0, v7
	v_mul_lo_u32 v11, v5, s62
	v_mul_lo_u32 v5, v5, s63
	v_add3_u32 v2, v9, v2, v3
	v_add3_u32 v0, v10, v0, v11
	;; [unrolled: 1-line block ×3, first 2 shown]
	s_cbranch_scc0 .LBB19_565
	s_branch .LBB19_569
.LBB19_566:
	s_mov_b32 s0, -1
                                        ; implicit-def: $vgpr0
                                        ; implicit-def: $vgpr2
	s_branch .LBB19_573
.LBB19_567:
	v_mov_b32_e32 v0, 0
	v_mov_b32_e32 v2, 0
	s_branch .LBB19_572
.LBB19_568:
	v_mov_b32_e32 v0, 0
	v_mov_b32_e32 v2, 0
	v_mov_b32_e32 v1, v8
	s_mov_b32 s43, 0
.LBB19_569:
	s_and_b32 s44, s44, 3
	s_cmp_eq_u32 s44, 0
	s_cbranch_scc1 .LBB19_572
; %bb.570:
	s_lshl_b32 s0, s43, 3
	s_mul_i32 s22, s43, 12
	s_add_u32 s0, s2, s0
	s_addc_u32 s1, s3, 0
	s_add_u32 s0, s0, 0xc4
	s_addc_u32 s1, s1, 0
	;; [unrolled: 2-line block ×3, first 2 shown]
	.p2align	6
.LBB19_571:                             ; =>This Inner Loop Header: Depth=1
	s_clause 0x1
	s_load_dwordx2 s[46:47], s[22:23], 0x4
	s_load_dword s43, s[22:23], 0xc
	s_load_dwordx2 s[48:49], s[0:1], 0x0
	s_add_u32 s22, s22, 12
	s_addc_u32 s23, s23, 0
	s_add_u32 s0, s0, 8
	s_addc_u32 s1, s1, 0
	s_add_i32 s44, s44, -1
	s_cmp_lg_u32 s44, 0
	s_waitcnt vmcnt(0) lgkmcnt(0)
	v_mul_hi_u32 v3, s47, v1
	v_add_nc_u32_e32 v3, v1, v3
	v_lshrrev_b32_e32 v4, s43, v3
	v_mul_lo_u32 v3, v4, s46
	v_sub_nc_u32_e32 v3, v1, v3
	v_mad_u64_u32 v[0:1], null, v3, s48, v[0:1]
	v_mad_u64_u32 v[2:3], null, v3, s49, v[2:3]
	v_mov_b32_e32 v1, v4
	s_cbranch_scc1 .LBB19_571
.LBB19_572:
	s_mov_b32 s0, 0
.LBB19_573:
	s_andn2_b32 vcc_lo, exec_lo, s0
	s_cbranch_vccnz .LBB19_576
; %bb.574:
	s_waitcnt lgkmcnt(0)
	v_mul_hi_u32 v0, s17, v8
	s_andn2_b32 vcc_lo, exec_lo, s31
	v_add_nc_u32_e32 v0, v8, v0
	v_lshrrev_b32_e32 v1, s18, v0
	v_mul_lo_u32 v0, v1, s16
	v_sub_nc_u32_e32 v2, v8, v0
	v_mul_lo_u32 v0, v2, s12
	v_mul_lo_u32 v2, v2, s13
	s_cbranch_vccnz .LBB19_576
; %bb.575:
	s_waitcnt vmcnt(0)
	v_mul_hi_u32 v3, s6, v1
	v_add_nc_u32_e32 v3, v1, v3
	v_lshrrev_b32_e32 v3, s7, v3
	v_mul_lo_u32 v3, v3, s19
	v_sub_nc_u32_e32 v3, v1, v3
	v_mad_u64_u32 v[0:1], null, v3, s14, v[0:1]
	v_mad_u64_u32 v[2:3], null, v3, s15, v[2:3]
.LBB19_576:
	s_waitcnt lgkmcnt(0)
	v_add_co_u32 v1, s0, s10, v2
	v_add_co_ci_u32_e64 v2, null, s11, 0, s0
	s_and_b32 s0, 0xffff, s30
	s_cmp_lt_i32 s0, 11
	s_cbranch_scc1 .LBB19_583
; %bb.577:
	s_cmp_gt_i32 s0, 25
	s_cbranch_scc0 .LBB19_584
; %bb.578:
	s_cmp_gt_i32 s0, 28
	s_cbranch_scc0 .LBB19_585
	;; [unrolled: 3-line block ×4, first 2 shown]
; %bb.581:
	s_cmp_eq_u32 s0, 46
	s_mov_b32 s23, 0
	s_cbranch_scc0 .LBB19_592
; %bb.582:
	global_load_dword v3, v[1:2], off
	s_mov_b32 s22, -1
	s_mov_b32 s1, 0
	s_waitcnt vmcnt(0)
	v_lshlrev_b32_e32 v3, 16, v3
	s_branch .LBB19_594
.LBB19_583:
	s_mov_b32 s23, -1
	s_mov_b32 s22, 0
	s_mov_b32 s1, s39
                                        ; implicit-def: $vgpr3
	s_branch .LBB19_659
.LBB19_584:
	s_mov_b32 s23, -1
	s_mov_b32 s22, 0
	s_mov_b32 s1, s39
                                        ; implicit-def: $vgpr3
	s_branch .LBB19_623
.LBB19_585:
	s_mov_b32 s23, -1
	s_mov_b32 s22, 0
	s_mov_b32 s1, s39
                                        ; implicit-def: $vgpr3
	s_branch .LBB19_604
.LBB19_586:
	s_mov_b32 s23, -1
	s_mov_b32 s22, 0
	s_mov_b32 s1, s39
                                        ; implicit-def: $vgpr3
	s_branch .LBB19_599
.LBB19_587:
	s_andn2_saveexec_b32 s42, s42
	s_cbranch_execz .LBB19_356
.LBB19_588:
	v_add_f32_e64 v0, 0x46000000, |v1|
	s_andn2_b32 s40, s40, exec_lo
	v_and_b32_e32 v0, 0xff, v0
	v_cmp_ne_u32_e32 vcc_lo, 0, v0
	s_and_b32 s43, vcc_lo, exec_lo
	s_or_b32 s40, s40, s43
	s_or_b32 exec_lo, exec_lo, s42
	v_mov_b32_e32 v2, 0
	s_and_saveexec_b32 s42, s40
	s_cbranch_execnz .LBB19_357
	s_branch .LBB19_358
.LBB19_589:
	s_mov_b32 s23, -1
	s_mov_b32 s22, 0
	s_mov_b32 s1, s39
	s_branch .LBB19_593
.LBB19_590:
	s_andn2_saveexec_b32 s42, s42
	s_cbranch_execz .LBB19_369
.LBB19_591:
	v_add_f32_e64 v0, 0x42800000, |v1|
	s_andn2_b32 s40, s40, exec_lo
	v_and_b32_e32 v0, 0xff, v0
	v_cmp_ne_u32_e32 vcc_lo, 0, v0
	s_and_b32 s43, vcc_lo, exec_lo
	s_or_b32 s40, s40, s43
	s_or_b32 exec_lo, exec_lo, s42
	v_mov_b32_e32 v2, 0
	s_and_saveexec_b32 s42, s40
	s_cbranch_execnz .LBB19_370
	s_branch .LBB19_371
.LBB19_592:
	s_mov_b32 s1, -1
	s_mov_b32 s22, 0
.LBB19_593:
                                        ; implicit-def: $vgpr3
.LBB19_594:
	s_and_b32 vcc_lo, exec_lo, s23
	s_cbranch_vccz .LBB19_598
; %bb.595:
	s_cmp_eq_u32 s0, 44
	s_cbranch_scc0 .LBB19_597
; %bb.596:
	global_load_ubyte v3, v[1:2], off
	s_mov_b32 s1, 0
	s_mov_b32 s22, -1
	s_waitcnt vmcnt(0)
	v_lshlrev_b32_e32 v4, 23, v3
	v_cmp_ne_u32_e32 vcc_lo, 0xff, v3
	v_cndmask_b32_e32 v4, 0x7f800001, v4, vcc_lo
	v_cmp_ne_u32_e32 vcc_lo, 0, v3
	v_cndmask_b32_e32 v3, 0x400000, v4, vcc_lo
	s_branch .LBB19_598
.LBB19_597:
	s_mov_b32 s1, -1
                                        ; implicit-def: $vgpr3
.LBB19_598:
	s_mov_b32 s23, 0
.LBB19_599:
	s_and_b32 vcc_lo, exec_lo, s23
	s_cbranch_vccz .LBB19_603
; %bb.600:
	s_cmp_eq_u32 s0, 29
	s_cbranch_scc0 .LBB19_602
; %bb.601:
	global_load_dwordx2 v[3:4], v[1:2], off
	s_mov_b32 s22, -1
	s_mov_b32 s1, 0
	s_mov_b32 s23, 0
	s_waitcnt vmcnt(0)
	v_ffbh_u32_e32 v5, v4
	v_min_u32_e32 v5, 32, v5
	v_lshlrev_b64 v[3:4], v5, v[3:4]
	v_min_u32_e32 v3, 1, v3
	v_or_b32_e32 v3, v4, v3
	v_sub_nc_u32_e32 v4, 32, v5
	v_cvt_f32_u32_e32 v3, v3
	v_ldexp_f32 v3, v3, v4
	s_branch .LBB19_604
.LBB19_602:
	s_mov_b32 s1, -1
                                        ; implicit-def: $vgpr3
.LBB19_603:
	s_mov_b32 s23, 0
.LBB19_604:
	s_and_b32 vcc_lo, exec_lo, s23
	s_cbranch_vccz .LBB19_622
; %bb.605:
	s_cmp_lt_i32 s0, 27
	s_cbranch_scc1 .LBB19_608
; %bb.606:
	s_cmp_gt_i32 s0, 27
	s_cbranch_scc0 .LBB19_609
; %bb.607:
	global_load_dword v3, v[1:2], off
	s_mov_b32 s22, 0
	s_waitcnt vmcnt(0)
	v_cvt_f32_u32_e32 v3, v3
	s_branch .LBB19_610
.LBB19_608:
	s_mov_b32 s22, -1
                                        ; implicit-def: $vgpr3
	s_branch .LBB19_613
.LBB19_609:
	s_mov_b32 s22, -1
                                        ; implicit-def: $vgpr3
.LBB19_610:
	s_andn2_b32 vcc_lo, exec_lo, s22
	s_cbranch_vccnz .LBB19_612
; %bb.611:
	global_load_ushort v3, v[1:2], off
	s_waitcnt vmcnt(0)
	v_cvt_f32_u32_e32 v3, v3
.LBB19_612:
	s_mov_b32 s22, 0
.LBB19_613:
	s_andn2_b32 vcc_lo, exec_lo, s22
	s_cbranch_vccnz .LBB19_621
; %bb.614:
	global_load_ubyte v4, v[1:2], off
	s_mov_b32 s22, 0
	s_mov_b32 s23, exec_lo
	s_waitcnt vmcnt(0)
	v_cmpx_lt_i16_e32 0x7f, v4
	s_xor_b32 s23, exec_lo, s23
	s_cbranch_execz .LBB19_635
; %bb.615:
	s_mov_b32 s22, -1
	s_mov_b32 s43, exec_lo
	v_cmpx_eq_u16_e32 0x80, v4
; %bb.616:
	s_xor_b32 s22, exec_lo, -1
; %bb.617:
	s_or_b32 exec_lo, exec_lo, s43
	s_and_b32 s22, s22, exec_lo
	s_or_saveexec_b32 s23, s23
	v_mov_b32_e32 v3, 0x7f800001
	s_xor_b32 exec_lo, exec_lo, s23
	s_cbranch_execnz .LBB19_636
.LBB19_618:
	s_or_b32 exec_lo, exec_lo, s23
	s_and_saveexec_b32 s23, s22
	s_cbranch_execz .LBB19_620
.LBB19_619:
	v_and_b32_e32 v3, 0xffff, v4
	v_lshlrev_b32_e32 v4, 24, v4
	v_and_b32_e32 v5, 7, v3
	v_bfe_u32 v9, v3, 3, 4
	v_and_b32_e32 v4, 0x80000000, v4
	v_ffbh_u32_e32 v6, v5
	v_cmp_eq_u32_e32 vcc_lo, 0, v9
	v_min_u32_e32 v6, 32, v6
	v_subrev_nc_u32_e32 v7, 28, v6
	v_sub_nc_u32_e32 v6, 29, v6
	v_lshlrev_b32_e32 v3, v7, v3
	v_cndmask_b32_e32 v6, v9, v6, vcc_lo
	v_and_b32_e32 v3, 7, v3
	v_cndmask_b32_e32 v3, v5, v3, vcc_lo
	v_lshl_add_u32 v5, v6, 23, 0x3b800000
	v_lshlrev_b32_e32 v3, 20, v3
	v_or3_b32 v3, v4, v5, v3
.LBB19_620:
	s_or_b32 exec_lo, exec_lo, s23
.LBB19_621:
	s_mov_b32 s22, -1
.LBB19_622:
	s_mov_b32 s23, 0
.LBB19_623:
	s_and_b32 vcc_lo, exec_lo, s23
	s_cbranch_vccz .LBB19_658
; %bb.624:
	s_cmp_gt_i32 s0, 22
	s_cbranch_scc0 .LBB19_634
; %bb.625:
	s_cmp_lt_i32 s0, 24
	s_cbranch_scc1 .LBB19_637
; %bb.626:
	s_cmp_gt_i32 s0, 24
	s_cbranch_scc0 .LBB19_638
; %bb.627:
	global_load_ubyte v4, v[1:2], off
	s_mov_b32 s22, 0
	s_mov_b32 s23, exec_lo
	s_waitcnt vmcnt(0)
	v_cmpx_lt_i16_e32 0x7f, v4
	s_xor_b32 s23, exec_lo, s23
	s_cbranch_execz .LBB19_650
; %bb.628:
	s_mov_b32 s22, -1
	s_mov_b32 s43, exec_lo
	v_cmpx_eq_u16_e32 0x80, v4
; %bb.629:
	s_xor_b32 s22, exec_lo, -1
; %bb.630:
	s_or_b32 exec_lo, exec_lo, s43
	s_and_b32 s22, s22, exec_lo
	s_or_saveexec_b32 s23, s23
	v_mov_b32_e32 v3, 0x7f800001
	s_xor_b32 exec_lo, exec_lo, s23
	s_cbranch_execnz .LBB19_651
.LBB19_631:
	s_or_b32 exec_lo, exec_lo, s23
	s_and_saveexec_b32 s23, s22
	s_cbranch_execz .LBB19_633
.LBB19_632:
	v_and_b32_e32 v3, 0xffff, v4
	v_lshlrev_b32_e32 v4, 24, v4
	v_and_b32_e32 v5, 3, v3
	v_bfe_u32 v9, v3, 2, 5
	v_and_b32_e32 v4, 0x80000000, v4
	v_ffbh_u32_e32 v6, v5
	v_cmp_eq_u32_e32 vcc_lo, 0, v9
	v_min_u32_e32 v6, 32, v6
	v_subrev_nc_u32_e32 v7, 29, v6
	v_sub_nc_u32_e32 v6, 30, v6
	v_lshlrev_b32_e32 v3, v7, v3
	v_cndmask_b32_e32 v6, v9, v6, vcc_lo
	v_and_b32_e32 v3, 3, v3
	v_cndmask_b32_e32 v3, v5, v3, vcc_lo
	v_lshl_add_u32 v5, v6, 23, 0x37800000
	v_lshlrev_b32_e32 v3, 21, v3
	v_or3_b32 v3, v4, v5, v3
.LBB19_633:
	s_or_b32 exec_lo, exec_lo, s23
	s_mov_b32 s22, 0
	s_branch .LBB19_639
.LBB19_634:
	s_mov_b32 s23, -1
                                        ; implicit-def: $vgpr3
	s_branch .LBB19_645
.LBB19_635:
	s_or_saveexec_b32 s23, s23
	v_mov_b32_e32 v3, 0x7f800001
	s_xor_b32 exec_lo, exec_lo, s23
	s_cbranch_execz .LBB19_618
.LBB19_636:
	v_cmp_ne_u16_e32 vcc_lo, 0, v4
	v_mov_b32_e32 v3, 0
	s_andn2_b32 s22, s22, exec_lo
	s_and_b32 s43, vcc_lo, exec_lo
	s_or_b32 s22, s22, s43
	s_or_b32 exec_lo, exec_lo, s23
	s_and_saveexec_b32 s23, s22
	s_cbranch_execnz .LBB19_619
	s_branch .LBB19_620
.LBB19_637:
	s_mov_b32 s22, -1
                                        ; implicit-def: $vgpr3
	s_branch .LBB19_642
.LBB19_638:
	s_mov_b32 s22, -1
                                        ; implicit-def: $vgpr3
.LBB19_639:
	s_and_b32 vcc_lo, exec_lo, s22
	s_cbranch_vccz .LBB19_641
; %bb.640:
	global_load_ubyte v3, v[1:2], off
	s_waitcnt vmcnt(0)
	v_lshlrev_b32_e32 v3, 24, v3
	v_and_b32_e32 v4, 0x7f000000, v3
	v_ffbh_u32_e32 v5, v4
	v_add_nc_u32_e32 v7, 0x1000000, v4
	v_cmp_ne_u32_e32 vcc_lo, 0, v4
	v_min_u32_e32 v5, 32, v5
	v_sub_nc_u32_e64 v5, v5, 4 clamp
	v_lshlrev_b32_e32 v6, v5, v4
	v_lshlrev_b32_e32 v5, 23, v5
	v_lshrrev_b32_e32 v6, 4, v6
	v_sub_nc_u32_e32 v5, v6, v5
	v_ashrrev_i32_e32 v6, 8, v7
	v_add_nc_u32_e32 v5, 0x3c000000, v5
	v_and_or_b32 v5, 0x7f800000, v6, v5
	v_cndmask_b32_e32 v4, 0, v5, vcc_lo
	v_and_or_b32 v3, 0x80000000, v3, v4
.LBB19_641:
	s_mov_b32 s22, 0
.LBB19_642:
	s_andn2_b32 vcc_lo, exec_lo, s22
	s_cbranch_vccnz .LBB19_644
; %bb.643:
	global_load_ubyte v3, v[1:2], off
	s_waitcnt vmcnt(0)
	v_lshlrev_b32_e32 v4, 25, v3
	v_lshlrev_b16 v3, 8, v3
	v_lshrrev_b32_e32 v5, 4, v4
	v_and_or_b32 v6, 0x7f00, v3, 0.5
	v_cmp_gt_u32_e32 vcc_lo, 0x8000000, v4
	v_bfe_i32 v3, v3, 0, 16
	v_or_b32_e32 v5, 0x70000000, v5
	v_add_f32_e32 v6, -0.5, v6
	v_mul_f32_e32 v5, 0x7800000, v5
	v_cndmask_b32_e32 v4, v5, v6, vcc_lo
	v_and_or_b32 v3, 0x80000000, v3, v4
.LBB19_644:
	s_mov_b32 s23, 0
	s_mov_b32 s22, -1
.LBB19_645:
	s_andn2_b32 vcc_lo, exec_lo, s23
	s_cbranch_vccnz .LBB19_658
; %bb.646:
	s_cmp_gt_i32 s0, 14
	s_cbranch_scc0 .LBB19_649
; %bb.647:
	s_cmp_eq_u32 s0, 15
	s_cbranch_scc0 .LBB19_652
; %bb.648:
	global_load_ushort v3, v[1:2], off
	s_mov_b32 s22, -1
	s_mov_b32 s1, 0
	s_waitcnt vmcnt(0)
	v_lshlrev_b32_e32 v3, 16, v3
	s_branch .LBB19_653
.LBB19_649:
	s_mov_b32 s23, -1
                                        ; implicit-def: $vgpr3
	s_branch .LBB19_654
.LBB19_650:
	s_or_saveexec_b32 s23, s23
	v_mov_b32_e32 v3, 0x7f800001
	s_xor_b32 exec_lo, exec_lo, s23
	s_cbranch_execz .LBB19_631
.LBB19_651:
	v_cmp_ne_u16_e32 vcc_lo, 0, v4
	v_mov_b32_e32 v3, 0
	s_andn2_b32 s22, s22, exec_lo
	s_and_b32 s43, vcc_lo, exec_lo
	s_or_b32 s22, s22, s43
	s_or_b32 exec_lo, exec_lo, s23
	s_and_saveexec_b32 s23, s22
	s_cbranch_execnz .LBB19_632
	s_branch .LBB19_633
.LBB19_652:
	s_mov_b32 s1, -1
                                        ; implicit-def: $vgpr3
.LBB19_653:
	s_mov_b32 s23, 0
.LBB19_654:
	s_and_b32 vcc_lo, exec_lo, s23
	s_cbranch_vccz .LBB19_658
; %bb.655:
	s_cmp_eq_u32 s0, 11
	s_cbranch_scc0 .LBB19_657
; %bb.656:
	global_load_ubyte v3, v[1:2], off
	s_mov_b32 s1, 0
	s_mov_b32 s22, -1
	s_waitcnt vmcnt(0)
	v_cmp_ne_u16_e32 vcc_lo, 0, v3
	v_cndmask_b32_e64 v3, 0, 1.0, vcc_lo
	s_branch .LBB19_658
.LBB19_657:
	s_mov_b32 s1, -1
                                        ; implicit-def: $vgpr3
.LBB19_658:
	s_mov_b32 s23, 0
.LBB19_659:
	s_and_b32 vcc_lo, exec_lo, s23
	s_cbranch_vccz .LBB19_708
; %bb.660:
	s_cmp_lt_i32 s0, 5
	s_cbranch_scc1 .LBB19_665
; %bb.661:
	s_cmp_lt_i32 s0, 8
	s_cbranch_scc1 .LBB19_666
	;; [unrolled: 3-line block ×3, first 2 shown]
; %bb.663:
	s_cmp_gt_i32 s0, 9
	s_cbranch_scc0 .LBB19_668
; %bb.664:
	global_load_dwordx2 v[3:4], v[1:2], off
	s_mov_b32 s22, 0
	s_waitcnt vmcnt(0)
	v_cvt_f32_f64_e32 v3, v[3:4]
	s_branch .LBB19_669
.LBB19_665:
	s_mov_b32 s22, -1
                                        ; implicit-def: $vgpr3
	s_branch .LBB19_687
.LBB19_666:
	s_mov_b32 s22, -1
                                        ; implicit-def: $vgpr3
	s_branch .LBB19_675
.LBB19_667:
	s_mov_b32 s22, -1
                                        ; implicit-def: $vgpr3
	s_branch .LBB19_672
.LBB19_668:
	s_mov_b32 s22, -1
                                        ; implicit-def: $vgpr3
.LBB19_669:
	s_andn2_b32 vcc_lo, exec_lo, s22
	s_cbranch_vccnz .LBB19_671
; %bb.670:
	global_load_dword v3, v[1:2], off
.LBB19_671:
	s_mov_b32 s22, 0
.LBB19_672:
	s_andn2_b32 vcc_lo, exec_lo, s22
	s_cbranch_vccnz .LBB19_674
; %bb.673:
	global_load_dword v3, v[1:2], off
	s_waitcnt vmcnt(0)
	v_cvt_f32_f16_e32 v3, v3
.LBB19_674:
	s_mov_b32 s22, 0
.LBB19_675:
	s_andn2_b32 vcc_lo, exec_lo, s22
	s_cbranch_vccnz .LBB19_686
; %bb.676:
	s_cmp_lt_i32 s0, 6
	s_cbranch_scc1 .LBB19_679
; %bb.677:
	s_cmp_gt_i32 s0, 6
	s_cbranch_scc0 .LBB19_680
; %bb.678:
	global_load_dwordx2 v[3:4], v[1:2], off
	s_mov_b32 s22, 0
	s_waitcnt vmcnt(0)
	v_cvt_f32_f64_e32 v3, v[3:4]
	s_branch .LBB19_681
.LBB19_679:
	s_mov_b32 s22, -1
                                        ; implicit-def: $vgpr3
	s_branch .LBB19_684
.LBB19_680:
	s_mov_b32 s22, -1
                                        ; implicit-def: $vgpr3
.LBB19_681:
	s_andn2_b32 vcc_lo, exec_lo, s22
	s_cbranch_vccnz .LBB19_683
; %bb.682:
	global_load_dword v3, v[1:2], off
.LBB19_683:
	s_mov_b32 s22, 0
.LBB19_684:
	s_andn2_b32 vcc_lo, exec_lo, s22
	s_cbranch_vccnz .LBB19_686
; %bb.685:
	global_load_ushort v3, v[1:2], off
	s_waitcnt vmcnt(0)
	v_cvt_f32_f16_e32 v3, v3
.LBB19_686:
	s_mov_b32 s22, 0
.LBB19_687:
	s_andn2_b32 vcc_lo, exec_lo, s22
	s_cbranch_vccnz .LBB19_707
; %bb.688:
	s_cmp_lt_i32 s0, 2
	s_cbranch_scc1 .LBB19_692
; %bb.689:
	s_cmp_lt_i32 s0, 3
	s_cbranch_scc1 .LBB19_693
; %bb.690:
	s_cmp_gt_i32 s0, 3
	s_cbranch_scc0 .LBB19_694
; %bb.691:
	global_load_dwordx2 v[3:4], v[1:2], off
	s_mov_b32 s22, 0
	s_waitcnt vmcnt(0)
	v_xor_b32_e32 v5, v3, v4
	v_ffbh_i32_e32 v6, v4
	v_ashrrev_i32_e32 v5, 31, v5
	v_add_nc_u32_e32 v6, -1, v6
	v_add_nc_u32_e32 v5, 32, v5
	v_min_u32_e32 v5, v6, v5
	v_lshlrev_b64 v[3:4], v5, v[3:4]
	v_min_u32_e32 v3, 1, v3
	v_or_b32_e32 v3, v4, v3
	v_sub_nc_u32_e32 v4, 32, v5
	v_cvt_f32_i32_e32 v3, v3
	v_ldexp_f32 v3, v3, v4
	s_branch .LBB19_695
.LBB19_692:
	s_mov_b32 s22, -1
                                        ; implicit-def: $vgpr3
	s_branch .LBB19_701
.LBB19_693:
	s_mov_b32 s22, -1
                                        ; implicit-def: $vgpr3
	s_branch .LBB19_698
.LBB19_694:
	s_mov_b32 s22, -1
                                        ; implicit-def: $vgpr3
.LBB19_695:
	s_andn2_b32 vcc_lo, exec_lo, s22
	s_cbranch_vccnz .LBB19_697
; %bb.696:
	global_load_dword v3, v[1:2], off
	s_waitcnt vmcnt(0)
	v_cvt_f32_i32_e32 v3, v3
.LBB19_697:
	s_mov_b32 s22, 0
.LBB19_698:
	s_andn2_b32 vcc_lo, exec_lo, s22
	s_cbranch_vccnz .LBB19_700
; %bb.699:
	global_load_sshort v3, v[1:2], off
	s_waitcnt vmcnt(0)
	v_cvt_f32_i32_e32 v3, v3
.LBB19_700:
	s_mov_b32 s22, 0
.LBB19_701:
	s_andn2_b32 vcc_lo, exec_lo, s22
	s_cbranch_vccnz .LBB19_707
; %bb.702:
	s_cmp_gt_i32 s0, 0
	s_mov_b32 s0, 0
	s_cbranch_scc0 .LBB19_704
; %bb.703:
	global_load_sbyte v3, v[1:2], off
	s_waitcnt vmcnt(0)
	v_cvt_f32_i32_e32 v3, v3
	s_branch .LBB19_705
.LBB19_704:
	s_mov_b32 s0, -1
                                        ; implicit-def: $vgpr3
.LBB19_705:
	s_andn2_b32 vcc_lo, exec_lo, s0
	s_cbranch_vccnz .LBB19_707
; %bb.706:
	global_load_ubyte v1, v[1:2], off
	s_waitcnt vmcnt(0)
	v_cvt_f32_ubyte0_e32 v3, v1
.LBB19_707:
	s_mov_b32 s22, -1
.LBB19_708:
	s_andn2_b32 vcc_lo, exec_lo, s22
	s_cbranch_vccnz .LBB19_724
; %bb.709:
	v_mov_b32_e32 v1, 0x7f800000
	s_mov_b32 s22, exec_lo
	s_waitcnt vmcnt(0)
	v_cmpx_neq_f32_e32 0, v3
	s_cbranch_execz .LBB19_717
; %bb.710:
	v_mov_b32_e32 v1, 0x7fc00000
	s_mov_b32 s23, exec_lo
	v_cmpx_ngt_f32_e32 0, v3
	s_cbranch_execz .LBB19_716
; %bb.711:
                                        ; implicit-def: $vgpr1
	s_mov_b32 s0, exec_lo
	v_cmpx_ge_f32_e32 2.0, v3
	s_xor_b32 s43, exec_lo, s0
	s_cbranch_execz .LBB19_713
; %bb.712:
	v_fma_f32 v1, v3, 0.5, -2.0
	s_mov_b32 s0, 0x224cf950
	v_fma_f32 v5, v3, v3, -2.0
	v_fmaak_f32 v2, s0, v1, 0xa3c2be86
	s_mov_b32 s0, 0xa3019142
	v_fmaak_f32 v6, s0, v5, 0xa72eea8c
	v_fmaak_f32 v4, v1, v2, 0xa24cf950
	;; [unrolled: 1-line block ×3, first 2 shown]
	v_add_f32_e32 v4, 0x25331f1f, v4
	v_add_f32_e32 v7, 0xab3ba817, v7
	v_fma_f32 v2, v1, v4, -v2
	v_fma_f32 v6, v5, v7, -v6
	v_add_f32_e32 v2, 0xa69f5554, v2
	v_add_f32_e32 v6, 0xaf1b31de, v6
	v_fma_f32 v4, v1, v2, -v4
	v_fma_f32 v7, v5, v6, -v7
	;; [unrolled: 4-line block ×8, first 2 shown]
	v_mul_f32_e32 v6, 0.5, v3
	v_add_f32_e32 v4, 0x2fc751a6, v4
	v_add_f32_e32 v5, 0x3fc33d0a, v5
	v_cmp_gt_f32_e32 vcc_lo, 0x800000, v6
	v_fma_f32 v2, v1, v4, -v2
	v_sub_f32_e32 v5, v5, v7
	v_mul_f32_e32 v7, 0x3fb8aa3b, v3
	v_add_f32_e32 v2, 0xb101b0d9, v2
	v_cndmask_b32_e64 v9, 0, 32, vcc_lo
	v_cndmask_b32_e64 v14, 0, 0x41b17218, vcc_lo
	v_mul_f32_e32 v5, 0.5, v5
	v_rndne_f32_e32 v10, v7
	v_fma_f32 v4, v1, v2, -v4
	v_fma_f32 v12, 0x3fb8aa3b, v3, -v7
	v_ldexp_f32 v6, v6, v9
	v_div_scale_f32 v11, null, v3, v3, v5
	v_add_f32_e32 v4, 0x32212c70, v4
	v_sub_f32_e32 v7, v7, v10
	v_fmamk_f32 v12, v3, 0x32a5705f, v12
	v_rcp_f32_e32 v9, v11
	v_log_f32_e32 v6, v6
	v_fma_f32 v2, v1, v4, -v2
	v_div_scale_f32 v13, s0, v5, v3, v5
	v_add_f32_e32 v7, v7, v12
	v_cmp_ngt_f32_e32 vcc_lo, 0xc2ce8ed0, v3
	v_add_f32_e32 v2, 0xb33ee9f1, v2
	v_exp_f32_e32 v7, v7
	v_fma_f32 v12, -v11, v9, 1.0
	v_fma_f32 v4, v1, v2, -v4
	v_fmac_f32_e32 v9, v12, v9
	v_add_f32_e32 v4, 0x34571a26, v4
	v_mul_f32_e32 v12, 0x3f317217, v6
	v_fma_f32 v2, v1, v4, -v2
	v_fma_f32 v12, 0x3f317217, v6, -v12
	v_add_f32_e32 v2, 0xb56603cc, v2
	v_fmamk_f32 v12, v6, 0x3377d1cf, v12
	v_fma_f32 v4, v1, v2, -v4
	v_fmac_f32_e32 v12, 0x3f317217, v6
	v_add_f32_e32 v4, 0x3668e277, v4
	v_fma_f32 v2, v1, v4, -v2
	v_add_f32_e32 v2, 0xb75eafce, v2
	v_fma_f32 v4, v1, v2, -v4
	;; [unrolled: 2-line block ×12, first 2 shown]
	v_cvt_i32_f32_e32 v2, v10
	v_mul_f32_e32 v10, v13, v9
	v_add_f32_e32 v1, 0x3e81531c, v1
	v_ldexp_f32 v2, v7, v2
	v_fma_f32 v7, -v11, v10, v13
	v_sub_f32_e32 v1, v1, v4
	v_cndmask_b32_e32 v2, 0, v2, vcc_lo
	v_cmp_nlt_f32_e32 vcc_lo, 0x42b17218, v3
	v_fmac_f32_e32 v10, v7, v9
	v_mul_f32_e32 v1, 0.5, v1
	v_cndmask_b32_e32 v2, 0x7f800000, v2, vcc_lo
	v_cmp_gt_f32_e64 vcc_lo, 0x7f800000, |v6|
	v_fma_f32 v4, -v11, v10, v13
	v_mul_f32_e32 v1, v3, v1
	v_cndmask_b32_e32 v6, v6, v12, vcc_lo
	s_mov_b32 vcc_lo, s0
	v_mul_f32_e32 v2, v2, v1
	v_div_fmas_f32 v4, v4, v9, v10
	v_sub_f32_e32 v6, v6, v14
	v_div_fixup_f32 v1, v4, v3, v5
                                        ; implicit-def: $vgpr3
	v_fmac_f32_e32 v1, v6, v2
.LBB19_713:
	s_andn2_saveexec_b32 s43, s43
	s_cbranch_execz .LBB19_715
; %bb.714:
	v_div_scale_f32 v1, null, v3, v3, 0x41000000
	v_div_scale_f32 v5, vcc_lo, 0x41000000, v3, 0x41000000
	s_mov_b32 s0, 0xa2d462ea
	v_rcp_f32_e32 v2, v1
	v_fma_f32 v4, -v1, v2, 1.0
	v_fmac_f32_e32 v2, v4, v2
	v_mul_f32_e32 v4, v5, v2
	v_fma_f32 v6, -v1, v4, v5
	v_fmac_f32_e32 v4, v6, v2
	v_mul_f32_e32 v6, 0xbfb8aa3b, v3
	v_fma_f32 v1, -v1, v4, v5
	v_mul_f32_e32 v5, 0x4f800000, v3
	v_rndne_f32_e32 v7, v6
	v_fma_f32 v9, 0xbfb8aa3b, v3, -v6
	v_div_fmas_f32 v1, v1, v2, v4
	v_cmp_gt_f32_e32 vcc_lo, 0xf800000, v3
	v_sub_f32_e32 v6, v6, v7
	v_fmamk_f32 v9, v3, 0xb2a5705f, v9
	v_cvt_i32_f32_e32 v7, v7
	v_div_fixup_f32 v1, v1, v3, 0x41000000
	v_cndmask_b32_e32 v5, v3, v5, vcc_lo
	v_add_f32_e32 v6, v6, v9
	v_add_f32_e32 v1, -2.0, v1
	v_sqrt_f32_e32 v10, v5
	v_exp_f32_e32 v6, v6
	v_fmaak_f32 v2, s0, v1, 0x23a578d4
	v_fmaak_f32 v4, v1, v2, 0x22d462ea
	v_add_nc_u32_e32 v9, -1, v10
	v_add_nc_u32_e32 v11, 1, v10
	v_add_f32_e32 v4, 0xa48330a9, v4
	v_fma_f32 v12, -v9, v10, v5
	v_fma_f32 v13, -v11, v10, v5
	v_fma_f32 v2, v1, v4, -v2
	v_cmp_ge_f32_e64 s0, 0, v12
	v_add_f32_e32 v2, 0x2553eaf2, v2
	v_cndmask_b32_e64 v9, v10, v9, s0
	v_cmp_lt_f32_e64 s0, 0, v13
	v_fma_f32 v4, v1, v2, -v4
	v_add_f32_e32 v4, 0xa62e951f, v4
	v_fma_f32 v2, v1, v4, -v2
	v_add_f32_e32 v2, 0x2712e76f, v2
	v_fma_f32 v4, v1, v2, -v4
	v_add_f32_e32 v4, 0xa7fcea92, v4
	v_fma_f32 v2, v1, v4, -v2
	v_add_f32_e32 v2, 0x28df1f4b, v2
	v_fma_f32 v4, v1, v2, -v4
	v_add_f32_e32 v4, 0xa9ca232f, v4
	v_fma_f32 v2, v1, v4, -v2
	v_add_f32_e32 v2, 0x2abc7fd0, v2
	v_fma_f32 v4, v1, v2, -v4
	v_add_f32_e32 v4, 0xabb56f63, v4
	v_fma_f32 v2, v1, v4, -v2
	v_add_f32_e32 v2, 0x2cb4d5c2, v2
	v_fma_f32 v4, v1, v2, -v4
	v_add_f32_e32 v4, 0xadbb5a9d, v4
	v_fma_f32 v2, v1, v4, -v2
	v_add_f32_e32 v2, 0x2ecab680, v2
	v_fma_f32 v4, v1, v2, -v4
	v_add_f32_e32 v4, 0xafe65e00, v4
	v_fma_f32 v2, v1, v4, -v2
	v_add_f32_e32 v2, 0x310a7921, v2
	v_fma_f32 v4, v1, v2, -v4
	v_add_f32_e32 v4, 0xb231bd25, v4
	v_fma_f32 v2, v1, v4, -v2
	v_add_f32_e32 v2, 0x337693e3, v2
	v_fma_f32 v4, v1, v2, -v4
	v_add_f32_e32 v4, 0xb4bc0294, v4
	v_fma_f32 v2, v1, v4, -v2
	v_add_f32_e32 v2, 0x36217f19, v2
	v_fma_f32 v4, v1, v2, -v4
	v_add_f32_e32 v4, 0xb7a26b89, v4
	v_fma_f32 v2, v1, v4, -v2
	v_add_f32_e32 v2, 0x394cb2c4, v2
	v_fma_f32 v4, v1, v2, -v4
	v_add_f32_e32 v4, 0xbb3b4a36, v4
	v_fma_f32 v2, v1, v4, -v2
	v_add_f32_e32 v2, 0x3dd4d5f8, v2
	v_fma_f32 v1, v1, v2, -v4
	v_ldexp_f32 v2, v6, v7
	v_cndmask_b32_e64 v6, v9, v11, s0
	v_cmp_nlt_f32_e64 s0, 0x42ce8ed0, v3
	v_add_f32_e32 v1, 0x402e1ebd, v1
	v_mul_f32_e32 v7, 0x37800000, v6
	v_cndmask_b32_e64 v2, 0, v2, s0
	v_cmp_ngt_f32_e64 s0, 0xc2b17218, v3
	v_sub_f32_e32 v1, v1, v4
	v_cndmask_b32_e32 v3, v6, v7, vcc_lo
	v_cmp_class_f32_e64 vcc_lo, v5, 0x260
	v_cndmask_b32_e64 v2, 0x7f800000, v2, s0
	v_mul_f32_e32 v1, 0.5, v1
	v_cndmask_b32_e32 v3, v3, v5, vcc_lo
	v_mul_f32_e32 v1, v2, v1
	v_div_scale_f32 v2, null, v3, v3, v1
	v_rcp_f32_e32 v4, v2
	v_fma_f32 v5, -v2, v4, 1.0
	v_fmac_f32_e32 v4, v5, v4
	v_div_scale_f32 v5, vcc_lo, v1, v3, v1
	v_mul_f32_e32 v6, v5, v4
	v_fma_f32 v7, -v2, v6, v5
	v_fmac_f32_e32 v6, v7, v4
	v_fma_f32 v2, -v2, v6, v5
	v_div_fmas_f32 v2, v2, v4, v6
	v_div_fixup_f32 v1, v2, v3, v1
.LBB19_715:
	s_or_b32 exec_lo, exec_lo, s43
.LBB19_716:
	s_or_b32 exec_lo, exec_lo, s23
.LBB19_717:
	s_or_b32 exec_lo, exec_lo, s22
	v_add_co_u32 v3, s0, s8, v0
	v_add_co_ci_u32_e64 v4, null, s9, 0, s0
	s_and_b32 s22, s29, 0xff
	s_cmp_lt_i32 s22, 11
	s_cbranch_scc1 .LBB19_725
; %bb.718:
	s_and_b32 s23, 0xffff, s22
	s_cmp_gt_i32 s23, 25
	s_cbranch_scc0 .LBB19_726
; %bb.719:
	s_cmp_gt_i32 s23, 28
	s_cbranch_scc0 .LBB19_727
; %bb.720:
	s_cmp_gt_i32 s23, 43
	s_cbranch_scc0 .LBB19_728
; %bb.721:
	s_cmp_gt_i32 s23, 45
	s_cbranch_scc0 .LBB19_729
; %bb.722:
	s_mov_b32 s44, 0
	s_mov_b32 s0, -1
	s_cmp_eq_u32 s23, 46
	s_mov_b32 s43, 0
	s_cbranch_scc0 .LBB19_730
; %bb.723:
	v_bfe_u32 v0, v1, 16, 1
	v_cmp_o_f32_e32 vcc_lo, v1, v1
	v_mov_b32_e32 v2, 0x7fc0
	s_mov_b32 s43, -1
	s_mov_b32 s0, 0
	v_add3_u32 v0, v1, v0, 0x7fff
	v_cndmask_b32_sdwa v0, v2, v0, vcc_lo dst_sel:DWORD dst_unused:UNUSED_PAD src0_sel:DWORD src1_sel:WORD_1
	global_store_dword v[3:4], v0, off
	s_branch .LBB19_730
.LBB19_724:
	s_mov_b32 s43, 0
	s_mov_b32 s0, s40
	s_branch .LBB19_841
.LBB19_725:
	s_mov_b32 s23, -1
	s_mov_b32 s43, 0
	s_mov_b32 s0, s40
	s_branch .LBB19_799
.LBB19_726:
	s_mov_b32 s44, -1
	s_mov_b32 s43, 0
	s_mov_b32 s0, s40
	s_branch .LBB19_757
.LBB19_727:
	s_mov_b32 s44, -1
	s_mov_b32 s43, 0
	s_mov_b32 s0, s40
	s_branch .LBB19_740
.LBB19_728:
	s_mov_b32 s44, -1
	s_mov_b32 s43, 0
	s_mov_b32 s0, s40
	s_branch .LBB19_736
.LBB19_729:
	s_mov_b32 s44, -1
	s_mov_b32 s43, 0
	s_mov_b32 s0, s40
.LBB19_730:
	s_and_b32 vcc_lo, exec_lo, s44
	s_cbranch_vccz .LBB19_735
; %bb.731:
	s_cmp_eq_u32 s23, 44
	s_mov_b32 s0, -1
	s_cbranch_scc0 .LBB19_735
; %bb.732:
	v_bfe_u32 v2, v1, 23, 8
	v_mov_b32_e32 v0, 0xff
	s_mov_b32 s43, exec_lo
	v_cmpx_ne_u32_e32 0xff, v2
	s_cbranch_execz .LBB19_734
; %bb.733:
	v_and_b32_e32 v0, 0x400000, v1
	v_and_or_b32 v2, 0x3fffff, v1, v2
	v_cmp_ne_u32_e32 vcc_lo, 0, v0
	v_cmp_ne_u32_e64 s0, 0, v2
	v_lshrrev_b32_e32 v0, 23, v1
	s_and_b32 s0, vcc_lo, s0
	v_cndmask_b32_e64 v2, 0, 1, s0
	v_add_nc_u32_e32 v0, v0, v2
.LBB19_734:
	s_or_b32 exec_lo, exec_lo, s43
	s_mov_b32 s43, -1
	s_mov_b32 s0, 0
	global_store_byte v[3:4], v0, off
.LBB19_735:
	s_mov_b32 s44, 0
.LBB19_736:
	s_and_b32 vcc_lo, exec_lo, s44
	s_cbranch_vccz .LBB19_739
; %bb.737:
	s_cmp_eq_u32 s23, 29
	s_mov_b32 s0, -1
	s_cbranch_scc0 .LBB19_739
; %bb.738:
	v_trunc_f32_e32 v0, v1
	s_mov_b32 s43, -1
	s_mov_b32 s0, 0
	s_mov_b32 s44, 0
	v_mul_f32_e32 v2, 0x2f800000, v0
	v_floor_f32_e32 v2, v2
	v_fmamk_f32 v0, v2, 0xcf800000, v0
	v_cvt_u32_f32_e32 v6, v2
	v_cvt_u32_f32_e32 v5, v0
	global_store_dwordx2 v[3:4], v[5:6], off
	s_branch .LBB19_740
.LBB19_739:
	s_mov_b32 s44, 0
.LBB19_740:
	s_and_b32 vcc_lo, exec_lo, s44
	s_cbranch_vccz .LBB19_756
; %bb.741:
	s_cmp_lt_i32 s23, 27
	s_mov_b32 s43, -1
	s_cbranch_scc1 .LBB19_747
; %bb.742:
	v_cvt_u32_f32_e32 v0, v1
	s_cmp_gt_i32 s23, 27
	s_cbranch_scc0 .LBB19_744
; %bb.743:
	s_mov_b32 s43, 0
	global_store_dword v[3:4], v0, off
.LBB19_744:
	s_andn2_b32 vcc_lo, exec_lo, s43
	s_cbranch_vccnz .LBB19_746
; %bb.745:
	global_store_short v[3:4], v0, off
.LBB19_746:
	s_mov_b32 s43, 0
.LBB19_747:
	s_andn2_b32 vcc_lo, exec_lo, s43
	s_cbranch_vccnz .LBB19_755
; %bb.748:
	v_and_b32_e32 v0, 0x7fffffff, v1
	v_mov_b32_e32 v2, 0x80
	s_mov_b32 s43, exec_lo
	v_cmpx_gt_u32_e32 0x43800000, v0
	s_cbranch_execz .LBB19_754
; %bb.749:
	v_cmp_lt_u32_e32 vcc_lo, 0x3bffffff, v0
	s_mov_b32 s44, 0
                                        ; implicit-def: $vgpr0
	s_and_saveexec_b32 s45, vcc_lo
	s_xor_b32 s45, exec_lo, s45
	s_cbranch_execz .LBB19_871
; %bb.750:
	v_bfe_u32 v0, v1, 20, 1
	s_mov_b32 s44, exec_lo
	v_add3_u32 v0, v1, v0, 0x487ffff
	v_lshrrev_b32_e32 v0, 20, v0
	s_andn2_saveexec_b32 s45, s45
	s_cbranch_execnz .LBB19_872
.LBB19_751:
	s_or_b32 exec_lo, exec_lo, s45
	v_mov_b32_e32 v2, 0
	s_and_saveexec_b32 s45, s44
.LBB19_752:
	v_lshrrev_b32_e32 v2, 24, v1
	v_and_or_b32 v2, 0x80, v2, v0
.LBB19_753:
	s_or_b32 exec_lo, exec_lo, s45
.LBB19_754:
	s_or_b32 exec_lo, exec_lo, s43
	global_store_byte v[3:4], v2, off
.LBB19_755:
	s_mov_b32 s43, -1
.LBB19_756:
	s_mov_b32 s44, 0
.LBB19_757:
	s_and_b32 vcc_lo, exec_lo, s44
	s_cbranch_vccz .LBB19_798
; %bb.758:
	s_cmp_gt_i32 s23, 22
	s_mov_b32 s44, -1
	s_cbranch_scc0 .LBB19_790
; %bb.759:
	s_cmp_lt_i32 s23, 24
	s_mov_b32 s43, -1
	s_cbranch_scc1 .LBB19_779
; %bb.760:
	s_cmp_gt_i32 s23, 24
	s_cbranch_scc0 .LBB19_768
; %bb.761:
	v_and_b32_e32 v0, 0x7fffffff, v1
	v_mov_b32_e32 v2, 0x80
	s_mov_b32 s43, exec_lo
	v_cmpx_gt_u32_e32 0x47800000, v0
	s_cbranch_execz .LBB19_767
; %bb.762:
	v_cmp_lt_u32_e32 vcc_lo, 0x37ffffff, v0
	s_mov_b32 s44, 0
                                        ; implicit-def: $vgpr0
	s_and_saveexec_b32 s45, vcc_lo
	s_xor_b32 s45, exec_lo, s45
	s_cbranch_execz .LBB19_874
; %bb.763:
	v_bfe_u32 v0, v1, 21, 1
	s_mov_b32 s44, exec_lo
	v_add3_u32 v0, v1, v0, 0x88fffff
	v_lshrrev_b32_e32 v0, 21, v0
	s_andn2_saveexec_b32 s45, s45
	s_cbranch_execnz .LBB19_875
.LBB19_764:
	s_or_b32 exec_lo, exec_lo, s45
	v_mov_b32_e32 v2, 0
	s_and_saveexec_b32 s45, s44
.LBB19_765:
	v_lshrrev_b32_e32 v2, 24, v1
	v_and_or_b32 v2, 0x80, v2, v0
.LBB19_766:
	s_or_b32 exec_lo, exec_lo, s45
.LBB19_767:
	s_or_b32 exec_lo, exec_lo, s43
	s_mov_b32 s43, 0
	global_store_byte v[3:4], v2, off
.LBB19_768:
	s_and_b32 vcc_lo, exec_lo, s43
	s_cbranch_vccz .LBB19_778
; %bb.769:
	v_and_b32_e32 v2, 0x7fffffff, v1
	s_mov_b32 s43, exec_lo
                                        ; implicit-def: $vgpr0
	v_cmpx_gt_u32_e32 0x43f00000, v2
	s_xor_b32 s43, exec_lo, s43
	s_cbranch_execz .LBB19_775
; %bb.770:
	s_mov_b32 s44, exec_lo
                                        ; implicit-def: $vgpr0
	v_cmpx_lt_u32_e32 0x3c7fffff, v2
	s_xor_b32 s44, exec_lo, s44
; %bb.771:
	v_bfe_u32 v0, v1, 20, 1
	v_add3_u32 v0, v1, v0, 0x407ffff
	v_and_b32_e32 v2, 0xff00000, v0
	v_lshrrev_b32_e32 v0, 20, v0
	v_cmp_ne_u32_e32 vcc_lo, 0x7f00000, v2
	v_cndmask_b32_e32 v0, 0x7e, v0, vcc_lo
; %bb.772:
	s_andn2_saveexec_b32 s44, s44
; %bb.773:
	v_add_f32_e64 v0, 0x46800000, |v1|
; %bb.774:
	s_or_b32 exec_lo, exec_lo, s44
                                        ; implicit-def: $vgpr2
.LBB19_775:
	s_andn2_saveexec_b32 s43, s43
; %bb.776:
	v_mov_b32_e32 v0, 0x7f
	v_cmp_lt_u32_e32 vcc_lo, 0x7f800000, v2
	v_cndmask_b32_e32 v0, 0x7e, v0, vcc_lo
; %bb.777:
	s_or_b32 exec_lo, exec_lo, s43
	v_lshrrev_b32_e32 v2, 24, v1
	v_and_or_b32 v0, 0x80, v2, v0
	global_store_byte v[3:4], v0, off
.LBB19_778:
	s_mov_b32 s43, 0
.LBB19_779:
	s_andn2_b32 vcc_lo, exec_lo, s43
	s_cbranch_vccnz .LBB19_789
; %bb.780:
	v_and_b32_e32 v2, 0x7fffffff, v1
	s_mov_b32 s43, exec_lo
                                        ; implicit-def: $vgpr0
	v_cmpx_gt_u32_e32 0x47800000, v2
	s_xor_b32 s43, exec_lo, s43
	s_cbranch_execz .LBB19_786
; %bb.781:
	s_mov_b32 s44, exec_lo
                                        ; implicit-def: $vgpr0
	v_cmpx_lt_u32_e32 0x387fffff, v2
	s_xor_b32 s44, exec_lo, s44
; %bb.782:
	v_bfe_u32 v0, v1, 21, 1
	v_add3_u32 v0, v1, v0, 0x80fffff
	v_lshrrev_b32_e32 v0, 21, v0
; %bb.783:
	s_andn2_saveexec_b32 s44, s44
; %bb.784:
	v_add_f32_e64 v0, 0x43000000, |v1|
; %bb.785:
	s_or_b32 exec_lo, exec_lo, s44
                                        ; implicit-def: $vgpr2
.LBB19_786:
	s_andn2_saveexec_b32 s43, s43
; %bb.787:
	v_mov_b32_e32 v0, 0x7f
	v_cmp_lt_u32_e32 vcc_lo, 0x7f800000, v2
	v_cndmask_b32_e32 v0, 0x7c, v0, vcc_lo
; %bb.788:
	s_or_b32 exec_lo, exec_lo, s43
	v_lshrrev_b32_e32 v2, 24, v1
	v_and_or_b32 v0, 0x80, v2, v0
	global_store_byte v[3:4], v0, off
.LBB19_789:
	s_mov_b32 s44, 0
	s_mov_b32 s43, -1
.LBB19_790:
	s_andn2_b32 vcc_lo, exec_lo, s44
	s_cbranch_vccnz .LBB19_798
; %bb.791:
	s_cmp_gt_i32 s23, 14
	s_mov_b32 s44, -1
	s_cbranch_scc0 .LBB19_795
; %bb.792:
	s_cmp_eq_u32 s23, 15
	s_mov_b32 s0, -1
	s_cbranch_scc0 .LBB19_794
; %bb.793:
	v_bfe_u32 v0, v1, 16, 1
	v_cmp_o_f32_e32 vcc_lo, v1, v1
	v_mov_b32_e32 v2, 0x7fc0
	s_mov_b32 s43, -1
	s_mov_b32 s0, 0
	v_add3_u32 v0, v1, v0, 0x7fff
	v_cndmask_b32_sdwa v0, v2, v0, vcc_lo dst_sel:DWORD dst_unused:UNUSED_PAD src0_sel:DWORD src1_sel:WORD_1
	global_store_short v[3:4], v0, off
.LBB19_794:
	s_mov_b32 s44, 0
.LBB19_795:
	s_and_b32 vcc_lo, exec_lo, s44
	s_cbranch_vccz .LBB19_798
; %bb.796:
	s_cmp_eq_u32 s23, 11
	s_mov_b32 s0, -1
	s_cbranch_scc0 .LBB19_798
; %bb.797:
	v_cmp_neq_f32_e32 vcc_lo, 0, v1
	s_mov_b32 s0, 0
	s_mov_b32 s43, -1
	v_cndmask_b32_e64 v0, 0, 1, vcc_lo
	global_store_byte v[3:4], v0, off
.LBB19_798:
	s_mov_b32 s23, 0
.LBB19_799:
	s_and_b32 vcc_lo, exec_lo, s23
	s_cbranch_vccz .LBB19_838
; %bb.800:
	s_and_b32 s22, 0xffff, s22
	s_mov_b32 s23, -1
	s_cmp_lt_i32 s22, 5
	s_cbranch_scc1 .LBB19_821
; %bb.801:
	s_cmp_lt_i32 s22, 8
	s_cbranch_scc1 .LBB19_811
; %bb.802:
	;; [unrolled: 3-line block ×3, first 2 shown]
	s_cmp_gt_i32 s22, 9
	s_cbranch_scc0 .LBB19_805
; %bb.804:
	v_cvt_f64_f32_e32 v[9:10], v1
	v_mov_b32_e32 v11, 0
	s_mov_b32 s23, 0
	v_mov_b32_e32 v12, v11
	global_store_dwordx4 v[3:4], v[9:12], off
.LBB19_805:
	s_andn2_b32 vcc_lo, exec_lo, s23
	s_cbranch_vccnz .LBB19_807
; %bb.806:
	v_mov_b32_e32 v2, 0
	global_store_dwordx2 v[3:4], v[1:2], off
.LBB19_807:
	s_mov_b32 s23, 0
.LBB19_808:
	s_andn2_b32 vcc_lo, exec_lo, s23
	s_cbranch_vccnz .LBB19_810
; %bb.809:
	v_cvt_f16_f32_e32 v0, v1
	v_and_b32_e32 v0, 0xffff, v0
	global_store_dword v[3:4], v0, off
.LBB19_810:
	s_mov_b32 s23, 0
.LBB19_811:
	s_andn2_b32 vcc_lo, exec_lo, s23
	s_cbranch_vccnz .LBB19_820
; %bb.812:
	s_cmp_lt_i32 s22, 6
	s_mov_b32 s23, -1
	s_cbranch_scc1 .LBB19_818
; %bb.813:
	s_cmp_gt_i32 s22, 6
	s_cbranch_scc0 .LBB19_815
; %bb.814:
	v_cvt_f64_f32_e32 v[5:6], v1
	s_mov_b32 s23, 0
	global_store_dwordx2 v[3:4], v[5:6], off
.LBB19_815:
	s_andn2_b32 vcc_lo, exec_lo, s23
	s_cbranch_vccnz .LBB19_817
; %bb.816:
	global_store_dword v[3:4], v1, off
.LBB19_817:
	s_mov_b32 s23, 0
.LBB19_818:
	s_andn2_b32 vcc_lo, exec_lo, s23
	s_cbranch_vccnz .LBB19_820
; %bb.819:
	v_cvt_f16_f32_e32 v0, v1
	global_store_short v[3:4], v0, off
.LBB19_820:
	s_mov_b32 s23, 0
.LBB19_821:
	s_andn2_b32 vcc_lo, exec_lo, s23
	s_cbranch_vccnz .LBB19_837
; %bb.822:
	s_cmp_lt_i32 s22, 2
	s_mov_b32 s23, -1
	s_cbranch_scc1 .LBB19_832
; %bb.823:
	s_cmp_lt_i32 s22, 3
	s_cbranch_scc1 .LBB19_829
; %bb.824:
	s_cmp_gt_i32 s22, 3
	s_cbranch_scc0 .LBB19_826
; %bb.825:
	v_trunc_f32_e32 v0, v1
	s_mov_b32 s23, 0
	v_mul_f32_e64 v2, 0x2f800000, |v0|
	v_floor_f32_e32 v2, v2
	v_fma_f32 v5, 0xcf800000, v2, |v0|
	v_ashrrev_i32_e32 v0, 31, v0
	v_cvt_u32_f32_e32 v2, v2
	v_cvt_u32_f32_e32 v5, v5
	v_xor_b32_e32 v2, v2, v0
	v_xor_b32_e32 v5, v5, v0
	v_sub_co_u32 v5, vcc_lo, v5, v0
	v_sub_co_ci_u32_e64 v6, null, v2, v0, vcc_lo
	global_store_dwordx2 v[3:4], v[5:6], off
.LBB19_826:
	s_andn2_b32 vcc_lo, exec_lo, s23
	s_cbranch_vccnz .LBB19_828
; %bb.827:
	v_cvt_i32_f32_e32 v0, v1
	global_store_dword v[3:4], v0, off
.LBB19_828:
	s_mov_b32 s23, 0
.LBB19_829:
	s_andn2_b32 vcc_lo, exec_lo, s23
	s_cbranch_vccnz .LBB19_831
; %bb.830:
	v_cvt_i32_f32_e32 v0, v1
	global_store_short v[3:4], v0, off
.LBB19_831:
	s_mov_b32 s23, 0
.LBB19_832:
	s_andn2_b32 vcc_lo, exec_lo, s23
	s_cbranch_vccnz .LBB19_837
; %bb.833:
	s_cmp_gt_i32 s22, 0
	s_mov_b32 s22, -1
	s_cbranch_scc0 .LBB19_835
; %bb.834:
	v_cvt_i32_f32_e32 v0, v1
	s_mov_b32 s22, 0
	global_store_byte v[3:4], v0, off
.LBB19_835:
	s_andn2_b32 vcc_lo, exec_lo, s22
	s_cbranch_vccnz .LBB19_837
; %bb.836:
	v_trunc_f32_e32 v0, v1
	v_mul_f32_e64 v1, 0x2f800000, |v0|
	v_floor_f32_e32 v1, v1
	v_fma_f32 v1, 0xcf800000, v1, |v0|
	v_ashrrev_i32_e32 v0, 31, v0
	v_cvt_u32_f32_e32 v1, v1
	v_xor_b32_e32 v1, v1, v0
	v_sub_nc_u32_e32 v0, v1, v0
	global_store_byte v[3:4], v0, off
.LBB19_837:
	s_mov_b32 s43, -1
.LBB19_838:
	s_andn2_b32 vcc_lo, exec_lo, s43
	s_cbranch_vccnz .LBB19_840
; %bb.839:
	v_add_nc_u32_e32 v8, 0x80, v8
	s_mov_b32 s43, -1
	s_branch .LBB19_842
.LBB19_840:
	s_mov_b32 s43, 0
.LBB19_841:
                                        ; implicit-def: $vgpr8
.LBB19_842:
	s_andn2_b32 s22, s40, exec_lo
	s_and_b32 s0, s0, exec_lo
	s_andn2_b32 s44, s39, exec_lo
	s_and_b32 s1, s1, exec_lo
	s_or_b32 s23, s22, s0
	s_or_b32 s22, s44, s1
	s_orn2_b32 s44, s43, exec_lo
.LBB19_843:
	s_or_b32 exec_lo, exec_lo, s42
	s_mov_b32 s0, 0
	s_mov_b32 s1, 0
	s_mov_b32 s43, 0
                                        ; implicit-def: $vgpr1_vgpr2
                                        ; implicit-def: $vgpr0
                                        ; implicit-def: $vgpr5
	s_and_saveexec_b32 s42, s44
	s_cbranch_execz .LBB19_943
; %bb.844:
	v_cmp_gt_i32_e32 vcc_lo, s33, v8
	s_mov_b32 s45, s22
	s_mov_b32 s44, 0
                                        ; implicit-def: $vgpr1_vgpr2
                                        ; implicit-def: $vgpr0
                                        ; implicit-def: $vgpr5
	s_and_saveexec_b32 s33, vcc_lo
	s_cbranch_execz .LBB19_942
; %bb.845:
	s_andn2_b32 vcc_lo, exec_lo, s27
	s_cbranch_vccnz .LBB19_850
; %bb.846:
	s_andn2_b32 vcc_lo, exec_lo, s34
	s_cbranch_vccnz .LBB19_851
; %bb.847:
	s_add_i32 s35, s35, 1
	s_cmp_eq_u32 s25, 2
	s_cbranch_scc1 .LBB19_852
; %bb.848:
	v_mov_b32_e32 v2, 0
	v_mov_b32_e32 v0, 0
	;; [unrolled: 1-line block ×3, first 2 shown]
	s_and_b32 s34, s35, 28
	s_mov_b64 s[0:1], s[2:3]
.LBB19_849:                             ; =>This Inner Loop Header: Depth=1
	s_clause 0x1
	s_load_dwordx8 s[44:51], s[0:1], 0x4
	s_load_dwordx4 s[60:63], s[0:1], 0x24
	s_load_dwordx8 s[52:59], s[20:21], 0x0
	s_add_u32 s0, s0, 48
	s_addc_u32 s1, s1, 0
	s_add_i32 s43, s43, 4
	s_add_u32 s20, s20, 32
	s_addc_u32 s21, s21, 0
	s_cmp_eq_u32 s34, s43
	s_waitcnt vmcnt(0) lgkmcnt(0)
	v_mul_hi_u32 v3, s45, v1
	v_add_nc_u32_e32 v3, v1, v3
	v_lshrrev_b32_e32 v3, s46, v3
	v_mul_hi_u32 v4, s48, v3
	v_mul_lo_u32 v6, v3, s44
	v_add_nc_u32_e32 v4, v3, v4
	v_sub_nc_u32_e32 v1, v1, v6
	v_lshrrev_b32_e32 v4, s49, v4
	v_mul_lo_u32 v6, v1, s52
	v_mul_lo_u32 v9, v1, s53
	v_mul_hi_u32 v5, s51, v4
	v_add_nc_u32_e32 v5, v4, v5
	v_lshrrev_b32_e32 v5, s60, v5
	v_mul_hi_u32 v7, s62, v5
	v_mul_lo_u32 v10, v5, s50
	v_add_nc_u32_e32 v1, v5, v7
	v_mul_lo_u32 v7, v4, s47
	v_sub_nc_u32_e32 v4, v4, v10
	v_lshrrev_b32_e32 v1, s63, v1
	v_mul_lo_u32 v10, v4, s56
	v_mul_lo_u32 v4, v4, s57
	v_sub_nc_u32_e32 v3, v3, v7
	v_mul_lo_u32 v11, v1, s61
	v_mul_lo_u32 v7, v3, s54
	;; [unrolled: 1-line block ×3, first 2 shown]
	v_sub_nc_u32_e32 v5, v5, v11
	v_add3_u32 v0, v6, v0, v7
	v_mul_lo_u32 v11, v5, s58
	v_mul_lo_u32 v5, v5, s59
	v_add3_u32 v2, v9, v2, v3
	v_add3_u32 v0, v10, v0, v11
	;; [unrolled: 1-line block ×3, first 2 shown]
	s_cbranch_scc0 .LBB19_849
	s_branch .LBB19_853
.LBB19_850:
	s_mov_b32 s0, -1
                                        ; implicit-def: $vgpr0
                                        ; implicit-def: $vgpr2
	s_branch .LBB19_857
.LBB19_851:
	v_mov_b32_e32 v0, 0
	v_mov_b32_e32 v2, 0
	s_branch .LBB19_856
.LBB19_852:
	v_mov_b32_e32 v0, 0
	v_mov_b32_e32 v2, 0
	;; [unrolled: 1-line block ×3, first 2 shown]
	s_mov_b32 s34, 0
.LBB19_853:
	s_and_b32 s35, s35, 3
	s_cmp_eq_u32 s35, 0
	s_cbranch_scc1 .LBB19_856
; %bb.854:
	s_lshl_b32 s0, s34, 3
	s_mul_i32 s20, s34, 12
	s_add_u32 s0, s2, s0
	s_addc_u32 s1, s3, 0
	s_add_u32 s0, s0, 0xc4
	s_addc_u32 s1, s1, 0
	;; [unrolled: 2-line block ×3, first 2 shown]
.LBB19_855:                             ; =>This Inner Loop Header: Depth=1
	s_clause 0x1
	s_load_dwordx2 s[44:45], s[20:21], 0x4
	s_load_dword s34, s[20:21], 0xc
	s_load_dwordx2 s[46:47], s[0:1], 0x0
	s_add_u32 s20, s20, 12
	s_addc_u32 s21, s21, 0
	s_add_u32 s0, s0, 8
	s_addc_u32 s1, s1, 0
	s_add_i32 s35, s35, -1
	s_cmp_lg_u32 s35, 0
	s_waitcnt vmcnt(0) lgkmcnt(0)
	v_mul_hi_u32 v3, s45, v1
	v_add_nc_u32_e32 v3, v1, v3
	v_lshrrev_b32_e32 v4, s34, v3
	v_mul_lo_u32 v3, v4, s44
	v_sub_nc_u32_e32 v3, v1, v3
	v_mad_u64_u32 v[0:1], null, v3, s46, v[0:1]
	v_mad_u64_u32 v[2:3], null, v3, s47, v[2:3]
	v_mov_b32_e32 v1, v4
	s_cbranch_scc1 .LBB19_855
.LBB19_856:
	s_mov_b32 s0, 0
.LBB19_857:
	s_andn2_b32 vcc_lo, exec_lo, s0
	s_cbranch_vccnz .LBB19_860
; %bb.858:
	s_waitcnt lgkmcnt(0)
	v_mul_hi_u32 v0, s17, v8
	s_andn2_b32 vcc_lo, exec_lo, s31
	v_add_nc_u32_e32 v0, v8, v0
	v_lshrrev_b32_e32 v1, s18, v0
	v_mul_lo_u32 v0, v1, s16
	v_sub_nc_u32_e32 v2, v8, v0
	v_mul_lo_u32 v0, v2, s12
	v_mul_lo_u32 v2, v2, s13
	s_cbranch_vccnz .LBB19_860
; %bb.859:
	s_waitcnt vmcnt(0)
	v_mul_hi_u32 v3, s6, v1
	v_add_nc_u32_e32 v3, v1, v3
	v_lshrrev_b32_e32 v3, s7, v3
	v_mul_lo_u32 v3, v3, s19
	v_sub_nc_u32_e32 v3, v1, v3
	v_mad_u64_u32 v[0:1], null, v3, s14, v[0:1]
	v_mad_u64_u32 v[2:3], null, v3, s15, v[2:3]
.LBB19_860:
	s_waitcnt lgkmcnt(0)
	v_add_co_u32 v1, s0, s10, v2
	v_add_co_ci_u32_e64 v2, null, s11, 0, s0
	s_and_b32 s0, 0xffff, s30
	s_cmp_lt_i32 s0, 11
	s_cbranch_scc1 .LBB19_867
; %bb.861:
	s_cmp_gt_i32 s0, 25
	s_mov_b32 s6, 0
	s_cbranch_scc0 .LBB19_868
; %bb.862:
	s_cmp_gt_i32 s0, 28
	s_cbranch_scc0 .LBB19_869
; %bb.863:
	s_cmp_gt_i32 s0, 43
	;; [unrolled: 3-line block ×3, first 2 shown]
	s_cbranch_scc0 .LBB19_873
; %bb.865:
	s_cmp_eq_u32 s0, 46
	s_mov_b32 s10, 0
	s_cbranch_scc0 .LBB19_876
; %bb.866:
	global_load_dword v3, v[1:2], off
	s_mov_b32 s1, 0
	s_mov_b32 s7, -1
	s_waitcnt vmcnt(0)
	v_lshlrev_b32_e32 v5, 16, v3
	s_branch .LBB19_878
.LBB19_867:
	s_mov_b32 s0, -1
	s_mov_b32 s7, 0
	s_mov_b32 s6, 0
	;; [unrolled: 1-line block ×3, first 2 shown]
                                        ; implicit-def: $vgpr5
	s_branch .LBB19_941
.LBB19_868:
	s_mov_b32 s10, -1
	s_mov_b32 s7, 0
	s_mov_b32 s1, s22
                                        ; implicit-def: $vgpr5
	s_branch .LBB19_907
.LBB19_869:
	s_mov_b32 s10, -1
	s_mov_b32 s7, 0
	s_mov_b32 s1, s22
                                        ; implicit-def: $vgpr5
	s_branch .LBB19_888
.LBB19_870:
	s_mov_b32 s10, -1
	s_mov_b32 s7, 0
	s_mov_b32 s1, s22
                                        ; implicit-def: $vgpr5
	s_branch .LBB19_883
.LBB19_871:
	s_andn2_saveexec_b32 s45, s45
	s_cbranch_execz .LBB19_751
.LBB19_872:
	v_add_f32_e64 v0, 0x46000000, |v1|
	s_andn2_b32 s44, s44, exec_lo
	v_and_b32_e32 v0, 0xff, v0
	v_cmp_ne_u32_e32 vcc_lo, 0, v0
	s_and_b32 s46, vcc_lo, exec_lo
	s_or_b32 s44, s44, s46
	s_or_b32 exec_lo, exec_lo, s45
	v_mov_b32_e32 v2, 0
	s_and_saveexec_b32 s45, s44
	s_cbranch_execnz .LBB19_752
	s_branch .LBB19_753
.LBB19_873:
	s_mov_b32 s10, -1
	s_mov_b32 s7, 0
	s_mov_b32 s1, s22
	s_branch .LBB19_877
.LBB19_874:
	s_andn2_saveexec_b32 s45, s45
	s_cbranch_execz .LBB19_764
.LBB19_875:
	v_add_f32_e64 v0, 0x42800000, |v1|
	s_andn2_b32 s44, s44, exec_lo
	v_and_b32_e32 v0, 0xff, v0
	v_cmp_ne_u32_e32 vcc_lo, 0, v0
	s_and_b32 s46, vcc_lo, exec_lo
	s_or_b32 s44, s44, s46
	s_or_b32 exec_lo, exec_lo, s45
	v_mov_b32_e32 v2, 0
	s_and_saveexec_b32 s45, s44
	s_cbranch_execnz .LBB19_765
	s_branch .LBB19_766
.LBB19_876:
	s_mov_b32 s1, -1
	s_mov_b32 s7, 0
.LBB19_877:
                                        ; implicit-def: $vgpr5
.LBB19_878:
	s_and_b32 vcc_lo, exec_lo, s10
	s_cbranch_vccz .LBB19_882
; %bb.879:
	s_cmp_eq_u32 s0, 44
	s_cbranch_scc0 .LBB19_881
; %bb.880:
	global_load_ubyte v3, v[1:2], off
	s_mov_b32 s1, 0
	s_mov_b32 s7, -1
	s_waitcnt vmcnt(0)
	v_lshlrev_b32_e32 v4, 23, v3
	v_cmp_ne_u32_e32 vcc_lo, 0xff, v3
	v_cndmask_b32_e32 v4, 0x7f800001, v4, vcc_lo
	v_cmp_ne_u32_e32 vcc_lo, 0, v3
	v_cndmask_b32_e32 v5, 0x400000, v4, vcc_lo
	s_branch .LBB19_882
.LBB19_881:
	s_mov_b32 s1, -1
                                        ; implicit-def: $vgpr5
.LBB19_882:
	s_mov_b32 s10, 0
.LBB19_883:
	s_and_b32 vcc_lo, exec_lo, s10
	s_cbranch_vccz .LBB19_887
; %bb.884:
	s_cmp_eq_u32 s0, 29
	s_cbranch_scc0 .LBB19_886
; %bb.885:
	global_load_dwordx2 v[3:4], v[1:2], off
	s_mov_b32 s1, 0
	s_mov_b32 s7, -1
	s_mov_b32 s10, 0
	s_waitcnt vmcnt(0)
	v_ffbh_u32_e32 v5, v4
	v_min_u32_e32 v5, 32, v5
	v_lshlrev_b64 v[3:4], v5, v[3:4]
	v_min_u32_e32 v3, 1, v3
	v_or_b32_e32 v3, v4, v3
	v_sub_nc_u32_e32 v4, 32, v5
	v_cvt_f32_u32_e32 v3, v3
	v_ldexp_f32 v5, v3, v4
	s_branch .LBB19_888
.LBB19_886:
	s_mov_b32 s1, -1
                                        ; implicit-def: $vgpr5
.LBB19_887:
	s_mov_b32 s10, 0
.LBB19_888:
	s_and_b32 vcc_lo, exec_lo, s10
	s_cbranch_vccz .LBB19_906
; %bb.889:
	s_cmp_lt_i32 s0, 27
	s_cbranch_scc1 .LBB19_892
; %bb.890:
	s_cmp_gt_i32 s0, 27
	s_cbranch_scc0 .LBB19_893
; %bb.891:
	global_load_dword v3, v[1:2], off
	s_mov_b32 s7, 0
	s_waitcnt vmcnt(0)
	v_cvt_f32_u32_e32 v5, v3
	s_branch .LBB19_894
.LBB19_892:
	s_mov_b32 s7, -1
                                        ; implicit-def: $vgpr5
	s_branch .LBB19_897
.LBB19_893:
	s_mov_b32 s7, -1
                                        ; implicit-def: $vgpr5
.LBB19_894:
	s_andn2_b32 vcc_lo, exec_lo, s7
	s_cbranch_vccnz .LBB19_896
; %bb.895:
	global_load_ushort v3, v[1:2], off
	s_waitcnt vmcnt(0)
	v_cvt_f32_u32_e32 v5, v3
.LBB19_896:
	s_mov_b32 s7, 0
.LBB19_897:
	s_andn2_b32 vcc_lo, exec_lo, s7
	s_cbranch_vccnz .LBB19_905
; %bb.898:
	global_load_ubyte v3, v[1:2], off
	s_mov_b32 s7, 0
	s_mov_b32 s10, exec_lo
	s_waitcnt vmcnt(0)
	v_cmpx_lt_i16_e32 0x7f, v3
	s_xor_b32 s10, exec_lo, s10
	s_cbranch_execz .LBB19_919
; %bb.899:
	s_mov_b32 s7, -1
	s_mov_b32 s11, exec_lo
	v_cmpx_eq_u16_e32 0x80, v3
; %bb.900:
	s_xor_b32 s7, exec_lo, -1
; %bb.901:
	s_or_b32 exec_lo, exec_lo, s11
	s_and_b32 s7, s7, exec_lo
	s_or_saveexec_b32 s10, s10
	v_mov_b32_e32 v5, 0x7f800001
	s_xor_b32 exec_lo, exec_lo, s10
	s_cbranch_execnz .LBB19_920
.LBB19_902:
	s_or_b32 exec_lo, exec_lo, s10
	s_and_saveexec_b32 s10, s7
	s_cbranch_execz .LBB19_904
.LBB19_903:
	v_and_b32_e32 v4, 0xffff, v3
	v_lshlrev_b32_e32 v3, 24, v3
	v_and_b32_e32 v5, 7, v4
	v_bfe_u32 v8, v4, 3, 4
	v_and_b32_e32 v3, 0x80000000, v3
	v_ffbh_u32_e32 v6, v5
	v_cmp_eq_u32_e32 vcc_lo, 0, v8
	v_min_u32_e32 v6, 32, v6
	v_subrev_nc_u32_e32 v7, 28, v6
	v_sub_nc_u32_e32 v6, 29, v6
	v_lshlrev_b32_e32 v4, v7, v4
	v_cndmask_b32_e32 v6, v8, v6, vcc_lo
	v_and_b32_e32 v4, 7, v4
	v_cndmask_b32_e32 v4, v5, v4, vcc_lo
	v_lshl_add_u32 v5, v6, 23, 0x3b800000
	v_lshlrev_b32_e32 v4, 20, v4
	v_or3_b32 v5, v3, v5, v4
.LBB19_904:
	s_or_b32 exec_lo, exec_lo, s10
.LBB19_905:
	s_mov_b32 s7, -1
.LBB19_906:
	s_mov_b32 s10, 0
.LBB19_907:
	s_and_b32 vcc_lo, exec_lo, s10
	s_cbranch_vccz .LBB19_940
; %bb.908:
	s_cmp_gt_i32 s0, 22
	s_cbranch_scc0 .LBB19_918
; %bb.909:
	s_cmp_lt_i32 s0, 24
	s_cbranch_scc1 .LBB19_921
; %bb.910:
	s_cmp_gt_i32 s0, 24
	s_cbranch_scc0 .LBB19_922
; %bb.911:
	global_load_ubyte v3, v[1:2], off
	s_mov_b32 s7, exec_lo
	s_waitcnt vmcnt(0)
	v_cmpx_lt_i16_e32 0x7f, v3
	s_xor_b32 s7, exec_lo, s7
	s_cbranch_execz .LBB19_934
; %bb.912:
	s_mov_b32 s6, -1
	s_mov_b32 s10, exec_lo
	v_cmpx_eq_u16_e32 0x80, v3
; %bb.913:
	s_xor_b32 s6, exec_lo, -1
; %bb.914:
	s_or_b32 exec_lo, exec_lo, s10
	s_and_b32 s6, s6, exec_lo
	s_or_saveexec_b32 s7, s7
	v_mov_b32_e32 v5, 0x7f800001
	s_xor_b32 exec_lo, exec_lo, s7
	s_cbranch_execnz .LBB19_935
.LBB19_915:
	s_or_b32 exec_lo, exec_lo, s7
	s_and_saveexec_b32 s7, s6
	s_cbranch_execz .LBB19_917
.LBB19_916:
	v_and_b32_e32 v4, 0xffff, v3
	v_lshlrev_b32_e32 v3, 24, v3
	v_and_b32_e32 v5, 3, v4
	v_bfe_u32 v8, v4, 2, 5
	v_and_b32_e32 v3, 0x80000000, v3
	v_ffbh_u32_e32 v6, v5
	v_cmp_eq_u32_e32 vcc_lo, 0, v8
	v_min_u32_e32 v6, 32, v6
	v_subrev_nc_u32_e32 v7, 29, v6
	v_sub_nc_u32_e32 v6, 30, v6
	v_lshlrev_b32_e32 v4, v7, v4
	v_cndmask_b32_e32 v6, v8, v6, vcc_lo
	v_and_b32_e32 v4, 3, v4
	v_cndmask_b32_e32 v4, v5, v4, vcc_lo
	v_lshl_add_u32 v5, v6, 23, 0x37800000
	v_lshlrev_b32_e32 v4, 21, v4
	v_or3_b32 v5, v3, v5, v4
.LBB19_917:
	s_or_b32 exec_lo, exec_lo, s7
	s_mov_b32 s6, 0
	s_branch .LBB19_923
.LBB19_918:
	s_mov_b32 s6, -1
                                        ; implicit-def: $vgpr5
	s_branch .LBB19_929
.LBB19_919:
	s_or_saveexec_b32 s10, s10
	v_mov_b32_e32 v5, 0x7f800001
	s_xor_b32 exec_lo, exec_lo, s10
	s_cbranch_execz .LBB19_902
.LBB19_920:
	v_cmp_ne_u16_e32 vcc_lo, 0, v3
	v_mov_b32_e32 v5, 0
	s_andn2_b32 s7, s7, exec_lo
	s_and_b32 s11, vcc_lo, exec_lo
	s_or_b32 s7, s7, s11
	s_or_b32 exec_lo, exec_lo, s10
	s_and_saveexec_b32 s10, s7
	s_cbranch_execnz .LBB19_903
	s_branch .LBB19_904
.LBB19_921:
	s_mov_b32 s6, -1
                                        ; implicit-def: $vgpr5
	s_branch .LBB19_926
.LBB19_922:
	s_mov_b32 s6, -1
                                        ; implicit-def: $vgpr5
.LBB19_923:
	s_and_b32 vcc_lo, exec_lo, s6
	s_cbranch_vccz .LBB19_925
; %bb.924:
	global_load_ubyte v3, v[1:2], off
	s_waitcnt vmcnt(0)
	v_lshlrev_b32_e32 v3, 24, v3
	v_and_b32_e32 v4, 0x7f000000, v3
	v_ffbh_u32_e32 v5, v4
	v_add_nc_u32_e32 v7, 0x1000000, v4
	v_cmp_ne_u32_e32 vcc_lo, 0, v4
	v_min_u32_e32 v5, 32, v5
	v_sub_nc_u32_e64 v5, v5, 4 clamp
	v_lshlrev_b32_e32 v6, v5, v4
	v_lshlrev_b32_e32 v5, 23, v5
	v_lshrrev_b32_e32 v6, 4, v6
	v_sub_nc_u32_e32 v5, v6, v5
	v_ashrrev_i32_e32 v6, 8, v7
	v_add_nc_u32_e32 v5, 0x3c000000, v5
	v_and_or_b32 v5, 0x7f800000, v6, v5
	v_cndmask_b32_e32 v4, 0, v5, vcc_lo
	v_and_or_b32 v5, 0x80000000, v3, v4
.LBB19_925:
	s_mov_b32 s6, 0
.LBB19_926:
	s_andn2_b32 vcc_lo, exec_lo, s6
	s_cbranch_vccnz .LBB19_928
; %bb.927:
	global_load_ubyte v3, v[1:2], off
	s_waitcnt vmcnt(0)
	v_lshlrev_b32_e32 v4, 25, v3
	v_lshlrev_b16 v3, 8, v3
	v_lshrrev_b32_e32 v5, 4, v4
	v_and_or_b32 v6, 0x7f00, v3, 0.5
	v_cmp_gt_u32_e32 vcc_lo, 0x8000000, v4
	v_bfe_i32 v3, v3, 0, 16
	v_or_b32_e32 v5, 0x70000000, v5
	v_add_f32_e32 v6, -0.5, v6
	v_mul_f32_e32 v5, 0x7800000, v5
	v_cndmask_b32_e32 v4, v5, v6, vcc_lo
	v_and_or_b32 v5, 0x80000000, v3, v4
.LBB19_928:
	s_mov_b32 s6, 0
	s_mov_b32 s7, -1
.LBB19_929:
	s_andn2_b32 vcc_lo, exec_lo, s6
	s_mov_b32 s6, 0
	s_cbranch_vccnz .LBB19_940
; %bb.930:
	s_cmp_gt_i32 s0, 14
	s_cbranch_scc0 .LBB19_933
; %bb.931:
	s_cmp_eq_u32 s0, 15
	s_cbranch_scc0 .LBB19_936
; %bb.932:
	global_load_ushort v3, v[1:2], off
	s_mov_b32 s1, 0
	s_mov_b32 s7, -1
	s_waitcnt vmcnt(0)
	v_lshlrev_b32_e32 v5, 16, v3
	s_branch .LBB19_938
.LBB19_933:
	s_mov_b32 s6, -1
	s_branch .LBB19_937
.LBB19_934:
	s_or_saveexec_b32 s7, s7
	v_mov_b32_e32 v5, 0x7f800001
	s_xor_b32 exec_lo, exec_lo, s7
	s_cbranch_execz .LBB19_915
.LBB19_935:
	v_cmp_ne_u16_e32 vcc_lo, 0, v3
	v_mov_b32_e32 v5, 0
	s_andn2_b32 s6, s6, exec_lo
	s_and_b32 s10, vcc_lo, exec_lo
	s_or_b32 s6, s6, s10
	s_or_b32 exec_lo, exec_lo, s7
	s_and_saveexec_b32 s7, s6
	s_cbranch_execnz .LBB19_916
	s_branch .LBB19_917
.LBB19_936:
	s_mov_b32 s1, -1
.LBB19_937:
                                        ; implicit-def: $vgpr5
.LBB19_938:
	s_and_b32 vcc_lo, exec_lo, s6
	s_mov_b32 s6, 0
	s_cbranch_vccz .LBB19_940
; %bb.939:
	s_cmp_lg_u32 s0, 11
	s_mov_b32 s6, -1
	s_cselect_b32 s0, -1, 0
	s_andn2_b32 s1, s1, exec_lo
	s_and_b32 s0, s0, exec_lo
	s_or_b32 s1, s1, s0
.LBB19_940:
	s_mov_b32 s0, 0
.LBB19_941:
	s_and_b32 s43, s7, exec_lo
	s_andn2_b32 s7, s22, exec_lo
	s_and_b32 s1, s1, exec_lo
	s_and_b32 s44, s0, exec_lo
	;; [unrolled: 1-line block ×3, first 2 shown]
	s_or_b32 s45, s7, s1
.LBB19_942:
	s_or_b32 exec_lo, exec_lo, s33
	s_waitcnt lgkmcnt(0)
	s_andn2_b32 s6, s22, exec_lo
	s_and_b32 s7, s45, exec_lo
	s_and_b32 s43, s43, exec_lo
	;; [unrolled: 1-line block ×4, first 2 shown]
	s_or_b32 s22, s6, s7
.LBB19_943:
	s_or_b32 exec_lo, exec_lo, s42
	s_waitcnt lgkmcnt(0)
	s_andn2_b32 s6, s40, exec_lo
	s_and_b32 s7, s23, exec_lo
	s_and_b32 s42, s43, exec_lo
	s_or_b32 s40, s6, s7
	s_andn2_b32 s6, s39, exec_lo
	s_and_b32 s7, s22, exec_lo
	s_and_b32 s23, s1, exec_lo
	;; [unrolled: 1-line block ×3, first 2 shown]
	s_or_b32 s39, s6, s7
.LBB19_944:
	s_or_b32 exec_lo, exec_lo, s41
	s_andn2_b32 s0, s36, exec_lo
	s_waitcnt lgkmcnt(0)
	s_and_b32 s6, s40, exec_lo
	s_and_b32 s7, s39, exec_lo
	s_or_b32 s36, s0, s6
	s_andn2_b32 s6, s37, exec_lo
	s_and_b32 s0, s42, exec_lo
	s_and_b32 s22, s23, exec_lo
	;; [unrolled: 1-line block ×3, first 2 shown]
	s_or_b32 s37, s6, s7
	s_or_b32 exec_lo, exec_lo, s38
	s_mov_b32 s1, 0
	s_and_saveexec_b32 s6, s37
	s_cbranch_execz .LBB19_282
.LBB19_945:
	s_mov_b32 s1, exec_lo
	s_andn2_b32 s39, s39, exec_lo
	s_trap 2
	s_or_b32 exec_lo, exec_lo, s6
	s_and_saveexec_b32 s6, s39
	s_xor_b32 s6, exec_lo, s6
	s_cbranch_execnz .LBB19_283
.LBB19_946:
	s_or_b32 exec_lo, exec_lo, s6
	s_and_saveexec_b32 s6, s22
	s_cbranch_execz .LBB19_992
.LBB19_947:
	s_sext_i32_i16 s7, s30
	s_cmp_lt_i32 s7, 5
	s_cbranch_scc1 .LBB19_952
; %bb.948:
	s_cmp_lt_i32 s7, 8
	s_cbranch_scc1 .LBB19_953
; %bb.949:
	;; [unrolled: 3-line block ×3, first 2 shown]
	s_cmp_gt_i32 s7, 9
	s_cbranch_scc0 .LBB19_955
; %bb.951:
	global_load_dwordx2 v[3:4], v[1:2], off
	s_mov_b32 s7, 0
	s_waitcnt vmcnt(0)
	v_cvt_f32_f64_e32 v5, v[3:4]
	s_branch .LBB19_956
.LBB19_952:
                                        ; implicit-def: $vgpr5
	s_branch .LBB19_973
.LBB19_953:
                                        ; implicit-def: $vgpr5
	s_branch .LBB19_962
.LBB19_954:
	s_mov_b32 s7, -1
                                        ; implicit-def: $vgpr5
	s_branch .LBB19_959
.LBB19_955:
	s_mov_b32 s7, -1
                                        ; implicit-def: $vgpr5
.LBB19_956:
	s_andn2_b32 vcc_lo, exec_lo, s7
	s_cbranch_vccnz .LBB19_958
; %bb.957:
	global_load_dword v5, v[1:2], off
.LBB19_958:
	s_mov_b32 s7, 0
.LBB19_959:
	s_andn2_b32 vcc_lo, exec_lo, s7
	s_cbranch_vccnz .LBB19_961
; %bb.960:
	global_load_dword v3, v[1:2], off
	s_waitcnt vmcnt(0)
	v_cvt_f32_f16_e32 v5, v3
.LBB19_961:
	s_cbranch_execnz .LBB19_972
.LBB19_962:
	s_sext_i32_i16 s7, s30
	s_cmp_lt_i32 s7, 6
	s_cbranch_scc1 .LBB19_965
; %bb.963:
	s_cmp_gt_i32 s7, 6
	s_cbranch_scc0 .LBB19_966
; %bb.964:
	global_load_dwordx2 v[3:4], v[1:2], off
	s_mov_b32 s7, 0
	s_waitcnt vmcnt(0)
	v_cvt_f32_f64_e32 v5, v[3:4]
	s_branch .LBB19_967
.LBB19_965:
	s_mov_b32 s7, -1
                                        ; implicit-def: $vgpr5
	s_branch .LBB19_970
.LBB19_966:
	s_mov_b32 s7, -1
                                        ; implicit-def: $vgpr5
.LBB19_967:
	s_andn2_b32 vcc_lo, exec_lo, s7
	s_cbranch_vccnz .LBB19_969
; %bb.968:
	global_load_dword v5, v[1:2], off
.LBB19_969:
	s_mov_b32 s7, 0
.LBB19_970:
	s_andn2_b32 vcc_lo, exec_lo, s7
	s_cbranch_vccnz .LBB19_972
; %bb.971:
	global_load_ushort v3, v[1:2], off
	s_waitcnt vmcnt(0)
	v_cvt_f32_f16_e32 v5, v3
.LBB19_972:
	s_cbranch_execnz .LBB19_991
.LBB19_973:
	s_sext_i32_i16 s7, s30
	s_cmp_lt_i32 s7, 2
	s_cbranch_scc1 .LBB19_977
; %bb.974:
	s_cmp_lt_i32 s7, 3
	s_cbranch_scc1 .LBB19_978
; %bb.975:
	s_cmp_gt_i32 s7, 3
	s_cbranch_scc0 .LBB19_979
; %bb.976:
	global_load_dwordx2 v[3:4], v[1:2], off
	s_mov_b32 s7, 0
	s_waitcnt vmcnt(0)
	v_xor_b32_e32 v5, v3, v4
	v_ffbh_i32_e32 v6, v4
	v_ashrrev_i32_e32 v5, 31, v5
	v_add_nc_u32_e32 v6, -1, v6
	v_add_nc_u32_e32 v5, 32, v5
	v_min_u32_e32 v5, v6, v5
	v_lshlrev_b64 v[3:4], v5, v[3:4]
	v_min_u32_e32 v3, 1, v3
	v_or_b32_e32 v3, v4, v3
	v_sub_nc_u32_e32 v4, 32, v5
	v_cvt_f32_i32_e32 v3, v3
	v_ldexp_f32 v5, v3, v4
	s_branch .LBB19_980
.LBB19_977:
                                        ; implicit-def: $vgpr5
	s_branch .LBB19_986
.LBB19_978:
	s_mov_b32 s7, -1
                                        ; implicit-def: $vgpr5
	s_branch .LBB19_983
.LBB19_979:
	s_mov_b32 s7, -1
                                        ; implicit-def: $vgpr5
.LBB19_980:
	s_andn2_b32 vcc_lo, exec_lo, s7
	s_cbranch_vccnz .LBB19_982
; %bb.981:
	global_load_dword v3, v[1:2], off
	s_waitcnt vmcnt(0)
	v_cvt_f32_i32_e32 v5, v3
.LBB19_982:
	s_mov_b32 s7, 0
.LBB19_983:
	s_andn2_b32 vcc_lo, exec_lo, s7
	s_cbranch_vccnz .LBB19_985
; %bb.984:
	global_load_sshort v3, v[1:2], off
	s_waitcnt vmcnt(0)
	v_cvt_f32_i32_e32 v5, v3
.LBB19_985:
	s_cbranch_execnz .LBB19_991
.LBB19_986:
	s_sext_i32_i16 s7, s30
	s_cmp_gt_i32 s7, 0
	s_mov_b32 s7, 0
	s_cbranch_scc0 .LBB19_988
; %bb.987:
	global_load_sbyte v3, v[1:2], off
	s_waitcnt vmcnt(0)
	v_cvt_f32_i32_e32 v5, v3
	s_branch .LBB19_989
.LBB19_988:
	s_mov_b32 s7, -1
                                        ; implicit-def: $vgpr5
.LBB19_989:
	s_andn2_b32 vcc_lo, exec_lo, s7
	s_cbranch_vccnz .LBB19_991
; %bb.990:
	global_load_ubyte v1, v[1:2], off
	s_waitcnt vmcnt(0)
	v_cvt_f32_ubyte0_e32 v5, v1
.LBB19_991:
	s_or_b32 s0, s0, exec_lo
.LBB19_992:
	s_or_b32 exec_lo, exec_lo, s6
	s_mov_b32 s11, 0
	s_mov_b32 s10, 0
                                        ; implicit-def: $sgpr7
                                        ; implicit-def: $vgpr3_vgpr4
                                        ; implicit-def: $vgpr1
	s_and_saveexec_b32 s6, s0
	s_cbranch_execz .LBB19_1008
; %bb.993:
	v_mov_b32_e32 v1, 0x7f800000
	s_mov_b32 s7, exec_lo
	s_waitcnt vmcnt(0)
	v_cmpx_neq_f32_e32 0, v5
	s_cbranch_execz .LBB19_1001
; %bb.994:
	v_mov_b32_e32 v1, 0x7fc00000
	s_mov_b32 s10, exec_lo
	v_cmpx_ngt_f32_e32 0, v5
	s_cbranch_execz .LBB19_1000
; %bb.995:
                                        ; implicit-def: $vgpr1
	s_mov_b32 s0, exec_lo
	v_cmpx_ge_f32_e32 2.0, v5
	s_xor_b32 s11, exec_lo, s0
	s_cbranch_execz .LBB19_997
; %bb.996:
	v_fma_f32 v1, v5, 0.5, -2.0
	s_mov_b32 s0, 0x224cf950
	v_fma_f32 v4, v5, v5, -2.0
	v_fmaak_f32 v2, s0, v1, 0xa3c2be86
	s_mov_b32 s0, 0xa3019142
	v_fmaak_f32 v6, s0, v4, 0xa72eea8c
	v_fmaak_f32 v3, v1, v2, 0xa24cf950
	;; [unrolled: 1-line block ×3, first 2 shown]
	v_add_f32_e32 v3, 0x25331f1f, v3
	v_add_f32_e32 v7, 0xab3ba817, v7
	v_fma_f32 v2, v1, v3, -v2
	v_fma_f32 v6, v4, v7, -v6
	v_add_f32_e32 v2, 0xa69f5554, v2
	v_add_f32_e32 v6, 0xaf1b31de, v6
	v_fma_f32 v3, v1, v2, -v3
	v_fma_f32 v7, v4, v6, -v7
	;; [unrolled: 4-line block ×8, first 2 shown]
	v_mul_f32_e32 v6, 0.5, v5
	v_add_f32_e32 v3, 0x2fc751a6, v3
	v_add_f32_e32 v4, 0x3fc33d0a, v4
	v_cmp_gt_f32_e32 vcc_lo, 0x800000, v6
	v_fma_f32 v2, v1, v3, -v2
	v_sub_f32_e32 v4, v4, v7
	v_mul_f32_e32 v7, 0x3fb8aa3b, v5
	v_add_f32_e32 v2, 0xb101b0d9, v2
	v_cndmask_b32_e64 v8, 0, 32, vcc_lo
	v_cndmask_b32_e64 v13, 0, 0x41b17218, vcc_lo
	v_mul_f32_e32 v4, 0.5, v4
	v_rndne_f32_e32 v9, v7
	v_fma_f32 v3, v1, v2, -v3
	v_fma_f32 v11, 0x3fb8aa3b, v5, -v7
	v_ldexp_f32 v6, v6, v8
	v_div_scale_f32 v10, null, v5, v5, v4
	v_add_f32_e32 v3, 0x32212c70, v3
	v_sub_f32_e32 v7, v7, v9
	v_fmamk_f32 v11, v5, 0x32a5705f, v11
	v_rcp_f32_e32 v8, v10
	v_log_f32_e32 v6, v6
	v_fma_f32 v2, v1, v3, -v2
	v_div_scale_f32 v12, s0, v4, v5, v4
	v_add_f32_e32 v7, v7, v11
	v_cmp_ngt_f32_e32 vcc_lo, 0xc2ce8ed0, v5
	v_add_f32_e32 v2, 0xb33ee9f1, v2
	v_exp_f32_e32 v7, v7
	v_fma_f32 v11, -v10, v8, 1.0
	v_fma_f32 v3, v1, v2, -v3
	v_fmac_f32_e32 v8, v11, v8
	v_add_f32_e32 v3, 0x34571a26, v3
	v_mul_f32_e32 v11, 0x3f317217, v6
	v_fma_f32 v2, v1, v3, -v2
	v_fma_f32 v11, 0x3f317217, v6, -v11
	v_add_f32_e32 v2, 0xb56603cc, v2
	v_fmamk_f32 v11, v6, 0x3377d1cf, v11
	v_fma_f32 v3, v1, v2, -v3
	v_fmac_f32_e32 v11, 0x3f317217, v6
	v_add_f32_e32 v3, 0x3668e277, v3
	v_fma_f32 v2, v1, v3, -v2
	v_add_f32_e32 v2, 0xb75eafce, v2
	v_fma_f32 v3, v1, v2, -v3
	;; [unrolled: 2-line block ×12, first 2 shown]
	v_cvt_i32_f32_e32 v2, v9
	v_mul_f32_e32 v9, v12, v8
	v_add_f32_e32 v1, 0x3e81531c, v1
	v_ldexp_f32 v2, v7, v2
	v_fma_f32 v7, -v10, v9, v12
	v_sub_f32_e32 v1, v1, v3
	v_cndmask_b32_e32 v2, 0, v2, vcc_lo
	v_cmp_nlt_f32_e32 vcc_lo, 0x42b17218, v5
	v_fmac_f32_e32 v9, v7, v8
	v_mul_f32_e32 v1, 0.5, v1
	v_cndmask_b32_e32 v2, 0x7f800000, v2, vcc_lo
	v_cmp_gt_f32_e64 vcc_lo, 0x7f800000, |v6|
	v_fma_f32 v3, -v10, v9, v12
	v_mul_f32_e32 v1, v5, v1
	v_cndmask_b32_e32 v6, v6, v11, vcc_lo
	s_mov_b32 vcc_lo, s0
	v_mul_f32_e32 v2, v2, v1
	v_div_fmas_f32 v3, v3, v8, v9
	v_sub_f32_e32 v6, v6, v13
	v_div_fixup_f32 v1, v3, v5, v4
                                        ; implicit-def: $vgpr5
	v_fmac_f32_e32 v1, v6, v2
.LBB19_997:
	s_andn2_saveexec_b32 s11, s11
	s_cbranch_execz .LBB19_999
; %bb.998:
	v_div_scale_f32 v1, null, v5, v5, 0x41000000
	v_div_scale_f32 v4, vcc_lo, 0x41000000, v5, 0x41000000
	s_mov_b32 s0, 0xa2d462ea
	v_rcp_f32_e32 v2, v1
	v_fma_f32 v3, -v1, v2, 1.0
	v_fmac_f32_e32 v2, v3, v2
	v_mul_f32_e32 v3, v4, v2
	v_fma_f32 v6, -v1, v3, v4
	v_fmac_f32_e32 v3, v6, v2
	v_mul_f32_e32 v6, 0xbfb8aa3b, v5
	v_fma_f32 v1, -v1, v3, v4
	v_mul_f32_e32 v4, 0x4f800000, v5
	v_rndne_f32_e32 v7, v6
	v_fma_f32 v8, 0xbfb8aa3b, v5, -v6
	v_div_fmas_f32 v1, v1, v2, v3
	v_cmp_gt_f32_e32 vcc_lo, 0xf800000, v5
	v_sub_f32_e32 v6, v6, v7
	v_fmamk_f32 v8, v5, 0xb2a5705f, v8
	v_cvt_i32_f32_e32 v7, v7
	v_div_fixup_f32 v1, v1, v5, 0x41000000
	v_cndmask_b32_e32 v4, v5, v4, vcc_lo
	v_add_f32_e32 v6, v6, v8
	v_add_f32_e32 v1, -2.0, v1
	v_sqrt_f32_e32 v9, v4
	v_exp_f32_e32 v6, v6
	v_fmaak_f32 v2, s0, v1, 0x23a578d4
	v_fmaak_f32 v3, v1, v2, 0x22d462ea
	v_add_nc_u32_e32 v8, -1, v9
	v_add_nc_u32_e32 v10, 1, v9
	v_add_f32_e32 v3, 0xa48330a9, v3
	v_fma_f32 v11, -v8, v9, v4
	v_fma_f32 v12, -v10, v9, v4
	v_fma_f32 v2, v1, v3, -v2
	v_cmp_ge_f32_e64 s0, 0, v11
	v_add_f32_e32 v2, 0x2553eaf2, v2
	v_cndmask_b32_e64 v8, v9, v8, s0
	v_cmp_lt_f32_e64 s0, 0, v12
	v_fma_f32 v3, v1, v2, -v3
	v_add_f32_e32 v3, 0xa62e951f, v3
	v_fma_f32 v2, v1, v3, -v2
	v_add_f32_e32 v2, 0x2712e76f, v2
	;; [unrolled: 2-line block ×20, first 2 shown]
	v_fma_f32 v1, v1, v2, -v3
	v_ldexp_f32 v2, v6, v7
	v_cndmask_b32_e64 v6, v8, v10, s0
	v_cmp_nlt_f32_e64 s0, 0x42ce8ed0, v5
	v_add_f32_e32 v1, 0x402e1ebd, v1
	v_mul_f32_e32 v7, 0x37800000, v6
	v_cndmask_b32_e64 v2, 0, v2, s0
	v_cmp_ngt_f32_e64 s0, 0xc2b17218, v5
	v_sub_f32_e32 v1, v1, v3
	v_cndmask_b32_e32 v3, v6, v7, vcc_lo
	v_cmp_class_f32_e64 vcc_lo, v4, 0x260
	v_cndmask_b32_e64 v2, 0x7f800000, v2, s0
	v_mul_f32_e32 v1, 0.5, v1
	v_cndmask_b32_e32 v3, v3, v4, vcc_lo
	v_mul_f32_e32 v1, v2, v1
	v_div_scale_f32 v2, null, v3, v3, v1
	v_rcp_f32_e32 v4, v2
	v_fma_f32 v5, -v2, v4, 1.0
	v_fmac_f32_e32 v4, v5, v4
	v_div_scale_f32 v5, vcc_lo, v1, v3, v1
	v_mul_f32_e32 v6, v5, v4
	v_fma_f32 v7, -v2, v6, v5
	v_fmac_f32_e32 v6, v7, v4
	v_fma_f32 v2, -v2, v6, v5
	v_div_fmas_f32 v2, v2, v4, v6
	v_div_fixup_f32 v1, v2, v3, v1
.LBB19_999:
	s_or_b32 exec_lo, exec_lo, s11
.LBB19_1000:
	s_or_b32 exec_lo, exec_lo, s10
.LBB19_1001:
	s_or_b32 exec_lo, exec_lo, s7
	v_add_co_u32 v3, s0, s8, v0
	v_add_co_ci_u32_e64 v4, null, s9, 0, s0
	s_and_b32 s7, s29, 0xff
	s_cmp_lt_i32 s7, 11
	s_cbranch_scc1 .LBB19_1011
; %bb.1002:
	s_and_b32 s8, 0xffff, s7
	s_mov_b32 s9, -1
	s_cmp_gt_i32 s8, 25
	s_mov_b32 s0, s36
	s_cbranch_scc0 .LBB19_1039
; %bb.1003:
	s_cmp_gt_i32 s8, 28
	s_mov_b32 s0, s36
	s_cbranch_scc0 .LBB19_1023
; %bb.1004:
	;; [unrolled: 4-line block ×4, first 2 shown]
	s_cmp_eq_u32 s8, 46
	s_mov_b32 s0, -1
	s_cbranch_scc0 .LBB19_1012
; %bb.1007:
	v_bfe_u32 v0, v1, 16, 1
	v_cmp_o_f32_e32 vcc_lo, v1, v1
	v_mov_b32_e32 v2, 0x7fc0
	s_mov_b32 s0, 0
	s_mov_b32 s9, 0
	v_add3_u32 v0, v1, v0, 0x7fff
	v_cndmask_b32_sdwa v0, v2, v0, vcc_lo dst_sel:DWORD dst_unused:UNUSED_PAD src0_sel:DWORD src1_sel:WORD_1
	global_store_dword v[3:4], v0, off
	s_branch .LBB19_1013
.LBB19_1008:
	s_or_b32 exec_lo, exec_lo, s6
	s_and_saveexec_b32 s0, s36
	s_cbranch_execnz .LBB19_1081
.LBB19_1009:
	s_or_b32 exec_lo, exec_lo, s0
	s_and_saveexec_b32 s0, s11
	s_xor_b32 s0, exec_lo, s0
	s_cbranch_execz .LBB19_1082
.LBB19_1010:
	v_cmp_neq_f32_e32 vcc_lo, 0, v1
	v_cndmask_b32_e64 v0, 0, 1, vcc_lo
	s_waitcnt vmcnt(0)
	global_store_byte v[3:4], v0, off
	s_or_b32 exec_lo, exec_lo, s0
	s_and_saveexec_b32 s0, s10
	s_xor_b32 s0, exec_lo, s0
	s_cbranch_execz .LBB19_1120
	s_branch .LBB19_1083
.LBB19_1011:
	s_mov_b32 s11, 0
	s_mov_b32 s9, -1
	s_mov_b32 s0, s36
	s_branch .LBB19_1080
.LBB19_1012:
	s_mov_b32 s9, 0
.LBB19_1013:
	s_and_b32 vcc_lo, exec_lo, s9
	s_cbranch_vccz .LBB19_1018
; %bb.1014:
	s_cmp_eq_u32 s8, 44
	s_mov_b32 s0, -1
	s_cbranch_scc0 .LBB19_1018
; %bb.1015:
	v_bfe_u32 v2, v1, 23, 8
	v_mov_b32_e32 v0, 0xff
	s_mov_b32 s9, exec_lo
	v_cmpx_ne_u32_e32 0xff, v2
	s_cbranch_execz .LBB19_1017
; %bb.1016:
	v_and_b32_e32 v0, 0x400000, v1
	v_and_or_b32 v2, 0x3fffff, v1, v2
	v_cmp_ne_u32_e32 vcc_lo, 0, v0
	v_cmp_ne_u32_e64 s0, 0, v2
	v_lshrrev_b32_e32 v0, 23, v1
	s_and_b32 s0, vcc_lo, s0
	v_cndmask_b32_e64 v2, 0, 1, s0
	v_add_nc_u32_e32 v0, v0, v2
.LBB19_1017:
	s_or_b32 exec_lo, exec_lo, s9
	s_mov_b32 s0, 0
	global_store_byte v[3:4], v0, off
.LBB19_1018:
	s_mov_b32 s9, 0
.LBB19_1019:
	s_and_b32 vcc_lo, exec_lo, s9
	s_cbranch_vccz .LBB19_1022
; %bb.1020:
	s_cmp_eq_u32 s8, 29
	s_mov_b32 s0, -1
	s_cbranch_scc0 .LBB19_1022
; %bb.1021:
	v_trunc_f32_e32 v0, v1
	s_mov_b32 s0, 0
	s_mov_b32 s9, 0
	v_mul_f32_e32 v2, 0x2f800000, v0
	v_floor_f32_e32 v2, v2
	v_fmamk_f32 v0, v2, 0xcf800000, v0
	v_cvt_u32_f32_e32 v6, v2
	v_cvt_u32_f32_e32 v5, v0
	global_store_dwordx2 v[3:4], v[5:6], off
	s_branch .LBB19_1023
.LBB19_1022:
	s_mov_b32 s9, 0
.LBB19_1023:
	s_and_b32 vcc_lo, exec_lo, s9
	s_cbranch_vccz .LBB19_1038
; %bb.1024:
	s_cmp_lt_i32 s8, 27
	s_mov_b32 s9, -1
	s_cbranch_scc1 .LBB19_1030
; %bb.1025:
	s_cmp_gt_i32 s8, 27
	s_cbranch_scc0 .LBB19_1027
; %bb.1026:
	v_cvt_u32_f32_e32 v0, v1
	s_mov_b32 s9, 0
	global_store_dword v[3:4], v0, off
.LBB19_1027:
	s_andn2_b32 vcc_lo, exec_lo, s9
	s_cbranch_vccnz .LBB19_1029
; %bb.1028:
	v_cvt_u32_f32_e32 v0, v1
	global_store_short v[3:4], v0, off
.LBB19_1029:
	s_mov_b32 s9, 0
.LBB19_1030:
	s_andn2_b32 vcc_lo, exec_lo, s9
	s_cbranch_vccnz .LBB19_1038
; %bb.1031:
	v_and_b32_e32 v0, 0x7fffffff, v1
	v_mov_b32_e32 v2, 0x80
	s_mov_b32 s9, exec_lo
	v_cmpx_gt_u32_e32 0x43800000, v0
	s_cbranch_execz .LBB19_1037
; %bb.1032:
	v_cmp_lt_u32_e32 vcc_lo, 0x3bffffff, v0
	s_mov_b32 s10, 0
                                        ; implicit-def: $vgpr0
	s_and_saveexec_b32 s11, vcc_lo
	s_xor_b32 s11, exec_lo, s11
	s_cbranch_execz .LBB19_1191
; %bb.1033:
	v_bfe_u32 v0, v1, 20, 1
	s_mov_b32 s10, exec_lo
	v_add3_u32 v0, v1, v0, 0x487ffff
	v_lshrrev_b32_e32 v0, 20, v0
	s_andn2_saveexec_b32 s11, s11
	s_cbranch_execnz .LBB19_1192
.LBB19_1034:
	s_or_b32 exec_lo, exec_lo, s11
	v_mov_b32_e32 v2, 0
	s_and_saveexec_b32 s11, s10
.LBB19_1035:
	v_lshrrev_b32_e32 v2, 24, v1
	v_and_or_b32 v2, 0x80, v2, v0
.LBB19_1036:
	s_or_b32 exec_lo, exec_lo, s11
.LBB19_1037:
	s_or_b32 exec_lo, exec_lo, s9
	global_store_byte v[3:4], v2, off
.LBB19_1038:
	s_mov_b32 s9, 0
.LBB19_1039:
	s_and_b32 vcc_lo, exec_lo, s9
	s_mov_b32 s9, 0
	s_cbranch_vccz .LBB19_1079
; %bb.1040:
	s_cmp_gt_i32 s8, 22
	s_mov_b32 s10, -1
	s_cbranch_scc0 .LBB19_1072
; %bb.1041:
	s_cmp_lt_i32 s8, 24
	s_cbranch_scc1 .LBB19_1061
; %bb.1042:
	s_cmp_gt_i32 s8, 24
	s_cbranch_scc0 .LBB19_1050
; %bb.1043:
	v_and_b32_e32 v0, 0x7fffffff, v1
	v_mov_b32_e32 v2, 0x80
	s_mov_b32 s10, exec_lo
	v_cmpx_gt_u32_e32 0x47800000, v0
	s_cbranch_execz .LBB19_1049
; %bb.1044:
	v_cmp_lt_u32_e32 vcc_lo, 0x37ffffff, v0
	s_mov_b32 s11, 0
                                        ; implicit-def: $vgpr0
	s_and_saveexec_b32 s12, vcc_lo
	s_xor_b32 s12, exec_lo, s12
	s_cbranch_execz .LBB19_1325
; %bb.1045:
	v_bfe_u32 v0, v1, 21, 1
	s_mov_b32 s11, exec_lo
	v_add3_u32 v0, v1, v0, 0x88fffff
	v_lshrrev_b32_e32 v0, 21, v0
	s_andn2_saveexec_b32 s12, s12
	s_cbranch_execnz .LBB19_1326
.LBB19_1046:
	s_or_b32 exec_lo, exec_lo, s12
	v_mov_b32_e32 v2, 0
	s_and_saveexec_b32 s12, s11
.LBB19_1047:
	v_lshrrev_b32_e32 v2, 24, v1
	v_and_or_b32 v2, 0x80, v2, v0
.LBB19_1048:
	s_or_b32 exec_lo, exec_lo, s12
.LBB19_1049:
	s_or_b32 exec_lo, exec_lo, s10
	s_mov_b32 s10, 0
	global_store_byte v[3:4], v2, off
.LBB19_1050:
	s_and_b32 vcc_lo, exec_lo, s10
	s_cbranch_vccz .LBB19_1060
; %bb.1051:
	v_and_b32_e32 v2, 0x7fffffff, v1
	s_mov_b32 s10, exec_lo
                                        ; implicit-def: $vgpr0
	v_cmpx_gt_u32_e32 0x43f00000, v2
	s_xor_b32 s10, exec_lo, s10
	s_cbranch_execz .LBB19_1057
; %bb.1052:
	s_mov_b32 s11, exec_lo
                                        ; implicit-def: $vgpr0
	v_cmpx_lt_u32_e32 0x3c7fffff, v2
	s_xor_b32 s11, exec_lo, s11
; %bb.1053:
	v_bfe_u32 v0, v1, 20, 1
	v_add3_u32 v0, v1, v0, 0x407ffff
	v_and_b32_e32 v2, 0xff00000, v0
	v_lshrrev_b32_e32 v0, 20, v0
	v_cmp_ne_u32_e32 vcc_lo, 0x7f00000, v2
	v_cndmask_b32_e32 v0, 0x7e, v0, vcc_lo
; %bb.1054:
	s_andn2_saveexec_b32 s11, s11
; %bb.1055:
	v_add_f32_e64 v0, 0x46800000, |v1|
; %bb.1056:
	s_or_b32 exec_lo, exec_lo, s11
                                        ; implicit-def: $vgpr2
.LBB19_1057:
	s_andn2_saveexec_b32 s10, s10
; %bb.1058:
	v_mov_b32_e32 v0, 0x7f
	v_cmp_lt_u32_e32 vcc_lo, 0x7f800000, v2
	v_cndmask_b32_e32 v0, 0x7e, v0, vcc_lo
; %bb.1059:
	s_or_b32 exec_lo, exec_lo, s10
	v_lshrrev_b32_e32 v2, 24, v1
	v_and_or_b32 v0, 0x80, v2, v0
	global_store_byte v[3:4], v0, off
.LBB19_1060:
	s_mov_b32 s10, 0
.LBB19_1061:
	s_andn2_b32 vcc_lo, exec_lo, s10
	s_cbranch_vccnz .LBB19_1071
; %bb.1062:
	v_and_b32_e32 v2, 0x7fffffff, v1
	s_mov_b32 s10, exec_lo
                                        ; implicit-def: $vgpr0
	v_cmpx_gt_u32_e32 0x47800000, v2
	s_xor_b32 s10, exec_lo, s10
	s_cbranch_execz .LBB19_1068
; %bb.1063:
	s_mov_b32 s11, exec_lo
                                        ; implicit-def: $vgpr0
	v_cmpx_lt_u32_e32 0x387fffff, v2
	s_xor_b32 s11, exec_lo, s11
; %bb.1064:
	v_bfe_u32 v0, v1, 21, 1
	v_add3_u32 v0, v1, v0, 0x80fffff
	v_lshrrev_b32_e32 v0, 21, v0
; %bb.1065:
	s_andn2_saveexec_b32 s11, s11
; %bb.1066:
	v_add_f32_e64 v0, 0x43000000, |v1|
; %bb.1067:
	s_or_b32 exec_lo, exec_lo, s11
                                        ; implicit-def: $vgpr2
.LBB19_1068:
	s_andn2_saveexec_b32 s10, s10
; %bb.1069:
	v_mov_b32_e32 v0, 0x7f
	v_cmp_lt_u32_e32 vcc_lo, 0x7f800000, v2
	v_cndmask_b32_e32 v0, 0x7c, v0, vcc_lo
; %bb.1070:
	s_or_b32 exec_lo, exec_lo, s10
	v_lshrrev_b32_e32 v2, 24, v1
	v_and_or_b32 v0, 0x80, v2, v0
	global_store_byte v[3:4], v0, off
.LBB19_1071:
	s_mov_b32 s10, 0
.LBB19_1072:
	s_andn2_b32 vcc_lo, exec_lo, s10
	s_mov_b32 s11, 0
	s_cbranch_vccnz .LBB19_1080
; %bb.1073:
	s_cmp_gt_i32 s8, 14
	s_mov_b32 s10, -1
	s_cbranch_scc0 .LBB19_1077
; %bb.1074:
	s_cmp_eq_u32 s8, 15
	s_mov_b32 s0, -1
	s_cbranch_scc0 .LBB19_1076
; %bb.1075:
	v_bfe_u32 v0, v1, 16, 1
	v_cmp_o_f32_e32 vcc_lo, v1, v1
	v_mov_b32_e32 v2, 0x7fc0
	s_mov_b32 s0, 0
	v_add3_u32 v0, v1, v0, 0x7fff
	v_cndmask_b32_sdwa v0, v2, v0, vcc_lo dst_sel:DWORD dst_unused:UNUSED_PAD src0_sel:DWORD src1_sel:WORD_1
	global_store_short v[3:4], v0, off
.LBB19_1076:
	s_mov_b32 s10, 0
.LBB19_1077:
	s_and_b32 vcc_lo, exec_lo, s10
	s_cbranch_vccz .LBB19_1080
; %bb.1078:
	s_cmp_lg_u32 s8, 11
	s_mov_b32 s11, -1
	s_cselect_b32 s8, -1, 0
	s_andn2_b32 s0, s0, exec_lo
	s_and_b32 s8, s8, exec_lo
	s_or_b32 s0, s0, s8
	s_branch .LBB19_1080
.LBB19_1079:
	s_mov_b32 s11, 0
.LBB19_1080:
	s_andn2_b32 s8, s36, exec_lo
	s_and_b32 s0, s0, exec_lo
	s_and_b32 s10, s9, exec_lo
	;; [unrolled: 1-line block ×3, first 2 shown]
	s_or_b32 s36, s8, s0
	s_or_b32 exec_lo, exec_lo, s6
	s_and_saveexec_b32 s0, s36
	s_cbranch_execz .LBB19_1009
.LBB19_1081:
	s_or_b32 s1, s1, exec_lo
	s_andn2_b32 s11, s11, exec_lo
	s_trap 2
	s_or_b32 exec_lo, exec_lo, s0
	s_and_saveexec_b32 s0, s11
	s_xor_b32 s0, exec_lo, s0
	s_cbranch_execnz .LBB19_1010
.LBB19_1082:
	s_or_b32 exec_lo, exec_lo, s0
	s_and_saveexec_b32 s0, s10
	s_xor_b32 s0, exec_lo, s0
	s_cbranch_execz .LBB19_1120
.LBB19_1083:
	s_sext_i32_i16 s8, s7
	s_mov_b32 s6, -1
	s_cmp_lt_i32 s8, 5
	s_cbranch_scc1 .LBB19_1104
; %bb.1084:
	s_cmp_lt_i32 s8, 8
	s_cbranch_scc1 .LBB19_1094
; %bb.1085:
	;; [unrolled: 3-line block ×3, first 2 shown]
	s_cmp_gt_i32 s8, 9
	s_cbranch_scc0 .LBB19_1088
; %bb.1087:
	s_waitcnt vmcnt(0)
	v_cvt_f64_f32_e32 v[5:6], v1
	v_mov_b32_e32 v7, 0
	s_mov_b32 s6, 0
	v_mov_b32_e32 v8, v7
	global_store_dwordx4 v[3:4], v[5:8], off
.LBB19_1088:
	s_andn2_b32 vcc_lo, exec_lo, s6
	s_cbranch_vccnz .LBB19_1090
; %bb.1089:
	v_mov_b32_e32 v2, 0
	s_waitcnt vmcnt(0)
	global_store_dwordx2 v[3:4], v[1:2], off
.LBB19_1090:
	s_mov_b32 s6, 0
.LBB19_1091:
	s_andn2_b32 vcc_lo, exec_lo, s6
	s_cbranch_vccnz .LBB19_1093
; %bb.1092:
	v_cvt_f16_f32_e32 v0, v1
	v_and_b32_e32 v0, 0xffff, v0
	s_waitcnt vmcnt(0)
	global_store_dword v[3:4], v0, off
.LBB19_1093:
	s_mov_b32 s6, 0
.LBB19_1094:
	s_andn2_b32 vcc_lo, exec_lo, s6
	s_cbranch_vccnz .LBB19_1103
; %bb.1095:
	s_sext_i32_i16 s8, s7
	s_mov_b32 s6, -1
	s_cmp_lt_i32 s8, 6
	s_cbranch_scc1 .LBB19_1101
; %bb.1096:
	s_cmp_gt_i32 s8, 6
	s_cbranch_scc0 .LBB19_1098
; %bb.1097:
	s_waitcnt vmcnt(0)
	v_cvt_f64_f32_e32 v[5:6], v1
	s_mov_b32 s6, 0
	global_store_dwordx2 v[3:4], v[5:6], off
.LBB19_1098:
	s_andn2_b32 vcc_lo, exec_lo, s6
	s_cbranch_vccnz .LBB19_1100
; %bb.1099:
	s_waitcnt vmcnt(0)
	global_store_dword v[3:4], v1, off
.LBB19_1100:
	s_mov_b32 s6, 0
.LBB19_1101:
	s_andn2_b32 vcc_lo, exec_lo, s6
	s_cbranch_vccnz .LBB19_1103
; %bb.1102:
	v_cvt_f16_f32_e32 v0, v1
	s_waitcnt vmcnt(0)
	global_store_short v[3:4], v0, off
.LBB19_1103:
	s_mov_b32 s6, 0
.LBB19_1104:
	s_andn2_b32 vcc_lo, exec_lo, s6
	s_cbranch_vccnz .LBB19_1120
; %bb.1105:
	s_sext_i32_i16 s8, s7
	s_mov_b32 s6, -1
	s_cmp_lt_i32 s8, 2
	s_cbranch_scc1 .LBB19_1115
; %bb.1106:
	s_cmp_lt_i32 s8, 3
	s_cbranch_scc1 .LBB19_1112
; %bb.1107:
	s_cmp_gt_i32 s8, 3
	s_cbranch_scc0 .LBB19_1109
; %bb.1108:
	v_trunc_f32_e32 v0, v1
	s_mov_b32 s6, 0
	v_mul_f32_e64 v2, 0x2f800000, |v0|
	v_floor_f32_e32 v2, v2
	s_waitcnt vmcnt(0)
	v_fma_f32 v5, 0xcf800000, v2, |v0|
	v_ashrrev_i32_e32 v0, 31, v0
	v_cvt_u32_f32_e32 v2, v2
	v_cvt_u32_f32_e32 v5, v5
	v_xor_b32_e32 v2, v2, v0
	v_xor_b32_e32 v5, v5, v0
	v_sub_co_u32 v5, vcc_lo, v5, v0
	v_sub_co_ci_u32_e64 v6, null, v2, v0, vcc_lo
	global_store_dwordx2 v[3:4], v[5:6], off
.LBB19_1109:
	s_andn2_b32 vcc_lo, exec_lo, s6
	s_cbranch_vccnz .LBB19_1111
; %bb.1110:
	v_cvt_i32_f32_e32 v0, v1
	s_waitcnt vmcnt(0)
	global_store_dword v[3:4], v0, off
.LBB19_1111:
	s_mov_b32 s6, 0
.LBB19_1112:
	s_andn2_b32 vcc_lo, exec_lo, s6
	s_cbranch_vccnz .LBB19_1114
; %bb.1113:
	v_cvt_i32_f32_e32 v0, v1
	s_waitcnt vmcnt(0)
	global_store_short v[3:4], v0, off
.LBB19_1114:
	s_mov_b32 s6, 0
.LBB19_1115:
	s_andn2_b32 vcc_lo, exec_lo, s6
	s_cbranch_vccnz .LBB19_1120
; %bb.1116:
	s_sext_i32_i16 s6, s7
	s_cmp_gt_i32 s6, 0
	s_mov_b32 s6, -1
	s_cbranch_scc0 .LBB19_1118
; %bb.1117:
	v_cvt_i32_f32_e32 v0, v1
	s_mov_b32 s6, 0
	s_waitcnt vmcnt(0)
	global_store_byte v[3:4], v0, off
.LBB19_1118:
	s_andn2_b32 vcc_lo, exec_lo, s6
	s_cbranch_vccnz .LBB19_1120
; %bb.1119:
	v_trunc_f32_e32 v0, v1
	v_mul_f32_e64 v1, 0x2f800000, |v0|
	v_floor_f32_e32 v1, v1
	v_fma_f32 v1, 0xcf800000, v1, |v0|
	v_ashrrev_i32_e32 v0, 31, v0
	v_cvt_u32_f32_e32 v1, v1
	v_xor_b32_e32 v1, v1, v0
	v_sub_nc_u32_e32 v0, v1, v0
	s_waitcnt vmcnt(0)
	global_store_byte v[3:4], v0, off
.LBB19_1120:
	s_or_b32 exec_lo, exec_lo, s0
	s_and_b32 s12, s1, exec_lo
                                        ; implicit-def: $vgpr15
                                        ; implicit-def: $vgpr8
.LBB19_1121:
	s_or_saveexec_b32 s13, s28
	s_mov_b32 s0, 0
                                        ; implicit-def: $vgpr0_vgpr1
                                        ; implicit-def: $sgpr6
                                        ; implicit-def: $vgpr7
	s_xor_b32 exec_lo, exec_lo, s13
	s_cbranch_execz .LBB19_1806
; %bb.1122:
	v_cndmask_b32_e64 v0, 0, 1, s27
	s_andn2_b32 vcc_lo, exec_lo, s27
	s_cbranch_vccnz .LBB19_1128
; %bb.1123:
	s_cmp_lg_u32 s24, 0
	s_mov_b32 s8, 0
	s_cbranch_scc0 .LBB19_1129
; %bb.1124:
	s_min_u32 s10, s25, 15
	s_add_i32 s10, s10, 1
	s_cmp_eq_u32 s25, 2
	s_cbranch_scc1 .LBB19_1130
; %bb.1125:
	v_mov_b32_e32 v13, 0
	v_mov_b32_e32 v6, 0
	;; [unrolled: 1-line block ×3, first 2 shown]
	s_and_b32 s9, s10, 28
	s_add_u32 s0, s2, 0xc4
	s_addc_u32 s1, s3, 0
	s_mov_b32 s11, 0
	s_mov_b64 s[6:7], s[2:3]
.LBB19_1126:                            ; =>This Inner Loop Header: Depth=1
	s_clause 0x1
	s_load_dwordx8 s[16:23], s[6:7], 0x4
	s_load_dwordx4 s[28:31], s[6:7], 0x24
	s_load_dwordx8 s[36:43], s[0:1], 0x0
	s_add_u32 s6, s6, 48
	s_addc_u32 s7, s7, 0
	s_add_i32 s11, s11, 4
	s_add_u32 s0, s0, 32
	s_addc_u32 s1, s1, 0
	s_cmp_lg_u32 s9, s11
	s_waitcnt lgkmcnt(0)
	v_mul_hi_u32 v2, s17, v1
	v_add_nc_u32_e32 v2, v1, v2
	v_lshrrev_b32_e32 v2, s18, v2
	s_waitcnt vmcnt(0)
	v_mul_hi_u32 v3, s20, v2
	v_mul_lo_u32 v5, v2, s16
	v_add_nc_u32_e32 v3, v2, v3
	v_sub_nc_u32_e32 v1, v1, v5
	v_lshrrev_b32_e32 v3, s21, v3
	v_mul_lo_u32 v5, v1, s36
	v_mul_lo_u32 v9, v1, s37
	v_mul_hi_u32 v4, s23, v3
	v_add_nc_u32_e32 v4, v3, v4
	v_lshrrev_b32_e32 v4, s28, v4
	v_mul_hi_u32 v7, s30, v4
	v_mul_lo_u32 v10, v4, s22
	v_add_nc_u32_e32 v1, v4, v7
	v_mul_lo_u32 v7, v3, s19
	v_sub_nc_u32_e32 v3, v3, v10
	v_lshrrev_b32_e32 v1, s31, v1
	v_mul_lo_u32 v10, v3, s40
	v_mul_lo_u32 v3, v3, s41
	v_sub_nc_u32_e32 v2, v2, v7
	v_mul_lo_u32 v11, v1, s29
	v_mul_lo_u32 v7, v2, s38
	;; [unrolled: 1-line block ×3, first 2 shown]
	v_sub_nc_u32_e32 v4, v4, v11
	v_add3_u32 v5, v5, v6, v7
	v_mul_lo_u32 v11, v4, s42
	v_mul_lo_u32 v4, v4, s43
	v_add3_u32 v2, v9, v13, v2
	v_add3_u32 v6, v10, v5, v11
	v_add3_u32 v13, v3, v2, v4
	s_cbranch_scc1 .LBB19_1126
; %bb.1127:
	s_and_b32 s10, s10, 3
	s_cmp_eq_u32 s10, 0
	s_cbranch_scc0 .LBB19_1131
	s_branch .LBB19_1133
.LBB19_1128:
	s_mov_b32 s8, -1
                                        ; implicit-def: $vgpr6
                                        ; implicit-def: $vgpr13
	s_branch .LBB19_1133
.LBB19_1129:
	v_mov_b32_e32 v6, 0
	v_mov_b32_e32 v13, 0
	s_branch .LBB19_1133
.LBB19_1130:
	v_mov_b32_e32 v6, 0
	v_mov_b32_e32 v13, 0
	;; [unrolled: 1-line block ×3, first 2 shown]
	s_mov_b32 s9, 0
	s_and_b32 s10, s10, 3
	s_cmp_eq_u32 s10, 0
	s_cbranch_scc1 .LBB19_1133
.LBB19_1131:
	s_lshl_b32 s0, s9, 3
	s_mul_i32 s6, s9, 12
	s_add_u32 s0, s2, s0
	s_addc_u32 s1, s3, 0
	s_add_u32 s0, s0, 0xc4
	s_addc_u32 s1, s1, 0
	;; [unrolled: 2-line block ×3, first 2 shown]
	.p2align	6
.LBB19_1132:                            ; =>This Inner Loop Header: Depth=1
	s_clause 0x1
	s_load_dwordx2 s[14:15], s[6:7], 0x4
	s_load_dword s9, s[6:7], 0xc
	s_load_dwordx2 s[16:17], s[0:1], 0x0
	s_add_u32 s6, s6, 12
	s_addc_u32 s7, s7, 0
	s_add_u32 s0, s0, 8
	s_addc_u32 s1, s1, 0
	s_add_i32 s10, s10, -1
	s_cmp_lg_u32 s10, 0
	s_waitcnt lgkmcnt(0)
	v_mul_hi_u32 v2, s15, v1
	v_add_nc_u32_e32 v2, v1, v2
	v_lshrrev_b32_e32 v2, s9, v2
	s_waitcnt vmcnt(0)
	v_mul_lo_u32 v3, v2, s14
	v_sub_nc_u32_e32 v1, v1, v3
	v_mad_u64_u32 v[6:7], null, v1, s16, v[6:7]
	v_mad_u64_u32 v[13:14], null, v1, s17, v[13:14]
	v_mov_b32_e32 v1, v2
	s_cbranch_scc1 .LBB19_1132
.LBB19_1133:
	s_andn2_b32 vcc_lo, exec_lo, s8
	s_cbranch_vccnz .LBB19_1136
; %bb.1134:
	s_clause 0x1
	s_load_dwordx4 s[8:11], s[2:3], 0x4
	s_load_dwordx2 s[0:1], s[2:3], 0xc4
	s_cmp_lt_u32 s24, 2
	s_waitcnt lgkmcnt(0)
	v_mul_hi_u32 v1, s9, v8
	v_add_nc_u32_e32 v1, v8, v1
	v_lshrrev_b32_e32 v1, s10, v1
	v_mul_lo_u32 v2, v1, s8
	v_sub_nc_u32_e32 v2, v8, v2
	v_mul_lo_u32 v6, v2, s0
	v_mul_lo_u32 v13, v2, s1
	s_cbranch_scc1 .LBB19_1136
; %bb.1135:
	s_clause 0x1
	s_load_dwordx4 s[8:11], s[2:3], 0x10
	s_load_dwordx2 s[0:1], s[2:3], 0xcc
	s_waitcnt lgkmcnt(0)
	v_mul_hi_u32 v2, s9, v1
	v_add_nc_u32_e32 v2, v1, v2
	v_lshrrev_b32_e32 v2, s10, v2
	v_mul_lo_u32 v2, v2, s8
	v_sub_nc_u32_e32 v1, v1, v2
	v_mad_u64_u32 v[6:7], null, v1, s0, v[6:7]
	v_mad_u64_u32 v[13:14], null, v1, s1, v[13:14]
.LBB19_1136:
	v_cmp_ne_u32_e32 vcc_lo, 1, v0
	v_add_nc_u32_e32 v1, 0x80, v8
	s_cbranch_vccnz .LBB19_1142
; %bb.1137:
	s_cmp_lg_u32 s24, 0
	s_mov_b32 s8, 0
	s_cbranch_scc0 .LBB19_1143
; %bb.1138:
	s_min_u32 s10, s25, 15
	s_add_i32 s10, s10, 1
	s_cmp_eq_u32 s25, 2
	s_cbranch_scc1 .LBB19_1144
; %bb.1139:
	v_mov_b32_e32 v11, 0
	v_mov_b32_e32 v4, 0
	;; [unrolled: 1-line block ×3, first 2 shown]
	s_and_b32 s9, s10, 28
	s_add_u32 s0, s2, 0xc4
	s_addc_u32 s1, s3, 0
	s_mov_b32 s11, 0
	s_mov_b64 s[6:7], s[2:3]
.LBB19_1140:                            ; =>This Inner Loop Header: Depth=1
	s_clause 0x1
	s_load_dwordx8 s[16:23], s[6:7], 0x4
	s_load_dwordx4 s[28:31], s[6:7], 0x24
	s_load_dwordx8 s[36:43], s[0:1], 0x0
	s_add_u32 s6, s6, 48
	s_addc_u32 s7, s7, 0
	s_add_i32 s11, s11, 4
	s_add_u32 s0, s0, 32
	s_addc_u32 s1, s1, 0
	s_cmp_lg_u32 s9, s11
	s_waitcnt vmcnt(0) lgkmcnt(0)
	v_mul_hi_u32 v3, s17, v2
	v_add_nc_u32_e32 v3, v2, v3
	v_lshrrev_b32_e32 v3, s18, v3
	v_mul_hi_u32 v5, s20, v3
	v_mul_lo_u32 v9, v3, s16
	v_add_nc_u32_e32 v5, v3, v5
	v_sub_nc_u32_e32 v2, v2, v9
	v_lshrrev_b32_e32 v5, s21, v5
	v_mul_lo_u32 v9, v2, s36
	v_mul_lo_u32 v12, v2, s37
	v_mul_hi_u32 v7, s23, v5
	v_add_nc_u32_e32 v7, v5, v7
	v_lshrrev_b32_e32 v7, s28, v7
	v_mul_hi_u32 v10, s30, v7
	v_mul_lo_u32 v14, v7, s22
	v_add_nc_u32_e32 v2, v7, v10
	v_mul_lo_u32 v10, v5, s19
	v_sub_nc_u32_e32 v5, v5, v14
	v_lshrrev_b32_e32 v2, s31, v2
	v_mul_lo_u32 v14, v5, s40
	v_mul_lo_u32 v5, v5, s41
	v_sub_nc_u32_e32 v3, v3, v10
	v_mul_lo_u32 v16, v2, s29
	v_mul_lo_u32 v10, v3, s38
	;; [unrolled: 1-line block ×3, first 2 shown]
	v_sub_nc_u32_e32 v7, v7, v16
	v_add3_u32 v4, v9, v4, v10
	v_mul_lo_u32 v16, v7, s42
	v_mul_lo_u32 v7, v7, s43
	v_add3_u32 v3, v12, v11, v3
	v_add3_u32 v4, v14, v4, v16
	;; [unrolled: 1-line block ×3, first 2 shown]
	s_cbranch_scc1 .LBB19_1140
; %bb.1141:
	s_and_b32 s10, s10, 3
	s_cmp_eq_u32 s10, 0
	s_cbranch_scc0 .LBB19_1145
	s_branch .LBB19_1147
.LBB19_1142:
	s_mov_b32 s8, -1
                                        ; implicit-def: $vgpr4
                                        ; implicit-def: $vgpr11
	s_branch .LBB19_1147
.LBB19_1143:
	v_mov_b32_e32 v4, 0
	v_mov_b32_e32 v11, 0
	s_branch .LBB19_1147
.LBB19_1144:
	v_mov_b32_e32 v4, 0
	v_mov_b32_e32 v11, 0
	;; [unrolled: 1-line block ×3, first 2 shown]
	s_mov_b32 s9, 0
	s_and_b32 s10, s10, 3
	s_cmp_eq_u32 s10, 0
	s_cbranch_scc1 .LBB19_1147
.LBB19_1145:
	s_lshl_b32 s0, s9, 3
	s_mul_i32 s6, s9, 12
	s_add_u32 s0, s2, s0
	s_addc_u32 s1, s3, 0
	s_add_u32 s0, s0, 0xc4
	s_addc_u32 s1, s1, 0
	;; [unrolled: 2-line block ×3, first 2 shown]
	.p2align	6
.LBB19_1146:                            ; =>This Inner Loop Header: Depth=1
	s_clause 0x1
	s_load_dwordx2 s[14:15], s[6:7], 0x4
	s_load_dword s9, s[6:7], 0xc
	s_load_dwordx2 s[16:17], s[0:1], 0x0
	s_add_u32 s6, s6, 12
	s_addc_u32 s7, s7, 0
	s_add_u32 s0, s0, 8
	s_addc_u32 s1, s1, 0
	s_add_i32 s10, s10, -1
	s_cmp_lg_u32 s10, 0
	s_waitcnt vmcnt(0) lgkmcnt(0)
	v_mul_hi_u32 v3, s15, v2
	v_add_nc_u32_e32 v3, v2, v3
	v_lshrrev_b32_e32 v3, s9, v3
	v_mul_lo_u32 v5, v3, s14
	v_sub_nc_u32_e32 v2, v2, v5
	v_mad_u64_u32 v[4:5], null, v2, s16, v[4:5]
	v_mad_u64_u32 v[11:12], null, v2, s17, v[11:12]
	v_mov_b32_e32 v2, v3
	s_cbranch_scc1 .LBB19_1146
.LBB19_1147:
	s_andn2_b32 vcc_lo, exec_lo, s8
	s_cbranch_vccnz .LBB19_1150
; %bb.1148:
	s_clause 0x1
	s_load_dwordx4 s[8:11], s[2:3], 0x4
	s_load_dwordx2 s[0:1], s[2:3], 0xc4
	s_cmp_lt_u32 s24, 2
	s_waitcnt lgkmcnt(0)
	v_mul_hi_u32 v2, s9, v1
	v_add_nc_u32_e32 v2, v1, v2
	v_lshrrev_b32_e32 v2, s10, v2
	s_waitcnt vmcnt(0)
	v_mul_lo_u32 v3, v2, s8
	v_sub_nc_u32_e32 v1, v1, v3
	v_mul_lo_u32 v4, v1, s0
	v_mul_lo_u32 v11, v1, s1
	s_cbranch_scc1 .LBB19_1150
; %bb.1149:
	s_clause 0x1
	s_load_dwordx4 s[8:11], s[2:3], 0x10
	s_load_dwordx2 s[0:1], s[2:3], 0xcc
	s_waitcnt lgkmcnt(0)
	v_mul_hi_u32 v1, s9, v2
	v_add_nc_u32_e32 v1, v2, v1
	v_lshrrev_b32_e32 v1, s10, v1
	v_mul_lo_u32 v1, v1, s8
	v_sub_nc_u32_e32 v1, v2, v1
	v_mad_u64_u32 v[4:5], null, v1, s0, v[4:5]
	v_mad_u64_u32 v[11:12], null, v1, s1, v[11:12]
.LBB19_1150:
	v_cmp_ne_u32_e32 vcc_lo, 1, v0
	v_add_nc_u32_e32 v1, 0x100, v8
	s_cbranch_vccnz .LBB19_1156
; %bb.1151:
	s_cmp_lg_u32 s24, 0
	s_mov_b32 s8, 0
	s_cbranch_scc0 .LBB19_1157
; %bb.1152:
	s_min_u32 s10, s25, 15
	s_add_i32 s10, s10, 1
	s_cmp_eq_u32 s25, 2
	s_cbranch_scc1 .LBB19_1158
; %bb.1153:
	v_mov_b32_e32 v9, 0
	v_mov_b32_e32 v2, 0
	s_waitcnt vmcnt(0)
	v_mov_b32_e32 v3, v1
	s_and_b32 s9, s10, 28
	s_add_u32 s0, s2, 0xc4
	s_addc_u32 s1, s3, 0
	s_mov_b32 s11, 0
	s_mov_b64 s[6:7], s[2:3]
.LBB19_1154:                            ; =>This Inner Loop Header: Depth=1
	s_clause 0x1
	s_load_dwordx8 s[16:23], s[6:7], 0x4
	s_load_dwordx4 s[28:31], s[6:7], 0x24
	s_load_dwordx8 s[36:43], s[0:1], 0x0
	s_add_u32 s6, s6, 48
	s_addc_u32 s7, s7, 0
	s_add_i32 s11, s11, 4
	s_add_u32 s0, s0, 32
	s_addc_u32 s1, s1, 0
	s_cmp_lg_u32 s9, s11
	s_waitcnt lgkmcnt(0)
	v_mul_hi_u32 v5, s17, v3
	v_add_nc_u32_e32 v5, v3, v5
	v_lshrrev_b32_e32 v5, s18, v5
	v_mul_hi_u32 v7, s20, v5
	v_mul_lo_u32 v10, v5, s16
	v_add_nc_u32_e32 v7, v5, v7
	v_sub_nc_u32_e32 v3, v3, v10
	v_lshrrev_b32_e32 v7, s21, v7
	v_mul_lo_u32 v10, v3, s36
	v_mul_lo_u32 v14, v3, s37
	v_mul_hi_u32 v8, s23, v7
	v_add_nc_u32_e32 v8, v7, v8
	v_lshrrev_b32_e32 v8, s28, v8
	v_mul_hi_u32 v12, s30, v8
	v_mul_lo_u32 v16, v8, s22
	v_add_nc_u32_e32 v3, v8, v12
	v_mul_lo_u32 v12, v7, s19
	v_sub_nc_u32_e32 v7, v7, v16
	v_lshrrev_b32_e32 v3, s31, v3
	v_mul_lo_u32 v16, v7, s40
	v_mul_lo_u32 v7, v7, s41
	v_sub_nc_u32_e32 v5, v5, v12
	v_mul_lo_u32 v17, v3, s29
	v_mul_lo_u32 v12, v5, s38
	;; [unrolled: 1-line block ×3, first 2 shown]
	v_sub_nc_u32_e32 v8, v8, v17
	v_add3_u32 v2, v10, v2, v12
	v_mul_lo_u32 v17, v8, s42
	v_mul_lo_u32 v8, v8, s43
	v_add3_u32 v5, v14, v9, v5
	v_add3_u32 v2, v16, v2, v17
	;; [unrolled: 1-line block ×3, first 2 shown]
	s_cbranch_scc1 .LBB19_1154
; %bb.1155:
	s_and_b32 s10, s10, 3
	s_cmp_eq_u32 s10, 0
	s_cbranch_scc0 .LBB19_1159
	s_branch .LBB19_1161
.LBB19_1156:
	s_mov_b32 s8, -1
                                        ; implicit-def: $vgpr2
                                        ; implicit-def: $vgpr9
	s_branch .LBB19_1161
.LBB19_1157:
	v_mov_b32_e32 v2, 0
	v_mov_b32_e32 v9, 0
	s_branch .LBB19_1161
.LBB19_1158:
	v_mov_b32_e32 v2, 0
	v_mov_b32_e32 v9, 0
	s_waitcnt vmcnt(0)
	v_mov_b32_e32 v3, v1
	s_mov_b32 s9, 0
	s_and_b32 s10, s10, 3
	s_cmp_eq_u32 s10, 0
	s_cbranch_scc1 .LBB19_1161
.LBB19_1159:
	s_lshl_b32 s0, s9, 3
	s_mul_i32 s6, s9, 12
	s_add_u32 s0, s2, s0
	s_addc_u32 s1, s3, 0
	s_add_u32 s0, s0, 0xc4
	s_addc_u32 s1, s1, 0
	;; [unrolled: 2-line block ×3, first 2 shown]
	.p2align	6
.LBB19_1160:                            ; =>This Inner Loop Header: Depth=1
	s_clause 0x1
	s_load_dwordx2 s[14:15], s[6:7], 0x4
	s_load_dword s9, s[6:7], 0xc
	s_load_dwordx2 s[16:17], s[0:1], 0x0
	s_add_u32 s6, s6, 12
	s_addc_u32 s7, s7, 0
	s_add_u32 s0, s0, 8
	s_addc_u32 s1, s1, 0
	s_add_i32 s10, s10, -1
	s_cmp_lg_u32 s10, 0
	s_waitcnt lgkmcnt(0)
	v_mul_hi_u32 v5, s15, v3
	v_add_nc_u32_e32 v5, v3, v5
	v_lshrrev_b32_e32 v5, s9, v5
	v_mul_lo_u32 v7, v5, s14
	v_sub_nc_u32_e32 v7, v3, v7
	v_mad_u64_u32 v[2:3], null, v7, s16, v[2:3]
	v_mad_u64_u32 v[9:10], null, v7, s17, v[9:10]
	v_mov_b32_e32 v3, v5
	s_cbranch_scc1 .LBB19_1160
.LBB19_1161:
	s_andn2_b32 vcc_lo, exec_lo, s8
	s_cbranch_vccnz .LBB19_1164
; %bb.1162:
	s_clause 0x1
	s_load_dwordx4 s[8:11], s[2:3], 0x4
	s_load_dwordx2 s[0:1], s[2:3], 0xc4
	s_cmp_lt_u32 s24, 2
	s_waitcnt lgkmcnt(0)
	v_mul_hi_u32 v2, s9, v1
	v_add_nc_u32_e32 v2, v1, v2
	s_waitcnt vmcnt(0)
	v_lshrrev_b32_e32 v3, s10, v2
	v_mul_lo_u32 v2, v3, s8
	v_sub_nc_u32_e32 v1, v1, v2
	v_mul_lo_u32 v2, v1, s0
	v_mul_lo_u32 v9, v1, s1
	s_cbranch_scc1 .LBB19_1164
; %bb.1163:
	s_clause 0x1
	s_load_dwordx4 s[8:11], s[2:3], 0x10
	s_load_dwordx2 s[0:1], s[2:3], 0xcc
	s_waitcnt lgkmcnt(0)
	v_mul_hi_u32 v1, s9, v3
	v_add_nc_u32_e32 v1, v3, v1
	v_lshrrev_b32_e32 v1, s10, v1
	v_mul_lo_u32 v1, v1, s8
	v_sub_nc_u32_e32 v1, v3, v1
	v_mad_u64_u32 v[2:3], null, v1, s0, v[2:3]
	v_mad_u64_u32 v[9:10], null, v1, s1, v[9:10]
.LBB19_1164:
	v_cmp_ne_u32_e32 vcc_lo, 1, v0
	s_cbranch_vccnz .LBB19_1170
; %bb.1165:
	s_cmp_lg_u32 s24, 0
	s_mov_b32 s8, 0
	s_cbranch_scc0 .LBB19_1171
; %bb.1166:
	s_min_u32 s10, s25, 15
	s_add_i32 s10, s10, 1
	s_cmp_eq_u32 s25, 2
	s_cbranch_scc1 .LBB19_1172
; %bb.1167:
	v_mov_b32_e32 v7, 0
	v_mov_b32_e32 v0, 0
	;; [unrolled: 1-line block ×3, first 2 shown]
	s_and_b32 s9, s10, 28
	s_add_u32 s0, s2, 0xc4
	s_addc_u32 s1, s3, 0
	s_mov_b32 s11, 0
	s_mov_b64 s[6:7], s[2:3]
.LBB19_1168:                            ; =>This Inner Loop Header: Depth=1
	s_clause 0x1
	s_load_dwordx8 s[16:23], s[6:7], 0x4
	s_load_dwordx4 s[28:31], s[6:7], 0x24
	s_load_dwordx8 s[36:43], s[0:1], 0x0
	s_add_u32 s6, s6, 48
	s_addc_u32 s7, s7, 0
	s_add_i32 s11, s11, 4
	s_add_u32 s0, s0, 32
	s_addc_u32 s1, s1, 0
	s_cmp_lg_u32 s9, s11
	s_waitcnt vmcnt(0) lgkmcnt(0)
	v_mul_hi_u32 v3, s17, v1
	v_add_nc_u32_e32 v3, v1, v3
	v_lshrrev_b32_e32 v3, s18, v3
	v_mul_hi_u32 v5, s20, v3
	v_mul_lo_u32 v10, v3, s16
	v_add_nc_u32_e32 v5, v3, v5
	v_sub_nc_u32_e32 v1, v1, v10
	v_lshrrev_b32_e32 v5, s21, v5
	v_mul_lo_u32 v10, v1, s36
	v_mul_lo_u32 v14, v1, s37
	v_mul_hi_u32 v8, s23, v5
	v_add_nc_u32_e32 v8, v5, v8
	v_lshrrev_b32_e32 v8, s28, v8
	v_mul_hi_u32 v12, s30, v8
	v_mul_lo_u32 v16, v8, s22
	v_add_nc_u32_e32 v1, v8, v12
	v_mul_lo_u32 v12, v5, s19
	v_sub_nc_u32_e32 v5, v5, v16
	v_lshrrev_b32_e32 v1, s31, v1
	v_mul_lo_u32 v16, v5, s40
	v_mul_lo_u32 v5, v5, s41
	v_sub_nc_u32_e32 v3, v3, v12
	v_mul_lo_u32 v17, v1, s29
	v_mul_lo_u32 v12, v3, s38
	;; [unrolled: 1-line block ×3, first 2 shown]
	v_sub_nc_u32_e32 v8, v8, v17
	v_add3_u32 v0, v10, v0, v12
	v_mul_lo_u32 v17, v8, s42
	v_mul_lo_u32 v8, v8, s43
	v_add3_u32 v3, v14, v7, v3
	v_add3_u32 v0, v16, v0, v17
	;; [unrolled: 1-line block ×3, first 2 shown]
	s_cbranch_scc1 .LBB19_1168
; %bb.1169:
	s_and_b32 s10, s10, 3
	s_cmp_eq_u32 s10, 0
	s_cbranch_scc0 .LBB19_1173
	s_branch .LBB19_1175
.LBB19_1170:
	s_mov_b32 s8, -1
                                        ; implicit-def: $vgpr0
                                        ; implicit-def: $vgpr7
	s_branch .LBB19_1175
.LBB19_1171:
	v_mov_b32_e32 v0, 0
	v_mov_b32_e32 v7, 0
	s_branch .LBB19_1175
.LBB19_1172:
	v_mov_b32_e32 v0, 0
	v_mov_b32_e32 v7, 0
	;; [unrolled: 1-line block ×3, first 2 shown]
	s_mov_b32 s9, 0
	s_and_b32 s10, s10, 3
	s_cmp_eq_u32 s10, 0
	s_cbranch_scc1 .LBB19_1175
.LBB19_1173:
	s_lshl_b32 s0, s9, 3
	s_mul_i32 s6, s9, 12
	s_add_u32 s0, s2, s0
	s_addc_u32 s1, s3, 0
	s_add_u32 s0, s0, 0xc4
	s_addc_u32 s1, s1, 0
	;; [unrolled: 2-line block ×3, first 2 shown]
	.p2align	6
.LBB19_1174:                            ; =>This Inner Loop Header: Depth=1
	s_clause 0x1
	s_load_dwordx2 s[14:15], s[6:7], 0x4
	s_load_dword s9, s[6:7], 0xc
	s_load_dwordx2 s[16:17], s[0:1], 0x0
	s_add_u32 s6, s6, 12
	s_addc_u32 s7, s7, 0
	s_add_u32 s0, s0, 8
	s_addc_u32 s1, s1, 0
	s_add_i32 s10, s10, -1
	s_cmp_lg_u32 s10, 0
	s_waitcnt vmcnt(0) lgkmcnt(0)
	v_mul_hi_u32 v3, s15, v1
	v_add_nc_u32_e32 v3, v1, v3
	v_lshrrev_b32_e32 v3, s9, v3
	v_mul_lo_u32 v5, v3, s14
	v_sub_nc_u32_e32 v5, v1, v5
	v_mad_u64_u32 v[0:1], null, v5, s16, v[0:1]
	v_mad_u64_u32 v[7:8], null, v5, s17, v[7:8]
	v_mov_b32_e32 v1, v3
	s_cbranch_scc1 .LBB19_1174
.LBB19_1175:
	s_andn2_b32 vcc_lo, exec_lo, s8
	s_cbranch_vccnz .LBB19_1178
; %bb.1176:
	s_clause 0x1
	s_load_dwordx4 s[8:11], s[2:3], 0x4
	s_load_dwordx2 s[0:1], s[2:3], 0xc4
	s_cmp_lt_u32 s24, 2
	s_waitcnt lgkmcnt(0)
	v_mul_hi_u32 v0, s9, v15
	v_add_nc_u32_e32 v0, v15, v0
	v_lshrrev_b32_e32 v1, s10, v0
	v_mul_lo_u32 v0, v1, s8
	s_waitcnt vmcnt(0)
	v_sub_nc_u32_e32 v3, v15, v0
	v_mul_lo_u32 v0, v3, s0
	v_mul_lo_u32 v7, v3, s1
	s_cbranch_scc1 .LBB19_1178
; %bb.1177:
	s_clause 0x1
	s_load_dwordx4 s[8:11], s[2:3], 0x10
	s_load_dwordx2 s[0:1], s[2:3], 0xcc
	s_waitcnt lgkmcnt(0)
	v_mul_hi_u32 v3, s9, v1
	v_add_nc_u32_e32 v3, v1, v3
	v_lshrrev_b32_e32 v3, s10, v3
	v_mul_lo_u32 v3, v3, s8
	v_sub_nc_u32_e32 v3, v1, v3
	v_mad_u64_u32 v[0:1], null, v3, s0, v[0:1]
	v_mad_u64_u32 v[7:8], null, v3, s1, v[7:8]
.LBB19_1178:
	s_clause 0x1
	s_load_dwordx4 s[8:11], s[2:3], 0x148
	s_load_dword s2, s[4:5], 0x160
	s_waitcnt lgkmcnt(0)
	v_add_co_u32 v12, s0, s10, v13
	v_add_co_ci_u32_e64 v13, null, s11, 0, s0
	s_bfe_u32 s0, s2, 0x80010
	s_cmp_lt_i32 s0, 11
	s_cbranch_scc1 .LBB19_1185
; %bb.1179:
	s_and_b32 s1, 0xffff, s0
	s_mov_b32 s4, 0
	s_cmp_gt_i32 s1, 25
	s_cbranch_scc0 .LBB19_1187
; %bb.1180:
	s_cmp_gt_i32 s1, 28
	s_cbranch_scc0 .LBB19_1188
; %bb.1181:
	;; [unrolled: 3-line block ×4, first 2 shown]
	s_cmp_eq_u32 s1, 46
	s_mov_b32 s6, 0
	s_cbranch_scc0 .LBB19_1193
; %bb.1184:
	global_load_dword v1, v[12:13], off
	s_mov_b32 s3, 0
	s_mov_b32 s5, -1
	s_waitcnt vmcnt(0)
	v_lshlrev_b32_e32 v1, 16, v1
	s_branch .LBB19_1195
.LBB19_1185:
	s_mov_b32 s5, 0
	s_mov_b32 s1, s12
                                        ; implicit-def: $vgpr1
	s_cbranch_execnz .LBB19_1258
.LBB19_1186:
	s_andn2_b32 vcc_lo, exec_lo, s5
	s_cbranch_vccz .LBB19_1303
	s_branch .LBB19_1804
.LBB19_1187:
	s_mov_b32 s5, 0
	s_mov_b32 s3, 0
                                        ; implicit-def: $vgpr1
	s_cbranch_execnz .LBB19_1223
	s_branch .LBB19_1254
.LBB19_1188:
	s_mov_b32 s6, -1
	s_mov_b32 s5, 0
	s_mov_b32 s3, 0
                                        ; implicit-def: $vgpr1
	s_branch .LBB19_1204
.LBB19_1189:
	s_mov_b32 s5, 0
	s_mov_b32 s3, 0
                                        ; implicit-def: $vgpr1
	s_cbranch_execnz .LBB19_1200
	s_branch .LBB19_1203
.LBB19_1190:
	s_mov_b32 s6, -1
	s_mov_b32 s5, 0
	s_mov_b32 s3, 0
	s_branch .LBB19_1194
.LBB19_1191:
	s_andn2_saveexec_b32 s11, s11
	s_cbranch_execz .LBB19_1034
.LBB19_1192:
	v_add_f32_e64 v0, 0x46000000, |v1|
	s_andn2_b32 s10, s10, exec_lo
	v_and_b32_e32 v0, 0xff, v0
	v_cmp_ne_u32_e32 vcc_lo, 0, v0
	s_and_b32 s12, vcc_lo, exec_lo
	s_or_b32 s10, s10, s12
	s_or_b32 exec_lo, exec_lo, s11
	v_mov_b32_e32 v2, 0
	s_and_saveexec_b32 s11, s10
	s_cbranch_execnz .LBB19_1035
	s_branch .LBB19_1036
.LBB19_1193:
	s_mov_b32 s3, -1
	s_mov_b32 s5, 0
.LBB19_1194:
                                        ; implicit-def: $vgpr1
.LBB19_1195:
	s_and_b32 vcc_lo, exec_lo, s6
	s_cbranch_vccz .LBB19_1198
; %bb.1196:
	s_cmp_eq_u32 s1, 44
	s_cbranch_scc0 .LBB19_1199
; %bb.1197:
	global_load_ubyte v1, v[12:13], off
	s_mov_b32 s3, 0
	s_mov_b32 s5, -1
	s_waitcnt vmcnt(0)
	v_lshlrev_b32_e32 v3, 23, v1
	v_cmp_ne_u32_e32 vcc_lo, 0xff, v1
	v_cndmask_b32_e32 v3, 0x7f800001, v3, vcc_lo
	v_cmp_ne_u32_e32 vcc_lo, 0, v1
	v_cndmask_b32_e32 v1, 0x400000, v3, vcc_lo
.LBB19_1198:
	s_branch .LBB19_1203
.LBB19_1199:
	s_mov_b32 s3, -1
                                        ; implicit-def: $vgpr1
	s_branch .LBB19_1203
.LBB19_1200:
	s_cmp_eq_u32 s1, 29
	s_cbranch_scc0 .LBB19_1202
; %bb.1201:
	global_load_dwordx2 v[14:15], v[12:13], off
	s_mov_b32 s3, 0
	s_mov_b32 s5, -1
	s_mov_b32 s6, 0
	s_waitcnt vmcnt(0)
	v_ffbh_u32_e32 v1, v15
	v_min_u32_e32 v1, 32, v1
	v_lshlrev_b64 v[14:15], v1, v[14:15]
	v_sub_nc_u32_e32 v1, 32, v1
	v_min_u32_e32 v3, 1, v14
	v_or_b32_e32 v3, v15, v3
	v_cvt_f32_u32_e32 v3, v3
	v_ldexp_f32 v1, v3, v1
	s_branch .LBB19_1204
.LBB19_1202:
	s_mov_b32 s3, -1
                                        ; implicit-def: $vgpr1
.LBB19_1203:
	s_mov_b32 s6, 0
.LBB19_1204:
	s_and_b32 vcc_lo, exec_lo, s6
	s_cbranch_vccz .LBB19_1222
; %bb.1205:
	s_cmp_lt_i32 s1, 27
	s_cbranch_scc1 .LBB19_1208
; %bb.1206:
	s_cmp_gt_i32 s1, 27
	s_cbranch_scc0 .LBB19_1209
; %bb.1207:
	global_load_dword v1, v[12:13], off
	s_mov_b32 s5, 0
	s_waitcnt vmcnt(0)
	v_cvt_f32_u32_e32 v1, v1
	s_branch .LBB19_1210
.LBB19_1208:
	s_mov_b32 s5, -1
                                        ; implicit-def: $vgpr1
	s_branch .LBB19_1213
.LBB19_1209:
	s_mov_b32 s5, -1
                                        ; implicit-def: $vgpr1
.LBB19_1210:
	s_andn2_b32 vcc_lo, exec_lo, s5
	s_cbranch_vccnz .LBB19_1212
; %bb.1211:
	global_load_ushort v1, v[12:13], off
	s_waitcnt vmcnt(0)
	v_cvt_f32_u32_e32 v1, v1
.LBB19_1212:
	s_mov_b32 s5, 0
.LBB19_1213:
	s_andn2_b32 vcc_lo, exec_lo, s5
	s_cbranch_vccnz .LBB19_1221
; %bb.1214:
	global_load_ubyte v3, v[12:13], off
	s_mov_b32 s5, 0
	s_mov_b32 s6, exec_lo
	s_waitcnt vmcnt(0)
	v_cmpx_lt_i16_e32 0x7f, v3
	s_xor_b32 s6, exec_lo, s6
	s_cbranch_execz .LBB19_1234
; %bb.1215:
	s_mov_b32 s5, -1
	s_mov_b32 s7, exec_lo
	v_cmpx_eq_u16_e32 0x80, v3
; %bb.1216:
	s_xor_b32 s5, exec_lo, -1
; %bb.1217:
	s_or_b32 exec_lo, exec_lo, s7
	s_and_b32 s5, s5, exec_lo
	s_or_saveexec_b32 s6, s6
	v_mov_b32_e32 v1, 0x7f800001
	s_xor_b32 exec_lo, exec_lo, s6
	s_cbranch_execnz .LBB19_1235
.LBB19_1218:
	s_or_b32 exec_lo, exec_lo, s6
	s_and_saveexec_b32 s6, s5
	s_cbranch_execz .LBB19_1220
.LBB19_1219:
	v_and_b32_e32 v1, 0xffff, v3
	v_lshlrev_b32_e32 v3, 24, v3
	v_and_b32_e32 v5, 7, v1
	v_bfe_u32 v14, v1, 3, 4
	v_and_b32_e32 v3, 0x80000000, v3
	v_ffbh_u32_e32 v8, v5
	v_cmp_eq_u32_e32 vcc_lo, 0, v14
	v_min_u32_e32 v8, 32, v8
	v_subrev_nc_u32_e32 v10, 28, v8
	v_sub_nc_u32_e32 v8, 29, v8
	v_lshlrev_b32_e32 v1, v10, v1
	v_cndmask_b32_e32 v8, v14, v8, vcc_lo
	v_and_b32_e32 v1, 7, v1
	v_cndmask_b32_e32 v1, v5, v1, vcc_lo
	v_lshl_add_u32 v5, v8, 23, 0x3b800000
	v_lshlrev_b32_e32 v1, 20, v1
	v_or3_b32 v1, v3, v5, v1
.LBB19_1220:
	s_or_b32 exec_lo, exec_lo, s6
.LBB19_1221:
	s_mov_b32 s5, -1
.LBB19_1222:
	s_branch .LBB19_1254
.LBB19_1223:
	s_cmp_gt_i32 s1, 22
	s_cbranch_scc0 .LBB19_1233
; %bb.1224:
	s_cmp_lt_i32 s1, 24
	s_cbranch_scc1 .LBB19_1236
; %bb.1225:
	s_cmp_gt_i32 s1, 24
	s_cbranch_scc0 .LBB19_1237
; %bb.1226:
	global_load_ubyte v3, v[12:13], off
	s_mov_b32 s5, exec_lo
	s_waitcnt vmcnt(0)
	v_cmpx_lt_i16_e32 0x7f, v3
	s_xor_b32 s5, exec_lo, s5
	s_cbranch_execz .LBB19_1248
; %bb.1227:
	s_mov_b32 s4, -1
	s_mov_b32 s6, exec_lo
	v_cmpx_eq_u16_e32 0x80, v3
; %bb.1228:
	s_xor_b32 s4, exec_lo, -1
; %bb.1229:
	s_or_b32 exec_lo, exec_lo, s6
	s_and_b32 s4, s4, exec_lo
	s_or_saveexec_b32 s5, s5
	v_mov_b32_e32 v1, 0x7f800001
	s_xor_b32 exec_lo, exec_lo, s5
	s_cbranch_execnz .LBB19_1249
.LBB19_1230:
	s_or_b32 exec_lo, exec_lo, s5
	s_and_saveexec_b32 s5, s4
	s_cbranch_execz .LBB19_1232
.LBB19_1231:
	v_and_b32_e32 v1, 0xffff, v3
	v_lshlrev_b32_e32 v3, 24, v3
	v_and_b32_e32 v5, 3, v1
	v_bfe_u32 v14, v1, 2, 5
	v_and_b32_e32 v3, 0x80000000, v3
	v_ffbh_u32_e32 v8, v5
	v_cmp_eq_u32_e32 vcc_lo, 0, v14
	v_min_u32_e32 v8, 32, v8
	v_subrev_nc_u32_e32 v10, 29, v8
	v_sub_nc_u32_e32 v8, 30, v8
	v_lshlrev_b32_e32 v1, v10, v1
	v_cndmask_b32_e32 v8, v14, v8, vcc_lo
	v_and_b32_e32 v1, 3, v1
	v_cndmask_b32_e32 v1, v5, v1, vcc_lo
	v_lshl_add_u32 v5, v8, 23, 0x37800000
	v_lshlrev_b32_e32 v1, 21, v1
	v_or3_b32 v1, v3, v5, v1
.LBB19_1232:
	s_or_b32 exec_lo, exec_lo, s5
	s_mov_b32 s4, 0
	s_branch .LBB19_1238
.LBB19_1233:
                                        ; implicit-def: $vgpr1
	s_mov_b32 s4, 0
	s_branch .LBB19_1244
.LBB19_1234:
	s_or_saveexec_b32 s6, s6
	v_mov_b32_e32 v1, 0x7f800001
	s_xor_b32 exec_lo, exec_lo, s6
	s_cbranch_execz .LBB19_1218
.LBB19_1235:
	v_cmp_ne_u16_e32 vcc_lo, 0, v3
	v_mov_b32_e32 v1, 0
	s_andn2_b32 s5, s5, exec_lo
	s_and_b32 s7, vcc_lo, exec_lo
	s_or_b32 s5, s5, s7
	s_or_b32 exec_lo, exec_lo, s6
	s_and_saveexec_b32 s6, s5
	s_cbranch_execnz .LBB19_1219
	s_branch .LBB19_1220
.LBB19_1236:
	s_mov_b32 s4, -1
                                        ; implicit-def: $vgpr1
	s_branch .LBB19_1241
.LBB19_1237:
	s_mov_b32 s4, -1
                                        ; implicit-def: $vgpr1
.LBB19_1238:
	s_and_b32 vcc_lo, exec_lo, s4
	s_cbranch_vccz .LBB19_1240
; %bb.1239:
	global_load_ubyte v1, v[12:13], off
	s_waitcnt vmcnt(0)
	v_lshlrev_b32_e32 v1, 24, v1
	v_and_b32_e32 v3, 0x7f000000, v1
	v_ffbh_u32_e32 v5, v3
	v_add_nc_u32_e32 v10, 0x1000000, v3
	v_cmp_ne_u32_e32 vcc_lo, 0, v3
	v_min_u32_e32 v5, 32, v5
	v_sub_nc_u32_e64 v5, v5, 4 clamp
	v_lshlrev_b32_e32 v8, v5, v3
	v_lshlrev_b32_e32 v5, 23, v5
	v_lshrrev_b32_e32 v8, 4, v8
	v_sub_nc_u32_e32 v5, v8, v5
	v_ashrrev_i32_e32 v8, 8, v10
	v_add_nc_u32_e32 v5, 0x3c000000, v5
	v_and_or_b32 v5, 0x7f800000, v8, v5
	v_cndmask_b32_e32 v3, 0, v5, vcc_lo
	v_and_or_b32 v1, 0x80000000, v1, v3
.LBB19_1240:
	s_mov_b32 s4, 0
.LBB19_1241:
	s_andn2_b32 vcc_lo, exec_lo, s4
	s_cbranch_vccnz .LBB19_1243
; %bb.1242:
	global_load_ubyte v1, v[12:13], off
	s_waitcnt vmcnt(0)
	v_lshlrev_b32_e32 v3, 25, v1
	v_lshlrev_b16 v1, 8, v1
	v_lshrrev_b32_e32 v5, 4, v3
	v_and_or_b32 v8, 0x7f00, v1, 0.5
	v_cmp_gt_u32_e32 vcc_lo, 0x8000000, v3
	v_bfe_i32 v1, v1, 0, 16
	v_or_b32_e32 v5, 0x70000000, v5
	v_add_f32_e32 v8, -0.5, v8
	v_mul_f32_e32 v5, 0x7800000, v5
	v_cndmask_b32_e32 v3, v5, v8, vcc_lo
	v_and_or_b32 v1, 0x80000000, v1, v3
.LBB19_1243:
	s_mov_b32 s5, -1
	s_mov_b32 s4, 0
	s_cbranch_execnz .LBB19_1254
.LBB19_1244:
	s_cmp_gt_i32 s1, 14
	s_cbranch_scc0 .LBB19_1247
; %bb.1245:
	s_cmp_eq_u32 s1, 15
	s_cbranch_scc0 .LBB19_1250
; %bb.1246:
	global_load_ushort v1, v[12:13], off
	s_mov_b32 s3, 0
	s_mov_b32 s5, -1
	s_waitcnt vmcnt(0)
	v_lshlrev_b32_e32 v1, 16, v1
	s_branch .LBB19_1252
.LBB19_1247:
	s_mov_b32 s4, -1
	s_branch .LBB19_1251
.LBB19_1248:
	s_or_saveexec_b32 s5, s5
	v_mov_b32_e32 v1, 0x7f800001
	s_xor_b32 exec_lo, exec_lo, s5
	s_cbranch_execz .LBB19_1230
.LBB19_1249:
	v_cmp_ne_u16_e32 vcc_lo, 0, v3
	v_mov_b32_e32 v1, 0
	s_andn2_b32 s4, s4, exec_lo
	s_and_b32 s6, vcc_lo, exec_lo
	s_or_b32 s4, s4, s6
	s_or_b32 exec_lo, exec_lo, s5
	s_and_saveexec_b32 s5, s4
	s_cbranch_execnz .LBB19_1231
	s_branch .LBB19_1232
.LBB19_1250:
	s_mov_b32 s3, -1
.LBB19_1251:
                                        ; implicit-def: $vgpr1
.LBB19_1252:
	s_and_b32 vcc_lo, exec_lo, s4
	s_mov_b32 s4, 0
	s_cbranch_vccz .LBB19_1254
; %bb.1253:
	s_cmp_lg_u32 s1, 11
	s_mov_b32 s4, -1
	s_cselect_b32 s3, -1, 0
.LBB19_1254:
	s_and_b32 vcc_lo, exec_lo, s3
	s_mov_b32 s1, s12
	s_cbranch_vccnz .LBB19_1323
; %bb.1255:
	s_andn2_b32 vcc_lo, exec_lo, s4
	s_cbranch_vccnz .LBB19_1257
.LBB19_1256:
	global_load_ubyte v1, v[12:13], off
	s_mov_b32 s5, -1
	s_waitcnt vmcnt(0)
	v_cmp_ne_u16_e32 vcc_lo, 0, v1
	v_cndmask_b32_e64 v1, 0, 1.0, vcc_lo
.LBB19_1257:
	s_branch .LBB19_1186
.LBB19_1258:
	s_and_b32 s0, 0xffff, s0
	s_cmp_lt_i32 s0, 5
	s_cbranch_scc1 .LBB19_1263
; %bb.1259:
	s_cmp_lt_i32 s0, 8
	s_cbranch_scc1 .LBB19_1264
; %bb.1260:
	;; [unrolled: 3-line block ×3, first 2 shown]
	s_cmp_gt_i32 s0, 9
	s_cbranch_scc0 .LBB19_1266
; %bb.1262:
	global_load_dwordx2 v[14:15], v[12:13], off
	s_mov_b32 s3, 0
	s_waitcnt vmcnt(0)
	v_cvt_f32_f64_e32 v1, v[14:15]
	s_branch .LBB19_1267
.LBB19_1263:
                                        ; implicit-def: $vgpr1
	s_branch .LBB19_1284
.LBB19_1264:
                                        ; implicit-def: $vgpr1
	s_branch .LBB19_1273
.LBB19_1265:
	s_mov_b32 s3, -1
                                        ; implicit-def: $vgpr1
	s_branch .LBB19_1270
.LBB19_1266:
	s_mov_b32 s3, -1
                                        ; implicit-def: $vgpr1
.LBB19_1267:
	s_andn2_b32 vcc_lo, exec_lo, s3
	s_cbranch_vccnz .LBB19_1269
; %bb.1268:
	global_load_dword v1, v[12:13], off
.LBB19_1269:
	s_mov_b32 s3, 0
.LBB19_1270:
	s_andn2_b32 vcc_lo, exec_lo, s3
	s_cbranch_vccnz .LBB19_1272
; %bb.1271:
	global_load_dword v1, v[12:13], off
	s_waitcnt vmcnt(0)
	v_cvt_f32_f16_e32 v1, v1
.LBB19_1272:
	s_cbranch_execnz .LBB19_1283
.LBB19_1273:
	s_cmp_lt_i32 s0, 6
	s_cbranch_scc1 .LBB19_1276
; %bb.1274:
	s_cmp_gt_i32 s0, 6
	s_cbranch_scc0 .LBB19_1277
; %bb.1275:
	global_load_dwordx2 v[14:15], v[12:13], off
	s_mov_b32 s3, 0
	s_waitcnt vmcnt(0)
	v_cvt_f32_f64_e32 v1, v[14:15]
	s_branch .LBB19_1278
.LBB19_1276:
	s_mov_b32 s3, -1
                                        ; implicit-def: $vgpr1
	s_branch .LBB19_1281
.LBB19_1277:
	s_mov_b32 s3, -1
                                        ; implicit-def: $vgpr1
.LBB19_1278:
	s_andn2_b32 vcc_lo, exec_lo, s3
	s_cbranch_vccnz .LBB19_1280
; %bb.1279:
	global_load_dword v1, v[12:13], off
.LBB19_1280:
	s_mov_b32 s3, 0
.LBB19_1281:
	s_andn2_b32 vcc_lo, exec_lo, s3
	s_cbranch_vccnz .LBB19_1283
; %bb.1282:
	global_load_ushort v1, v[12:13], off
	s_waitcnt vmcnt(0)
	v_cvt_f32_f16_e32 v1, v1
.LBB19_1283:
	s_cbranch_execnz .LBB19_1302
.LBB19_1284:
	s_cmp_lt_i32 s0, 2
	s_cbranch_scc1 .LBB19_1288
; %bb.1285:
	s_cmp_lt_i32 s0, 3
	s_cbranch_scc1 .LBB19_1289
; %bb.1286:
	s_cmp_gt_i32 s0, 3
	s_cbranch_scc0 .LBB19_1290
; %bb.1287:
	global_load_dwordx2 v[14:15], v[12:13], off
	s_mov_b32 s3, 0
	s_waitcnt vmcnt(0)
	v_xor_b32_e32 v1, v14, v15
	v_ffbh_i32_e32 v3, v15
	v_ashrrev_i32_e32 v1, 31, v1
	v_add_nc_u32_e32 v3, -1, v3
	v_add_nc_u32_e32 v1, 32, v1
	v_min_u32_e32 v1, v3, v1
	v_lshlrev_b64 v[14:15], v1, v[14:15]
	v_sub_nc_u32_e32 v1, 32, v1
	v_min_u32_e32 v3, 1, v14
	v_or_b32_e32 v3, v15, v3
	v_cvt_f32_i32_e32 v3, v3
	v_ldexp_f32 v1, v3, v1
	s_branch .LBB19_1291
.LBB19_1288:
                                        ; implicit-def: $vgpr1
	s_branch .LBB19_1297
.LBB19_1289:
	s_mov_b32 s3, -1
                                        ; implicit-def: $vgpr1
	s_branch .LBB19_1294
.LBB19_1290:
	s_mov_b32 s3, -1
                                        ; implicit-def: $vgpr1
.LBB19_1291:
	s_andn2_b32 vcc_lo, exec_lo, s3
	s_cbranch_vccnz .LBB19_1293
; %bb.1292:
	global_load_dword v1, v[12:13], off
	s_waitcnt vmcnt(0)
	v_cvt_f32_i32_e32 v1, v1
.LBB19_1293:
	s_mov_b32 s3, 0
.LBB19_1294:
	s_andn2_b32 vcc_lo, exec_lo, s3
	s_cbranch_vccnz .LBB19_1296
; %bb.1295:
	global_load_sshort v1, v[12:13], off
	s_waitcnt vmcnt(0)
	v_cvt_f32_i32_e32 v1, v1
.LBB19_1296:
	s_cbranch_execnz .LBB19_1302
.LBB19_1297:
	s_cmp_gt_i32 s0, 0
	s_mov_b32 s0, 0
	s_cbranch_scc0 .LBB19_1299
; %bb.1298:
	global_load_sbyte v1, v[12:13], off
	s_waitcnt vmcnt(0)
	v_cvt_f32_i32_e32 v1, v1
	s_branch .LBB19_1300
.LBB19_1299:
	s_mov_b32 s0, -1
                                        ; implicit-def: $vgpr1
.LBB19_1300:
	s_andn2_b32 vcc_lo, exec_lo, s0
	s_cbranch_vccnz .LBB19_1302
; %bb.1301:
	global_load_ubyte v1, v[12:13], off
	s_waitcnt vmcnt(0)
	v_cvt_f32_ubyte0_e32 v1, v1
.LBB19_1302:
.LBB19_1303:
	s_waitcnt vmcnt(0)
	v_mov_b32_e32 v5, 0x7f800000
	s_mov_b32 s3, exec_lo
	v_cmpx_neq_f32_e32 0, v1
	s_cbranch_execz .LBB19_1311
; %bb.1304:
	v_mov_b32_e32 v5, 0x7fc00000
	s_mov_b32 s4, exec_lo
	v_cmpx_ngt_f32_e32 0, v1
	s_cbranch_execz .LBB19_1310
; %bb.1305:
                                        ; implicit-def: $vgpr5
	s_mov_b32 s0, exec_lo
	v_cmpx_ge_f32_e32 2.0, v1
	s_xor_b32 s5, exec_lo, s0
	s_cbranch_execz .LBB19_1307
; %bb.1306:
	v_fma_f32 v3, v1, 0.5, -2.0
	s_mov_b32 s0, 0x224cf950
	v_fma_f32 v10, v1, v1, -2.0
	v_fmaak_f32 v5, s0, v3, 0xa3c2be86
	s_mov_b32 s0, 0xa3019142
	v_fmaak_f32 v12, s0, v10, 0xa72eea8c
	v_fmaak_f32 v8, v3, v5, 0xa24cf950
	;; [unrolled: 1-line block ×3, first 2 shown]
	v_add_f32_e32 v8, 0x25331f1f, v8
	v_add_f32_e32 v13, 0xab3ba817, v13
	v_fma_f32 v5, v3, v8, -v5
	v_fma_f32 v12, v10, v13, -v12
	v_add_f32_e32 v5, 0xa69f5554, v5
	v_add_f32_e32 v12, 0xaf1b31de, v12
	v_fma_f32 v8, v3, v5, -v8
	v_fma_f32 v13, v10, v12, -v13
	;; [unrolled: 4-line block ×8, first 2 shown]
	v_mul_f32_e32 v12, 0.5, v1
	v_add_f32_e32 v8, 0x2fc751a6, v8
	v_add_f32_e32 v10, 0x3fc33d0a, v10
	v_cmp_gt_f32_e32 vcc_lo, 0x800000, v12
	v_fma_f32 v5, v3, v8, -v5
	v_sub_f32_e32 v10, v10, v13
	v_mul_f32_e32 v13, 0x3fb8aa3b, v1
	v_add_f32_e32 v5, 0xb101b0d9, v5
	v_cndmask_b32_e64 v14, 0, 32, vcc_lo
	v_cndmask_b32_e64 v19, 0, 0x41b17218, vcc_lo
	v_mul_f32_e32 v10, 0.5, v10
	v_rndne_f32_e32 v15, v13
	v_fma_f32 v8, v3, v5, -v8
	v_fma_f32 v17, 0x3fb8aa3b, v1, -v13
	v_ldexp_f32 v12, v12, v14
	v_div_scale_f32 v16, null, v1, v1, v10
	v_add_f32_e32 v8, 0x32212c70, v8
	v_sub_f32_e32 v13, v13, v15
	v_fmamk_f32 v17, v1, 0x32a5705f, v17
	v_rcp_f32_e32 v14, v16
	v_log_f32_e32 v12, v12
	v_fma_f32 v5, v3, v8, -v5
	v_div_scale_f32 v18, s0, v10, v1, v10
	v_add_f32_e32 v13, v13, v17
	v_cmp_ngt_f32_e32 vcc_lo, 0xc2ce8ed0, v1
	v_add_f32_e32 v5, 0xb33ee9f1, v5
	v_exp_f32_e32 v13, v13
	v_fma_f32 v17, -v16, v14, 1.0
	v_fma_f32 v8, v3, v5, -v8
	v_fmac_f32_e32 v14, v17, v14
	v_add_f32_e32 v8, 0x34571a26, v8
	v_mul_f32_e32 v17, 0x3f317217, v12
	v_fma_f32 v5, v3, v8, -v5
	v_fma_f32 v17, 0x3f317217, v12, -v17
	v_add_f32_e32 v5, 0xb56603cc, v5
	v_fmamk_f32 v17, v12, 0x3377d1cf, v17
	v_fma_f32 v8, v3, v5, -v8
	v_fmac_f32_e32 v17, 0x3f317217, v12
	v_add_f32_e32 v8, 0x3668e277, v8
	v_fma_f32 v5, v3, v8, -v5
	v_add_f32_e32 v5, 0xb75eafce, v5
	v_fma_f32 v8, v3, v5, -v8
	;; [unrolled: 2-line block ×12, first 2 shown]
	v_cvt_i32_f32_e32 v5, v15
	v_mul_f32_e32 v15, v18, v14
	v_add_f32_e32 v3, 0x3e81531c, v3
	v_ldexp_f32 v5, v13, v5
	v_fma_f32 v13, -v16, v15, v18
	v_sub_f32_e32 v3, v3, v8
	v_cndmask_b32_e32 v5, 0, v5, vcc_lo
	v_cmp_nlt_f32_e32 vcc_lo, 0x42b17218, v1
	v_fmac_f32_e32 v15, v13, v14
	v_mul_f32_e32 v3, 0.5, v3
	v_cndmask_b32_e32 v5, 0x7f800000, v5, vcc_lo
	v_cmp_gt_f32_e64 vcc_lo, 0x7f800000, |v12|
	v_fma_f32 v8, -v16, v15, v18
	v_mul_f32_e32 v3, v1, v3
	v_cndmask_b32_e32 v12, v12, v17, vcc_lo
	s_mov_b32 vcc_lo, s0
	v_mul_f32_e32 v3, v5, v3
	v_div_fmas_f32 v8, v8, v14, v15
	v_sub_f32_e32 v12, v12, v19
	v_div_fixup_f32 v5, v8, v1, v10
                                        ; implicit-def: $vgpr1
	v_fmac_f32_e32 v5, v12, v3
.LBB19_1307:
	s_andn2_saveexec_b32 s5, s5
	s_cbranch_execz .LBB19_1309
; %bb.1308:
	v_div_scale_f32 v3, null, v1, v1, 0x41000000
	v_div_scale_f32 v10, vcc_lo, 0x41000000, v1, 0x41000000
	s_mov_b32 s0, 0xa2d462ea
	v_rcp_f32_e32 v5, v3
	v_fma_f32 v8, -v3, v5, 1.0
	v_fmac_f32_e32 v5, v8, v5
	v_mul_f32_e32 v8, v10, v5
	v_fma_f32 v12, -v3, v8, v10
	v_fmac_f32_e32 v8, v12, v5
	v_mul_f32_e32 v12, 0xbfb8aa3b, v1
	v_fma_f32 v3, -v3, v8, v10
	v_mul_f32_e32 v10, 0x4f800000, v1
	v_rndne_f32_e32 v13, v12
	v_fma_f32 v14, 0xbfb8aa3b, v1, -v12
	v_div_fmas_f32 v3, v3, v5, v8
	v_cmp_gt_f32_e32 vcc_lo, 0xf800000, v1
	v_sub_f32_e32 v12, v12, v13
	v_fmamk_f32 v14, v1, 0xb2a5705f, v14
	v_cvt_i32_f32_e32 v13, v13
	v_div_fixup_f32 v3, v3, v1, 0x41000000
	v_cndmask_b32_e32 v10, v1, v10, vcc_lo
	v_add_f32_e32 v12, v12, v14
	v_add_f32_e32 v3, -2.0, v3
	v_sqrt_f32_e32 v15, v10
	v_exp_f32_e32 v12, v12
	v_fmaak_f32 v5, s0, v3, 0x23a578d4
	v_fmaak_f32 v8, v3, v5, 0x22d462ea
	v_add_nc_u32_e32 v14, -1, v15
	v_add_nc_u32_e32 v16, 1, v15
	v_add_f32_e32 v8, 0xa48330a9, v8
	v_fma_f32 v17, -v14, v15, v10
	v_fma_f32 v18, -v16, v15, v10
	v_fma_f32 v5, v3, v8, -v5
	v_cmp_ge_f32_e64 s0, 0, v17
	v_add_f32_e32 v5, 0x2553eaf2, v5
	v_cndmask_b32_e64 v14, v15, v14, s0
	v_cmp_lt_f32_e64 s0, 0, v18
	v_fma_f32 v8, v3, v5, -v8
	v_add_f32_e32 v8, 0xa62e951f, v8
	v_fma_f32 v5, v3, v8, -v5
	v_add_f32_e32 v5, 0x2712e76f, v5
	;; [unrolled: 2-line block ×20, first 2 shown]
	v_fma_f32 v3, v3, v5, -v8
	v_ldexp_f32 v5, v12, v13
	v_cndmask_b32_e64 v12, v14, v16, s0
	v_cmp_nlt_f32_e64 s0, 0x42ce8ed0, v1
	v_add_f32_e32 v3, 0x402e1ebd, v3
	v_mul_f32_e32 v13, 0x37800000, v12
	v_cndmask_b32_e64 v5, 0, v5, s0
	v_cmp_ngt_f32_e64 s0, 0xc2b17218, v1
	v_sub_f32_e32 v3, v3, v8
	v_cndmask_b32_e64 v1, 0x7f800000, v5, s0
	v_cndmask_b32_e32 v5, v12, v13, vcc_lo
	v_mul_f32_e32 v3, 0.5, v3
	v_cmp_class_f32_e64 vcc_lo, v10, 0x260
	v_mul_f32_e32 v1, v1, v3
	v_cndmask_b32_e32 v5, v5, v10, vcc_lo
	v_div_scale_f32 v3, null, v5, v5, v1
	v_rcp_f32_e32 v8, v3
	v_fma_f32 v10, -v3, v8, 1.0
	v_fmac_f32_e32 v8, v10, v8
	v_div_scale_f32 v10, vcc_lo, v1, v5, v1
	v_mul_f32_e32 v12, v10, v8
	v_fma_f32 v13, -v3, v12, v10
	v_fmac_f32_e32 v12, v13, v8
	v_fma_f32 v3, -v3, v12, v10
	v_div_fmas_f32 v3, v3, v8, v12
	v_div_fixup_f32 v5, v3, v5, v1
.LBB19_1309:
	s_or_b32 exec_lo, exec_lo, s5
.LBB19_1310:
	s_or_b32 exec_lo, exec_lo, s4
.LBB19_1311:
	s_or_b32 exec_lo, exec_lo, s3
	v_add_co_u32 v10, s3, s10, v11
	s_lshr_b32 s0, s2, 16
	v_add_co_ci_u32_e64 v11, null, s11, 0, s3
	s_and_b32 s3, s0, 0xff
	s_cmp_lt_i32 s3, 11
	s_cbranch_scc1 .LBB19_1318
; %bb.1312:
	s_and_b32 s0, 0xffff, s3
	s_mov_b32 s5, 0
	s_cmp_gt_i32 s0, 25
	s_cbranch_scc0 .LBB19_1320
; %bb.1313:
	s_cmp_gt_i32 s0, 28
	s_cbranch_scc0 .LBB19_1321
; %bb.1314:
	;; [unrolled: 3-line block ×4, first 2 shown]
	s_cmp_eq_u32 s0, 46
	s_mov_b32 s7, 0
	s_cbranch_scc0 .LBB19_1327
; %bb.1317:
	global_load_dword v1, v[10:11], off
	s_mov_b32 s4, 0
	s_mov_b32 s6, -1
	s_waitcnt vmcnt(0)
	v_lshlrev_b32_e32 v1, 16, v1
	s_branch .LBB19_1329
.LBB19_1318:
	s_mov_b32 s6, 0
                                        ; implicit-def: $vgpr1
	s_cbranch_execnz .LBB19_1394
.LBB19_1319:
	s_andn2_b32 vcc_lo, exec_lo, s6
	s_cbranch_vccnz .LBB19_1804
	s_branch .LBB19_1441
.LBB19_1320:
	s_mov_b32 s6, 0
	s_mov_b32 s4, 0
                                        ; implicit-def: $vgpr1
	s_cbranch_execnz .LBB19_1358
	s_branch .LBB19_1390
.LBB19_1321:
	s_mov_b32 s7, -1
	s_mov_b32 s6, 0
	s_mov_b32 s4, 0
                                        ; implicit-def: $vgpr1
	s_branch .LBB19_1339
.LBB19_1322:
	s_mov_b32 s7, -1
	s_mov_b32 s6, 0
	s_mov_b32 s4, 0
                                        ; implicit-def: $vgpr1
	s_branch .LBB19_1334
.LBB19_1323:
	s_or_b32 s1, s12, exec_lo
	s_trap 2
	s_cbranch_execz .LBB19_1256
	s_branch .LBB19_1257
.LBB19_1324:
	s_mov_b32 s7, -1
	s_mov_b32 s6, 0
	s_mov_b32 s4, 0
	s_branch .LBB19_1328
.LBB19_1325:
	s_andn2_saveexec_b32 s12, s12
	s_cbranch_execz .LBB19_1046
.LBB19_1326:
	v_add_f32_e64 v0, 0x42800000, |v1|
	s_andn2_b32 s11, s11, exec_lo
	v_and_b32_e32 v0, 0xff, v0
	v_cmp_ne_u32_e32 vcc_lo, 0, v0
	s_and_b32 s13, vcc_lo, exec_lo
	s_or_b32 s11, s11, s13
	s_or_b32 exec_lo, exec_lo, s12
	v_mov_b32_e32 v2, 0
	s_and_saveexec_b32 s12, s11
	s_cbranch_execnz .LBB19_1047
	s_branch .LBB19_1048
.LBB19_1327:
	s_mov_b32 s4, -1
	s_mov_b32 s6, 0
.LBB19_1328:
                                        ; implicit-def: $vgpr1
.LBB19_1329:
	s_and_b32 vcc_lo, exec_lo, s7
	s_cbranch_vccz .LBB19_1333
; %bb.1330:
	s_cmp_eq_u32 s0, 44
	s_cbranch_scc0 .LBB19_1332
; %bb.1331:
	global_load_ubyte v1, v[10:11], off
	s_mov_b32 s4, 0
	s_mov_b32 s6, -1
	s_waitcnt vmcnt(0)
	v_lshlrev_b32_e32 v3, 23, v1
	v_cmp_ne_u32_e32 vcc_lo, 0xff, v1
	v_cndmask_b32_e32 v3, 0x7f800001, v3, vcc_lo
	v_cmp_ne_u32_e32 vcc_lo, 0, v1
	v_cndmask_b32_e32 v1, 0x400000, v3, vcc_lo
	s_branch .LBB19_1333
.LBB19_1332:
	s_mov_b32 s4, -1
                                        ; implicit-def: $vgpr1
.LBB19_1333:
	s_mov_b32 s7, 0
.LBB19_1334:
	s_and_b32 vcc_lo, exec_lo, s7
	s_cbranch_vccz .LBB19_1338
; %bb.1335:
	s_cmp_eq_u32 s0, 29
	s_cbranch_scc0 .LBB19_1337
; %bb.1336:
	global_load_dwordx2 v[12:13], v[10:11], off
	s_mov_b32 s4, 0
	s_mov_b32 s6, -1
	s_mov_b32 s7, 0
	s_waitcnt vmcnt(0)
	v_ffbh_u32_e32 v1, v13
	v_min_u32_e32 v1, 32, v1
	v_lshlrev_b64 v[12:13], v1, v[12:13]
	v_sub_nc_u32_e32 v1, 32, v1
	v_min_u32_e32 v3, 1, v12
	v_or_b32_e32 v3, v13, v3
	v_cvt_f32_u32_e32 v3, v3
	v_ldexp_f32 v1, v3, v1
	s_branch .LBB19_1339
.LBB19_1337:
	s_mov_b32 s4, -1
                                        ; implicit-def: $vgpr1
.LBB19_1338:
	s_mov_b32 s7, 0
.LBB19_1339:
	s_and_b32 vcc_lo, exec_lo, s7
	s_cbranch_vccz .LBB19_1357
; %bb.1340:
	s_cmp_lt_i32 s0, 27
	s_cbranch_scc1 .LBB19_1343
; %bb.1341:
	s_cmp_gt_i32 s0, 27
	s_cbranch_scc0 .LBB19_1344
; %bb.1342:
	global_load_dword v1, v[10:11], off
	s_mov_b32 s6, 0
	s_waitcnt vmcnt(0)
	v_cvt_f32_u32_e32 v1, v1
	s_branch .LBB19_1345
.LBB19_1343:
	s_mov_b32 s6, -1
                                        ; implicit-def: $vgpr1
	s_branch .LBB19_1348
.LBB19_1344:
	s_mov_b32 s6, -1
                                        ; implicit-def: $vgpr1
.LBB19_1345:
	s_andn2_b32 vcc_lo, exec_lo, s6
	s_cbranch_vccnz .LBB19_1347
; %bb.1346:
	global_load_ushort v1, v[10:11], off
	s_waitcnt vmcnt(0)
	v_cvt_f32_u32_e32 v1, v1
.LBB19_1347:
	s_mov_b32 s6, 0
.LBB19_1348:
	s_andn2_b32 vcc_lo, exec_lo, s6
	s_cbranch_vccnz .LBB19_1356
; %bb.1349:
	global_load_ubyte v3, v[10:11], off
	s_mov_b32 s6, 0
	s_mov_b32 s7, exec_lo
	s_waitcnt vmcnt(0)
	v_cmpx_lt_i16_e32 0x7f, v3
	s_xor_b32 s7, exec_lo, s7
	s_cbranch_execz .LBB19_1369
; %bb.1350:
	s_mov_b32 s6, -1
	s_mov_b32 s14, exec_lo
	v_cmpx_eq_u16_e32 0x80, v3
; %bb.1351:
	s_xor_b32 s6, exec_lo, -1
; %bb.1352:
	s_or_b32 exec_lo, exec_lo, s14
	s_and_b32 s6, s6, exec_lo
	s_or_saveexec_b32 s7, s7
	v_mov_b32_e32 v1, 0x7f800001
	s_xor_b32 exec_lo, exec_lo, s7
	s_cbranch_execnz .LBB19_1370
.LBB19_1353:
	s_or_b32 exec_lo, exec_lo, s7
	s_and_saveexec_b32 s7, s6
	s_cbranch_execz .LBB19_1355
.LBB19_1354:
	v_and_b32_e32 v1, 0xffff, v3
	v_lshlrev_b32_e32 v3, 24, v3
	v_and_b32_e32 v8, 7, v1
	v_bfe_u32 v14, v1, 3, 4
	v_and_b32_e32 v3, 0x80000000, v3
	v_ffbh_u32_e32 v12, v8
	v_cmp_eq_u32_e32 vcc_lo, 0, v14
	v_min_u32_e32 v12, 32, v12
	v_subrev_nc_u32_e32 v13, 28, v12
	v_sub_nc_u32_e32 v12, 29, v12
	v_lshlrev_b32_e32 v1, v13, v1
	v_cndmask_b32_e32 v12, v14, v12, vcc_lo
	v_and_b32_e32 v1, 7, v1
	v_cndmask_b32_e32 v1, v8, v1, vcc_lo
	v_lshl_add_u32 v8, v12, 23, 0x3b800000
	v_lshlrev_b32_e32 v1, 20, v1
	v_or3_b32 v1, v3, v8, v1
.LBB19_1355:
	s_or_b32 exec_lo, exec_lo, s7
.LBB19_1356:
	s_mov_b32 s6, -1
.LBB19_1357:
	s_branch .LBB19_1390
.LBB19_1358:
	s_cmp_gt_i32 s0, 22
	s_cbranch_scc0 .LBB19_1368
; %bb.1359:
	s_cmp_lt_i32 s0, 24
	s_cbranch_scc1 .LBB19_1371
; %bb.1360:
	s_cmp_gt_i32 s0, 24
	s_cbranch_scc0 .LBB19_1372
; %bb.1361:
	global_load_ubyte v3, v[10:11], off
	s_mov_b32 s6, exec_lo
	s_waitcnt vmcnt(0)
	v_cmpx_lt_i16_e32 0x7f, v3
	s_xor_b32 s6, exec_lo, s6
	s_cbranch_execz .LBB19_1384
; %bb.1362:
	s_mov_b32 s5, -1
	s_mov_b32 s7, exec_lo
	v_cmpx_eq_u16_e32 0x80, v3
; %bb.1363:
	s_xor_b32 s5, exec_lo, -1
; %bb.1364:
	s_or_b32 exec_lo, exec_lo, s7
	s_and_b32 s5, s5, exec_lo
	s_or_saveexec_b32 s6, s6
	v_mov_b32_e32 v1, 0x7f800001
	s_xor_b32 exec_lo, exec_lo, s6
	s_cbranch_execnz .LBB19_1385
.LBB19_1365:
	s_or_b32 exec_lo, exec_lo, s6
	s_and_saveexec_b32 s6, s5
	s_cbranch_execz .LBB19_1367
.LBB19_1366:
	v_and_b32_e32 v1, 0xffff, v3
	v_lshlrev_b32_e32 v3, 24, v3
	v_and_b32_e32 v8, 3, v1
	v_bfe_u32 v14, v1, 2, 5
	v_and_b32_e32 v3, 0x80000000, v3
	v_ffbh_u32_e32 v12, v8
	v_cmp_eq_u32_e32 vcc_lo, 0, v14
	v_min_u32_e32 v12, 32, v12
	v_subrev_nc_u32_e32 v13, 29, v12
	v_sub_nc_u32_e32 v12, 30, v12
	v_lshlrev_b32_e32 v1, v13, v1
	v_cndmask_b32_e32 v12, v14, v12, vcc_lo
	v_and_b32_e32 v1, 3, v1
	v_cndmask_b32_e32 v1, v8, v1, vcc_lo
	v_lshl_add_u32 v8, v12, 23, 0x37800000
	v_lshlrev_b32_e32 v1, 21, v1
	v_or3_b32 v1, v3, v8, v1
.LBB19_1367:
	s_or_b32 exec_lo, exec_lo, s6
	s_mov_b32 s5, 0
	s_branch .LBB19_1373
.LBB19_1368:
	s_mov_b32 s5, -1
                                        ; implicit-def: $vgpr1
	s_branch .LBB19_1379
.LBB19_1369:
	s_or_saveexec_b32 s7, s7
	v_mov_b32_e32 v1, 0x7f800001
	s_xor_b32 exec_lo, exec_lo, s7
	s_cbranch_execz .LBB19_1353
.LBB19_1370:
	v_cmp_ne_u16_e32 vcc_lo, 0, v3
	v_mov_b32_e32 v1, 0
	s_andn2_b32 s6, s6, exec_lo
	s_and_b32 s14, vcc_lo, exec_lo
	s_or_b32 s6, s6, s14
	s_or_b32 exec_lo, exec_lo, s7
	s_and_saveexec_b32 s7, s6
	s_cbranch_execnz .LBB19_1354
	s_branch .LBB19_1355
.LBB19_1371:
	s_mov_b32 s5, -1
                                        ; implicit-def: $vgpr1
	s_branch .LBB19_1376
.LBB19_1372:
	s_mov_b32 s5, -1
                                        ; implicit-def: $vgpr1
.LBB19_1373:
	s_and_b32 vcc_lo, exec_lo, s5
	s_cbranch_vccz .LBB19_1375
; %bb.1374:
	global_load_ubyte v1, v[10:11], off
	s_waitcnt vmcnt(0)
	v_lshlrev_b32_e32 v1, 24, v1
	v_and_b32_e32 v3, 0x7f000000, v1
	v_ffbh_u32_e32 v8, v3
	v_add_nc_u32_e32 v13, 0x1000000, v3
	v_cmp_ne_u32_e32 vcc_lo, 0, v3
	v_min_u32_e32 v8, 32, v8
	v_sub_nc_u32_e64 v8, v8, 4 clamp
	v_lshlrev_b32_e32 v12, v8, v3
	v_lshlrev_b32_e32 v8, 23, v8
	v_lshrrev_b32_e32 v12, 4, v12
	v_sub_nc_u32_e32 v8, v12, v8
	v_ashrrev_i32_e32 v12, 8, v13
	v_add_nc_u32_e32 v8, 0x3c000000, v8
	v_and_or_b32 v8, 0x7f800000, v12, v8
	v_cndmask_b32_e32 v3, 0, v8, vcc_lo
	v_and_or_b32 v1, 0x80000000, v1, v3
.LBB19_1375:
	s_mov_b32 s5, 0
.LBB19_1376:
	s_andn2_b32 vcc_lo, exec_lo, s5
	s_cbranch_vccnz .LBB19_1378
; %bb.1377:
	global_load_ubyte v1, v[10:11], off
	s_waitcnt vmcnt(0)
	v_lshlrev_b32_e32 v3, 25, v1
	v_lshlrev_b16 v1, 8, v1
	v_lshrrev_b32_e32 v8, 4, v3
	v_and_or_b32 v12, 0x7f00, v1, 0.5
	v_cmp_gt_u32_e32 vcc_lo, 0x8000000, v3
	v_bfe_i32 v1, v1, 0, 16
	v_or_b32_e32 v8, 0x70000000, v8
	v_add_f32_e32 v12, -0.5, v12
	v_mul_f32_e32 v8, 0x7800000, v8
	v_cndmask_b32_e32 v3, v8, v12, vcc_lo
	v_and_or_b32 v1, 0x80000000, v1, v3
.LBB19_1378:
	s_mov_b32 s5, 0
	s_mov_b32 s6, -1
.LBB19_1379:
	s_andn2_b32 vcc_lo, exec_lo, s5
	s_mov_b32 s5, 0
	s_cbranch_vccnz .LBB19_1390
; %bb.1380:
	s_cmp_gt_i32 s0, 14
	s_cbranch_scc0 .LBB19_1383
; %bb.1381:
	s_cmp_eq_u32 s0, 15
	s_cbranch_scc0 .LBB19_1386
; %bb.1382:
	global_load_ushort v1, v[10:11], off
	s_mov_b32 s4, 0
	s_mov_b32 s6, -1
	s_waitcnt vmcnt(0)
	v_lshlrev_b32_e32 v1, 16, v1
	s_branch .LBB19_1388
.LBB19_1383:
	s_mov_b32 s5, -1
	s_branch .LBB19_1387
.LBB19_1384:
	s_or_saveexec_b32 s6, s6
	v_mov_b32_e32 v1, 0x7f800001
	s_xor_b32 exec_lo, exec_lo, s6
	s_cbranch_execz .LBB19_1365
.LBB19_1385:
	v_cmp_ne_u16_e32 vcc_lo, 0, v3
	v_mov_b32_e32 v1, 0
	s_andn2_b32 s5, s5, exec_lo
	s_and_b32 s7, vcc_lo, exec_lo
	s_or_b32 s5, s5, s7
	s_or_b32 exec_lo, exec_lo, s6
	s_and_saveexec_b32 s6, s5
	s_cbranch_execnz .LBB19_1366
	s_branch .LBB19_1367
.LBB19_1386:
	s_mov_b32 s4, -1
.LBB19_1387:
                                        ; implicit-def: $vgpr1
.LBB19_1388:
	s_and_b32 vcc_lo, exec_lo, s5
	s_mov_b32 s5, 0
	s_cbranch_vccz .LBB19_1390
; %bb.1389:
	s_cmp_lg_u32 s0, 11
	s_mov_b32 s5, -1
	s_cselect_b32 s4, -1, 0
.LBB19_1390:
	s_and_b32 vcc_lo, exec_lo, s4
	s_cbranch_vccnz .LBB19_1461
; %bb.1391:
	s_andn2_b32 vcc_lo, exec_lo, s5
	s_cbranch_vccnz .LBB19_1393
.LBB19_1392:
	global_load_ubyte v1, v[10:11], off
	s_mov_b32 s6, -1
	s_waitcnt vmcnt(0)
	v_cmp_ne_u16_e32 vcc_lo, 0, v1
	v_cndmask_b32_e64 v1, 0, 1.0, vcc_lo
.LBB19_1393:
	s_branch .LBB19_1319
.LBB19_1394:
	s_and_b32 s0, 0xffff, s3
	s_cmp_lt_i32 s0, 5
	s_cbranch_scc1 .LBB19_1399
; %bb.1395:
	s_cmp_lt_i32 s0, 8
	s_cbranch_scc1 .LBB19_1400
; %bb.1396:
	;; [unrolled: 3-line block ×3, first 2 shown]
	s_cmp_gt_i32 s0, 9
	s_cbranch_scc0 .LBB19_1402
; %bb.1398:
	global_load_dwordx2 v[12:13], v[10:11], off
	s_mov_b32 s4, 0
	s_waitcnt vmcnt(0)
	v_cvt_f32_f64_e32 v1, v[12:13]
	s_branch .LBB19_1403
.LBB19_1399:
                                        ; implicit-def: $vgpr1
	s_branch .LBB19_1421
.LBB19_1400:
	s_mov_b32 s4, -1
                                        ; implicit-def: $vgpr1
	s_branch .LBB19_1409
.LBB19_1401:
	s_mov_b32 s4, -1
                                        ; implicit-def: $vgpr1
	s_branch .LBB19_1406
.LBB19_1402:
	s_mov_b32 s4, -1
                                        ; implicit-def: $vgpr1
.LBB19_1403:
	s_andn2_b32 vcc_lo, exec_lo, s4
	s_cbranch_vccnz .LBB19_1405
; %bb.1404:
	global_load_dword v1, v[10:11], off
.LBB19_1405:
	s_mov_b32 s4, 0
.LBB19_1406:
	s_andn2_b32 vcc_lo, exec_lo, s4
	s_cbranch_vccnz .LBB19_1408
; %bb.1407:
	global_load_dword v1, v[10:11], off
	s_waitcnt vmcnt(0)
	v_cvt_f32_f16_e32 v1, v1
.LBB19_1408:
	s_mov_b32 s4, 0
.LBB19_1409:
	s_andn2_b32 vcc_lo, exec_lo, s4
	s_cbranch_vccnz .LBB19_1420
; %bb.1410:
	s_cmp_lt_i32 s0, 6
	s_cbranch_scc1 .LBB19_1413
; %bb.1411:
	s_cmp_gt_i32 s0, 6
	s_cbranch_scc0 .LBB19_1414
; %bb.1412:
	global_load_dwordx2 v[12:13], v[10:11], off
	s_mov_b32 s4, 0
	s_waitcnt vmcnt(0)
	v_cvt_f32_f64_e32 v1, v[12:13]
	s_branch .LBB19_1415
.LBB19_1413:
	s_mov_b32 s4, -1
                                        ; implicit-def: $vgpr1
	s_branch .LBB19_1418
.LBB19_1414:
	s_mov_b32 s4, -1
                                        ; implicit-def: $vgpr1
.LBB19_1415:
	s_andn2_b32 vcc_lo, exec_lo, s4
	s_cbranch_vccnz .LBB19_1417
; %bb.1416:
	global_load_dword v1, v[10:11], off
.LBB19_1417:
	s_mov_b32 s4, 0
.LBB19_1418:
	s_andn2_b32 vcc_lo, exec_lo, s4
	s_cbranch_vccnz .LBB19_1420
; %bb.1419:
	global_load_ushort v1, v[10:11], off
	s_waitcnt vmcnt(0)
	v_cvt_f32_f16_e32 v1, v1
.LBB19_1420:
	s_cbranch_execnz .LBB19_1440
.LBB19_1421:
	s_cmp_lt_i32 s0, 2
	s_cbranch_scc1 .LBB19_1425
; %bb.1422:
	s_cmp_lt_i32 s0, 3
	s_cbranch_scc1 .LBB19_1426
; %bb.1423:
	s_cmp_gt_i32 s0, 3
	s_cbranch_scc0 .LBB19_1427
; %bb.1424:
	global_load_dwordx2 v[12:13], v[10:11], off
	s_mov_b32 s4, 0
	s_waitcnt vmcnt(0)
	v_xor_b32_e32 v1, v12, v13
	v_ffbh_i32_e32 v3, v13
	v_ashrrev_i32_e32 v1, 31, v1
	v_add_nc_u32_e32 v3, -1, v3
	v_add_nc_u32_e32 v1, 32, v1
	v_min_u32_e32 v1, v3, v1
	v_lshlrev_b64 v[12:13], v1, v[12:13]
	v_sub_nc_u32_e32 v1, 32, v1
	v_min_u32_e32 v3, 1, v12
	v_or_b32_e32 v3, v13, v3
	v_cvt_f32_i32_e32 v3, v3
	v_ldexp_f32 v1, v3, v1
	s_branch .LBB19_1428
.LBB19_1425:
	s_mov_b32 s4, -1
                                        ; implicit-def: $vgpr1
	s_branch .LBB19_1434
.LBB19_1426:
	s_mov_b32 s4, -1
                                        ; implicit-def: $vgpr1
	s_branch .LBB19_1431
.LBB19_1427:
	s_mov_b32 s4, -1
                                        ; implicit-def: $vgpr1
.LBB19_1428:
	s_andn2_b32 vcc_lo, exec_lo, s4
	s_cbranch_vccnz .LBB19_1430
; %bb.1429:
	global_load_dword v1, v[10:11], off
	s_waitcnt vmcnt(0)
	v_cvt_f32_i32_e32 v1, v1
.LBB19_1430:
	s_mov_b32 s4, 0
.LBB19_1431:
	s_andn2_b32 vcc_lo, exec_lo, s4
	s_cbranch_vccnz .LBB19_1433
; %bb.1432:
	global_load_sshort v1, v[10:11], off
	s_waitcnt vmcnt(0)
	v_cvt_f32_i32_e32 v1, v1
.LBB19_1433:
	s_mov_b32 s4, 0
.LBB19_1434:
	s_andn2_b32 vcc_lo, exec_lo, s4
	s_cbranch_vccnz .LBB19_1440
; %bb.1435:
	s_cmp_gt_i32 s0, 0
	s_mov_b32 s0, 0
	s_cbranch_scc0 .LBB19_1437
; %bb.1436:
	global_load_sbyte v1, v[10:11], off
	s_waitcnt vmcnt(0)
	v_cvt_f32_i32_e32 v1, v1
	s_branch .LBB19_1438
.LBB19_1437:
	s_mov_b32 s0, -1
                                        ; implicit-def: $vgpr1
.LBB19_1438:
	s_andn2_b32 vcc_lo, exec_lo, s0
	s_cbranch_vccnz .LBB19_1440
; %bb.1439:
	global_load_ubyte v1, v[10:11], off
	s_waitcnt vmcnt(0)
	v_cvt_f32_ubyte0_e32 v1, v1
.LBB19_1440:
.LBB19_1441:
	v_mov_b32_e32 v3, 0x7f800000
	s_mov_b32 s4, exec_lo
	s_waitcnt vmcnt(0)
	v_cmpx_neq_f32_e32 0, v1
	s_cbranch_execz .LBB19_1449
; %bb.1442:
	v_mov_b32_e32 v3, 0x7fc00000
	s_mov_b32 s5, exec_lo
	v_cmpx_ngt_f32_e32 0, v1
	s_cbranch_execz .LBB19_1448
; %bb.1443:
                                        ; implicit-def: $vgpr3
	s_mov_b32 s0, exec_lo
	v_cmpx_ge_f32_e32 2.0, v1
	s_xor_b32 s6, exec_lo, s0
	s_cbranch_execz .LBB19_1445
; %bb.1444:
	v_fma_f32 v3, v1, 0.5, -2.0
	s_mov_b32 s0, 0x224cf950
	v_fma_f32 v11, v1, v1, -2.0
	v_fmaak_f32 v8, s0, v3, 0xa3c2be86
	s_mov_b32 s0, 0xa3019142
	v_fmaak_f32 v12, s0, v11, 0xa72eea8c
	v_fmaak_f32 v10, v3, v8, 0xa24cf950
	;; [unrolled: 1-line block ×3, first 2 shown]
	v_add_f32_e32 v10, 0x25331f1f, v10
	v_add_f32_e32 v13, 0xab3ba817, v13
	v_fma_f32 v8, v3, v10, -v8
	v_fma_f32 v12, v11, v13, -v12
	v_add_f32_e32 v8, 0xa69f5554, v8
	v_add_f32_e32 v12, 0xaf1b31de, v12
	v_fma_f32 v10, v3, v8, -v10
	v_fma_f32 v13, v11, v12, -v13
	;; [unrolled: 4-line block ×8, first 2 shown]
	v_mul_f32_e32 v12, 0.5, v1
	v_add_f32_e32 v10, 0x2fc751a6, v10
	v_add_f32_e32 v11, 0x3fc33d0a, v11
	v_cmp_gt_f32_e32 vcc_lo, 0x800000, v12
	v_fma_f32 v8, v3, v10, -v8
	v_sub_f32_e32 v11, v11, v13
	v_mul_f32_e32 v13, 0x3fb8aa3b, v1
	v_add_f32_e32 v8, 0xb101b0d9, v8
	v_cndmask_b32_e64 v14, 0, 32, vcc_lo
	v_cndmask_b32_e64 v19, 0, 0x41b17218, vcc_lo
	v_mul_f32_e32 v11, 0.5, v11
	v_rndne_f32_e32 v15, v13
	v_fma_f32 v10, v3, v8, -v10
	v_fma_f32 v17, 0x3fb8aa3b, v1, -v13
	v_ldexp_f32 v12, v12, v14
	v_div_scale_f32 v16, null, v1, v1, v11
	v_add_f32_e32 v10, 0x32212c70, v10
	v_sub_f32_e32 v13, v13, v15
	v_fmamk_f32 v17, v1, 0x32a5705f, v17
	v_rcp_f32_e32 v14, v16
	v_log_f32_e32 v12, v12
	v_fma_f32 v8, v3, v10, -v8
	v_div_scale_f32 v18, s0, v11, v1, v11
	v_add_f32_e32 v13, v13, v17
	v_cmp_ngt_f32_e32 vcc_lo, 0xc2ce8ed0, v1
	v_add_f32_e32 v8, 0xb33ee9f1, v8
	v_exp_f32_e32 v13, v13
	v_fma_f32 v17, -v16, v14, 1.0
	v_fma_f32 v10, v3, v8, -v10
	v_fmac_f32_e32 v14, v17, v14
	v_add_f32_e32 v10, 0x34571a26, v10
	v_mul_f32_e32 v17, 0x3f317217, v12
	v_fma_f32 v8, v3, v10, -v8
	v_fma_f32 v17, 0x3f317217, v12, -v17
	v_add_f32_e32 v8, 0xb56603cc, v8
	v_fmamk_f32 v17, v12, 0x3377d1cf, v17
	v_fma_f32 v10, v3, v8, -v10
	v_fmac_f32_e32 v17, 0x3f317217, v12
	v_add_f32_e32 v10, 0x3668e277, v10
	v_fma_f32 v8, v3, v10, -v8
	v_add_f32_e32 v8, 0xb75eafce, v8
	v_fma_f32 v10, v3, v8, -v10
	;; [unrolled: 2-line block ×12, first 2 shown]
	v_cvt_i32_f32_e32 v8, v15
	v_mul_f32_e32 v15, v18, v14
	v_add_f32_e32 v3, 0x3e81531c, v3
	v_ldexp_f32 v8, v13, v8
	v_fma_f32 v13, -v16, v15, v18
	v_sub_f32_e32 v3, v3, v10
	v_cndmask_b32_e32 v8, 0, v8, vcc_lo
	v_cmp_nlt_f32_e32 vcc_lo, 0x42b17218, v1
	v_fmac_f32_e32 v15, v13, v14
	v_mul_f32_e32 v3, 0.5, v3
	v_cndmask_b32_e32 v8, 0x7f800000, v8, vcc_lo
	v_cmp_gt_f32_e64 vcc_lo, 0x7f800000, |v12|
	v_fma_f32 v10, -v16, v15, v18
	v_mul_f32_e32 v3, v1, v3
	v_cndmask_b32_e32 v12, v12, v17, vcc_lo
	s_mov_b32 vcc_lo, s0
	v_mul_f32_e32 v8, v8, v3
	v_div_fmas_f32 v10, v10, v14, v15
	v_sub_f32_e32 v12, v12, v19
	v_div_fixup_f32 v3, v10, v1, v11
                                        ; implicit-def: $vgpr1
	v_fmac_f32_e32 v3, v12, v8
.LBB19_1445:
	s_andn2_saveexec_b32 s6, s6
	s_cbranch_execz .LBB19_1447
; %bb.1446:
	v_div_scale_f32 v3, null, v1, v1, 0x41000000
	v_div_scale_f32 v11, vcc_lo, 0x41000000, v1, 0x41000000
	s_mov_b32 s0, 0xa2d462ea
	v_rcp_f32_e32 v8, v3
	v_fma_f32 v10, -v3, v8, 1.0
	v_fmac_f32_e32 v8, v10, v8
	v_mul_f32_e32 v10, v11, v8
	v_fma_f32 v12, -v3, v10, v11
	v_fmac_f32_e32 v10, v12, v8
	v_mul_f32_e32 v12, 0xbfb8aa3b, v1
	v_fma_f32 v3, -v3, v10, v11
	v_mul_f32_e32 v11, 0x4f800000, v1
	v_rndne_f32_e32 v13, v12
	v_fma_f32 v14, 0xbfb8aa3b, v1, -v12
	v_div_fmas_f32 v3, v3, v8, v10
	v_cmp_gt_f32_e32 vcc_lo, 0xf800000, v1
	v_sub_f32_e32 v12, v12, v13
	v_fmamk_f32 v14, v1, 0xb2a5705f, v14
	v_cvt_i32_f32_e32 v13, v13
	v_div_fixup_f32 v3, v3, v1, 0x41000000
	v_cndmask_b32_e32 v11, v1, v11, vcc_lo
	v_add_f32_e32 v12, v12, v14
	v_add_f32_e32 v3, -2.0, v3
	v_sqrt_f32_e32 v15, v11
	v_exp_f32_e32 v12, v12
	v_fmaak_f32 v8, s0, v3, 0x23a578d4
	v_fmaak_f32 v10, v3, v8, 0x22d462ea
	v_add_nc_u32_e32 v14, -1, v15
	v_add_nc_u32_e32 v16, 1, v15
	v_add_f32_e32 v10, 0xa48330a9, v10
	v_fma_f32 v17, -v14, v15, v11
	v_fma_f32 v18, -v16, v15, v11
	v_fma_f32 v8, v3, v10, -v8
	v_cmp_ge_f32_e64 s0, 0, v17
	v_add_f32_e32 v8, 0x2553eaf2, v8
	v_cndmask_b32_e64 v14, v15, v14, s0
	v_cmp_lt_f32_e64 s0, 0, v18
	v_fma_f32 v10, v3, v8, -v10
	v_add_f32_e32 v10, 0xa62e951f, v10
	v_fma_f32 v8, v3, v10, -v8
	v_add_f32_e32 v8, 0x2712e76f, v8
	;; [unrolled: 2-line block ×20, first 2 shown]
	v_fma_f32 v3, v3, v8, -v10
	v_ldexp_f32 v8, v12, v13
	v_cndmask_b32_e64 v12, v14, v16, s0
	v_cmp_nlt_f32_e64 s0, 0x42ce8ed0, v1
	v_add_f32_e32 v3, 0x402e1ebd, v3
	v_mul_f32_e32 v13, 0x37800000, v12
	v_cndmask_b32_e64 v8, 0, v8, s0
	v_cmp_ngt_f32_e64 s0, 0xc2b17218, v1
	v_sub_f32_e32 v3, v3, v10
	v_cndmask_b32_e64 v1, 0x7f800000, v8, s0
	v_cndmask_b32_e32 v8, v12, v13, vcc_lo
	v_mul_f32_e32 v3, 0.5, v3
	v_cmp_class_f32_e64 vcc_lo, v11, 0x260
	v_mul_f32_e32 v1, v1, v3
	v_cndmask_b32_e32 v8, v8, v11, vcc_lo
	v_div_scale_f32 v3, null, v8, v8, v1
	v_rcp_f32_e32 v10, v3
	v_fma_f32 v11, -v3, v10, 1.0
	v_fmac_f32_e32 v10, v11, v10
	v_div_scale_f32 v11, vcc_lo, v1, v8, v1
	v_mul_f32_e32 v12, v11, v10
	v_fma_f32 v13, -v3, v12, v11
	v_fmac_f32_e32 v12, v13, v10
	v_fma_f32 v3, -v3, v12, v11
	v_div_fmas_f32 v3, v3, v10, v12
	v_div_fixup_f32 v3, v3, v8, v1
.LBB19_1447:
	s_or_b32 exec_lo, exec_lo, s6
.LBB19_1448:
	s_or_b32 exec_lo, exec_lo, s5
.LBB19_1449:
	s_or_b32 exec_lo, exec_lo, s4
	v_add_co_u32 v8, s0, s10, v9
	v_add_co_ci_u32_e64 v9, null, s11, 0, s0
	s_cmp_lt_i32 s3, 11
	s_cbranch_scc1 .LBB19_1456
; %bb.1450:
	s_and_b32 s0, 0xffff, s3
	s_mov_b32 s5, 0
	s_cmp_gt_i32 s0, 25
	s_cbranch_scc0 .LBB19_1458
; %bb.1451:
	s_cmp_gt_i32 s0, 28
	s_cbranch_scc0 .LBB19_1459
; %bb.1452:
	;; [unrolled: 3-line block ×4, first 2 shown]
	s_cmp_eq_u32 s0, 46
	s_mov_b32 s7, 0
	s_cbranch_scc0 .LBB19_1463
; %bb.1455:
	global_load_dword v1, v[8:9], off
	s_mov_b32 s4, 0
	s_mov_b32 s6, -1
	s_waitcnt vmcnt(0)
	v_lshlrev_b32_e32 v10, 16, v1
	s_branch .LBB19_1465
.LBB19_1456:
	s_mov_b32 s6, 0
                                        ; implicit-def: $vgpr10
	s_cbranch_execnz .LBB19_1531
.LBB19_1457:
	s_andn2_b32 vcc_lo, exec_lo, s6
	s_cbranch_vccnz .LBB19_1804
	s_branch .LBB19_1579
.LBB19_1458:
	s_mov_b32 s7, -1
	s_mov_b32 s6, 0
	s_mov_b32 s4, 0
                                        ; implicit-def: $vgpr10
	s_branch .LBB19_1494
.LBB19_1459:
	s_mov_b32 s7, -1
	s_mov_b32 s6, 0
	s_mov_b32 s4, 0
                                        ; implicit-def: $vgpr10
	s_branch .LBB19_1475
.LBB19_1460:
	s_mov_b32 s7, -1
	s_mov_b32 s6, 0
	s_mov_b32 s4, 0
                                        ; implicit-def: $vgpr10
	s_branch .LBB19_1470
.LBB19_1461:
	s_or_b32 s1, s1, exec_lo
	s_trap 2
	s_cbranch_execz .LBB19_1392
	s_branch .LBB19_1393
.LBB19_1462:
	s_mov_b32 s7, -1
	s_mov_b32 s6, 0
	s_mov_b32 s4, 0
	s_branch .LBB19_1464
.LBB19_1463:
	s_mov_b32 s4, -1
	s_mov_b32 s6, 0
.LBB19_1464:
                                        ; implicit-def: $vgpr10
.LBB19_1465:
	s_and_b32 vcc_lo, exec_lo, s7
	s_cbranch_vccz .LBB19_1469
; %bb.1466:
	s_cmp_eq_u32 s0, 44
	s_cbranch_scc0 .LBB19_1468
; %bb.1467:
	global_load_ubyte v1, v[8:9], off
	s_mov_b32 s4, 0
	s_mov_b32 s6, -1
	s_waitcnt vmcnt(0)
	v_lshlrev_b32_e32 v10, 23, v1
	v_cmp_ne_u32_e32 vcc_lo, 0xff, v1
	v_cndmask_b32_e32 v10, 0x7f800001, v10, vcc_lo
	v_cmp_ne_u32_e32 vcc_lo, 0, v1
	v_cndmask_b32_e32 v10, 0x400000, v10, vcc_lo
	s_branch .LBB19_1469
.LBB19_1468:
	s_mov_b32 s4, -1
                                        ; implicit-def: $vgpr10
.LBB19_1469:
	s_mov_b32 s7, 0
.LBB19_1470:
	s_and_b32 vcc_lo, exec_lo, s7
	s_cbranch_vccz .LBB19_1474
; %bb.1471:
	s_cmp_eq_u32 s0, 29
	s_cbranch_scc0 .LBB19_1473
; %bb.1472:
	global_load_dwordx2 v[10:11], v[8:9], off
	s_mov_b32 s4, 0
	s_mov_b32 s6, -1
	s_mov_b32 s7, 0
	s_waitcnt vmcnt(0)
	v_ffbh_u32_e32 v1, v11
	v_min_u32_e32 v1, 32, v1
	v_lshlrev_b64 v[10:11], v1, v[10:11]
	v_sub_nc_u32_e32 v1, 32, v1
	v_min_u32_e32 v10, 1, v10
	v_or_b32_e32 v10, v11, v10
	v_cvt_f32_u32_e32 v10, v10
	v_ldexp_f32 v10, v10, v1
	s_branch .LBB19_1475
.LBB19_1473:
	s_mov_b32 s4, -1
                                        ; implicit-def: $vgpr10
.LBB19_1474:
	s_mov_b32 s7, 0
.LBB19_1475:
	s_and_b32 vcc_lo, exec_lo, s7
	s_cbranch_vccz .LBB19_1493
; %bb.1476:
	s_cmp_lt_i32 s0, 27
	s_cbranch_scc1 .LBB19_1479
; %bb.1477:
	s_cmp_gt_i32 s0, 27
	s_cbranch_scc0 .LBB19_1480
; %bb.1478:
	global_load_dword v1, v[8:9], off
	s_mov_b32 s6, 0
	s_waitcnt vmcnt(0)
	v_cvt_f32_u32_e32 v10, v1
	s_branch .LBB19_1481
.LBB19_1479:
	s_mov_b32 s6, -1
                                        ; implicit-def: $vgpr10
	s_branch .LBB19_1484
.LBB19_1480:
	s_mov_b32 s6, -1
                                        ; implicit-def: $vgpr10
.LBB19_1481:
	s_andn2_b32 vcc_lo, exec_lo, s6
	s_cbranch_vccnz .LBB19_1483
; %bb.1482:
	global_load_ushort v1, v[8:9], off
	s_waitcnt vmcnt(0)
	v_cvt_f32_u32_e32 v10, v1
.LBB19_1483:
	s_mov_b32 s6, 0
.LBB19_1484:
	s_andn2_b32 vcc_lo, exec_lo, s6
	s_cbranch_vccnz .LBB19_1492
; %bb.1485:
	global_load_ubyte v1, v[8:9], off
	s_mov_b32 s6, 0
	s_mov_b32 s7, exec_lo
	s_waitcnt vmcnt(0)
	v_cmpx_lt_i16_e32 0x7f, v1
	s_xor_b32 s7, exec_lo, s7
	s_cbranch_execz .LBB19_1506
; %bb.1486:
	s_mov_b32 s6, -1
	s_mov_b32 s14, exec_lo
	v_cmpx_eq_u16_e32 0x80, v1
; %bb.1487:
	s_xor_b32 s6, exec_lo, -1
; %bb.1488:
	s_or_b32 exec_lo, exec_lo, s14
	s_and_b32 s6, s6, exec_lo
	s_or_saveexec_b32 s7, s7
	v_mov_b32_e32 v10, 0x7f800001
	s_xor_b32 exec_lo, exec_lo, s7
	s_cbranch_execnz .LBB19_1507
.LBB19_1489:
	s_or_b32 exec_lo, exec_lo, s7
	s_and_saveexec_b32 s7, s6
	s_cbranch_execz .LBB19_1491
.LBB19_1490:
	v_and_b32_e32 v10, 0xffff, v1
	v_lshlrev_b32_e32 v1, 24, v1
	v_and_b32_e32 v11, 7, v10
	v_bfe_u32 v14, v10, 3, 4
	v_and_b32_e32 v1, 0x80000000, v1
	v_ffbh_u32_e32 v12, v11
	v_cmp_eq_u32_e32 vcc_lo, 0, v14
	v_min_u32_e32 v12, 32, v12
	v_subrev_nc_u32_e32 v13, 28, v12
	v_sub_nc_u32_e32 v12, 29, v12
	v_lshlrev_b32_e32 v10, v13, v10
	v_cndmask_b32_e32 v12, v14, v12, vcc_lo
	v_and_b32_e32 v10, 7, v10
	v_cndmask_b32_e32 v10, v11, v10, vcc_lo
	v_lshl_add_u32 v11, v12, 23, 0x3b800000
	v_lshlrev_b32_e32 v10, 20, v10
	v_or3_b32 v10, v1, v11, v10
.LBB19_1491:
	s_or_b32 exec_lo, exec_lo, s7
.LBB19_1492:
	s_mov_b32 s6, -1
.LBB19_1493:
	s_mov_b32 s7, 0
.LBB19_1494:
	s_and_b32 vcc_lo, exec_lo, s7
	s_cbranch_vccz .LBB19_1527
; %bb.1495:
	s_cmp_gt_i32 s0, 22
	s_cbranch_scc0 .LBB19_1505
; %bb.1496:
	s_cmp_lt_i32 s0, 24
	s_cbranch_scc1 .LBB19_1508
; %bb.1497:
	s_cmp_gt_i32 s0, 24
	s_cbranch_scc0 .LBB19_1509
; %bb.1498:
	global_load_ubyte v1, v[8:9], off
	s_mov_b32 s6, exec_lo
	s_waitcnt vmcnt(0)
	v_cmpx_lt_i16_e32 0x7f, v1
	s_xor_b32 s6, exec_lo, s6
	s_cbranch_execz .LBB19_1521
; %bb.1499:
	s_mov_b32 s5, -1
	s_mov_b32 s7, exec_lo
	v_cmpx_eq_u16_e32 0x80, v1
; %bb.1500:
	s_xor_b32 s5, exec_lo, -1
; %bb.1501:
	s_or_b32 exec_lo, exec_lo, s7
	s_and_b32 s5, s5, exec_lo
	s_or_saveexec_b32 s6, s6
	v_mov_b32_e32 v10, 0x7f800001
	s_xor_b32 exec_lo, exec_lo, s6
	s_cbranch_execnz .LBB19_1522
.LBB19_1502:
	s_or_b32 exec_lo, exec_lo, s6
	s_and_saveexec_b32 s6, s5
	s_cbranch_execz .LBB19_1504
.LBB19_1503:
	v_and_b32_e32 v10, 0xffff, v1
	v_lshlrev_b32_e32 v1, 24, v1
	v_and_b32_e32 v11, 3, v10
	v_bfe_u32 v14, v10, 2, 5
	v_and_b32_e32 v1, 0x80000000, v1
	v_ffbh_u32_e32 v12, v11
	v_cmp_eq_u32_e32 vcc_lo, 0, v14
	v_min_u32_e32 v12, 32, v12
	v_subrev_nc_u32_e32 v13, 29, v12
	v_sub_nc_u32_e32 v12, 30, v12
	v_lshlrev_b32_e32 v10, v13, v10
	v_cndmask_b32_e32 v12, v14, v12, vcc_lo
	v_and_b32_e32 v10, 3, v10
	v_cndmask_b32_e32 v10, v11, v10, vcc_lo
	v_lshl_add_u32 v11, v12, 23, 0x37800000
	v_lshlrev_b32_e32 v10, 21, v10
	v_or3_b32 v10, v1, v11, v10
.LBB19_1504:
	s_or_b32 exec_lo, exec_lo, s6
	s_mov_b32 s5, 0
	s_branch .LBB19_1510
.LBB19_1505:
	s_mov_b32 s5, -1
                                        ; implicit-def: $vgpr10
	s_branch .LBB19_1516
.LBB19_1506:
	s_or_saveexec_b32 s7, s7
	v_mov_b32_e32 v10, 0x7f800001
	s_xor_b32 exec_lo, exec_lo, s7
	s_cbranch_execz .LBB19_1489
.LBB19_1507:
	v_cmp_ne_u16_e32 vcc_lo, 0, v1
	v_mov_b32_e32 v10, 0
	s_andn2_b32 s6, s6, exec_lo
	s_and_b32 s14, vcc_lo, exec_lo
	s_or_b32 s6, s6, s14
	s_or_b32 exec_lo, exec_lo, s7
	s_and_saveexec_b32 s7, s6
	s_cbranch_execnz .LBB19_1490
	s_branch .LBB19_1491
.LBB19_1508:
	s_mov_b32 s5, -1
                                        ; implicit-def: $vgpr10
	s_branch .LBB19_1513
.LBB19_1509:
	s_mov_b32 s5, -1
                                        ; implicit-def: $vgpr10
.LBB19_1510:
	s_and_b32 vcc_lo, exec_lo, s5
	s_cbranch_vccz .LBB19_1512
; %bb.1511:
	global_load_ubyte v1, v[8:9], off
	s_waitcnt vmcnt(0)
	v_lshlrev_b32_e32 v1, 24, v1
	v_and_b32_e32 v10, 0x7f000000, v1
	v_ffbh_u32_e32 v11, v10
	v_add_nc_u32_e32 v13, 0x1000000, v10
	v_cmp_ne_u32_e32 vcc_lo, 0, v10
	v_min_u32_e32 v11, 32, v11
	v_sub_nc_u32_e64 v11, v11, 4 clamp
	v_lshlrev_b32_e32 v12, v11, v10
	v_lshlrev_b32_e32 v11, 23, v11
	v_lshrrev_b32_e32 v12, 4, v12
	v_sub_nc_u32_e32 v11, v12, v11
	v_ashrrev_i32_e32 v12, 8, v13
	v_add_nc_u32_e32 v11, 0x3c000000, v11
	v_and_or_b32 v11, 0x7f800000, v12, v11
	v_cndmask_b32_e32 v10, 0, v11, vcc_lo
	v_and_or_b32 v10, 0x80000000, v1, v10
.LBB19_1512:
	s_mov_b32 s5, 0
.LBB19_1513:
	s_andn2_b32 vcc_lo, exec_lo, s5
	s_cbranch_vccnz .LBB19_1515
; %bb.1514:
	global_load_ubyte v1, v[8:9], off
	s_waitcnt vmcnt(0)
	v_lshlrev_b32_e32 v10, 25, v1
	v_lshlrev_b16 v1, 8, v1
	v_lshrrev_b32_e32 v11, 4, v10
	v_and_or_b32 v12, 0x7f00, v1, 0.5
	v_cmp_gt_u32_e32 vcc_lo, 0x8000000, v10
	v_bfe_i32 v1, v1, 0, 16
	v_or_b32_e32 v11, 0x70000000, v11
	v_add_f32_e32 v12, -0.5, v12
	v_mul_f32_e32 v11, 0x7800000, v11
	v_cndmask_b32_e32 v10, v11, v12, vcc_lo
	v_and_or_b32 v10, 0x80000000, v1, v10
.LBB19_1515:
	s_mov_b32 s5, 0
	s_mov_b32 s6, -1
.LBB19_1516:
	s_andn2_b32 vcc_lo, exec_lo, s5
	s_mov_b32 s5, 0
	s_cbranch_vccnz .LBB19_1527
; %bb.1517:
	s_cmp_gt_i32 s0, 14
	s_cbranch_scc0 .LBB19_1520
; %bb.1518:
	s_cmp_eq_u32 s0, 15
	s_cbranch_scc0 .LBB19_1523
; %bb.1519:
	global_load_ushort v1, v[8:9], off
	s_mov_b32 s4, 0
	s_mov_b32 s6, -1
	s_waitcnt vmcnt(0)
	v_lshlrev_b32_e32 v10, 16, v1
	s_branch .LBB19_1525
.LBB19_1520:
	s_mov_b32 s5, -1
	s_branch .LBB19_1524
.LBB19_1521:
	s_or_saveexec_b32 s6, s6
	v_mov_b32_e32 v10, 0x7f800001
	s_xor_b32 exec_lo, exec_lo, s6
	s_cbranch_execz .LBB19_1502
.LBB19_1522:
	v_cmp_ne_u16_e32 vcc_lo, 0, v1
	v_mov_b32_e32 v10, 0
	s_andn2_b32 s5, s5, exec_lo
	s_and_b32 s7, vcc_lo, exec_lo
	s_or_b32 s5, s5, s7
	s_or_b32 exec_lo, exec_lo, s6
	s_and_saveexec_b32 s6, s5
	s_cbranch_execnz .LBB19_1503
	s_branch .LBB19_1504
.LBB19_1523:
	s_mov_b32 s4, -1
.LBB19_1524:
                                        ; implicit-def: $vgpr10
.LBB19_1525:
	s_and_b32 vcc_lo, exec_lo, s5
	s_mov_b32 s5, 0
	s_cbranch_vccz .LBB19_1527
; %bb.1526:
	s_cmp_lg_u32 s0, 11
	s_mov_b32 s5, -1
	s_cselect_b32 s4, -1, 0
.LBB19_1527:
	s_and_b32 vcc_lo, exec_lo, s4
	s_cbranch_vccnz .LBB19_1598
; %bb.1528:
	s_andn2_b32 vcc_lo, exec_lo, s5
	s_cbranch_vccnz .LBB19_1530
.LBB19_1529:
	global_load_ubyte v1, v[8:9], off
	s_mov_b32 s6, -1
	s_waitcnt vmcnt(0)
	v_cmp_ne_u16_e32 vcc_lo, 0, v1
	v_cndmask_b32_e64 v10, 0, 1.0, vcc_lo
.LBB19_1530:
	s_branch .LBB19_1457
.LBB19_1531:
	s_and_b32 s0, 0xffff, s3
	s_cmp_lt_i32 s0, 5
	s_cbranch_scc1 .LBB19_1536
; %bb.1532:
	s_cmp_lt_i32 s0, 8
	s_cbranch_scc1 .LBB19_1537
; %bb.1533:
	;; [unrolled: 3-line block ×3, first 2 shown]
	s_cmp_gt_i32 s0, 9
	s_cbranch_scc0 .LBB19_1539
; %bb.1535:
	global_load_dwordx2 v[10:11], v[8:9], off
	s_mov_b32 s4, 0
	s_waitcnt vmcnt(0)
	v_cvt_f32_f64_e32 v10, v[10:11]
	s_branch .LBB19_1540
.LBB19_1536:
	s_mov_b32 s4, -1
                                        ; implicit-def: $vgpr10
	s_branch .LBB19_1558
.LBB19_1537:
	s_mov_b32 s4, -1
                                        ; implicit-def: $vgpr10
	s_branch .LBB19_1546
.LBB19_1538:
	s_mov_b32 s4, -1
                                        ; implicit-def: $vgpr10
	s_branch .LBB19_1543
.LBB19_1539:
	s_mov_b32 s4, -1
                                        ; implicit-def: $vgpr10
.LBB19_1540:
	s_andn2_b32 vcc_lo, exec_lo, s4
	s_cbranch_vccnz .LBB19_1542
; %bb.1541:
	global_load_dword v10, v[8:9], off
.LBB19_1542:
	s_mov_b32 s4, 0
.LBB19_1543:
	s_andn2_b32 vcc_lo, exec_lo, s4
	s_cbranch_vccnz .LBB19_1545
; %bb.1544:
	global_load_dword v1, v[8:9], off
	s_waitcnt vmcnt(0)
	v_cvt_f32_f16_e32 v10, v1
.LBB19_1545:
	s_mov_b32 s4, 0
.LBB19_1546:
	s_andn2_b32 vcc_lo, exec_lo, s4
	s_cbranch_vccnz .LBB19_1557
; %bb.1547:
	s_cmp_lt_i32 s0, 6
	s_cbranch_scc1 .LBB19_1550
; %bb.1548:
	s_cmp_gt_i32 s0, 6
	s_cbranch_scc0 .LBB19_1551
; %bb.1549:
	global_load_dwordx2 v[10:11], v[8:9], off
	s_mov_b32 s4, 0
	s_waitcnt vmcnt(0)
	v_cvt_f32_f64_e32 v10, v[10:11]
	s_branch .LBB19_1552
.LBB19_1550:
	s_mov_b32 s4, -1
                                        ; implicit-def: $vgpr10
	s_branch .LBB19_1555
.LBB19_1551:
	s_mov_b32 s4, -1
                                        ; implicit-def: $vgpr10
.LBB19_1552:
	s_andn2_b32 vcc_lo, exec_lo, s4
	s_cbranch_vccnz .LBB19_1554
; %bb.1553:
	global_load_dword v10, v[8:9], off
.LBB19_1554:
	s_mov_b32 s4, 0
.LBB19_1555:
	s_andn2_b32 vcc_lo, exec_lo, s4
	s_cbranch_vccnz .LBB19_1557
; %bb.1556:
	global_load_ushort v1, v[8:9], off
	s_waitcnt vmcnt(0)
	v_cvt_f32_f16_e32 v10, v1
.LBB19_1557:
	s_mov_b32 s4, 0
.LBB19_1558:
	s_andn2_b32 vcc_lo, exec_lo, s4
	s_cbranch_vccnz .LBB19_1578
; %bb.1559:
	s_cmp_lt_i32 s0, 2
	s_cbranch_scc1 .LBB19_1563
; %bb.1560:
	s_cmp_lt_i32 s0, 3
	s_cbranch_scc1 .LBB19_1564
; %bb.1561:
	s_cmp_gt_i32 s0, 3
	s_cbranch_scc0 .LBB19_1565
; %bb.1562:
	global_load_dwordx2 v[10:11], v[8:9], off
	s_mov_b32 s4, 0
	s_waitcnt vmcnt(0)
	v_xor_b32_e32 v1, v10, v11
	v_ffbh_i32_e32 v12, v11
	v_ashrrev_i32_e32 v1, 31, v1
	v_add_nc_u32_e32 v12, -1, v12
	v_add_nc_u32_e32 v1, 32, v1
	v_min_u32_e32 v1, v12, v1
	v_lshlrev_b64 v[10:11], v1, v[10:11]
	v_sub_nc_u32_e32 v1, 32, v1
	v_min_u32_e32 v10, 1, v10
	v_or_b32_e32 v10, v11, v10
	v_cvt_f32_i32_e32 v10, v10
	v_ldexp_f32 v10, v10, v1
	s_branch .LBB19_1566
.LBB19_1563:
	s_mov_b32 s4, -1
                                        ; implicit-def: $vgpr10
	s_branch .LBB19_1572
.LBB19_1564:
	s_mov_b32 s4, -1
                                        ; implicit-def: $vgpr10
	s_branch .LBB19_1569
.LBB19_1565:
	s_mov_b32 s4, -1
                                        ; implicit-def: $vgpr10
.LBB19_1566:
	s_andn2_b32 vcc_lo, exec_lo, s4
	s_cbranch_vccnz .LBB19_1568
; %bb.1567:
	global_load_dword v1, v[8:9], off
	s_waitcnt vmcnt(0)
	v_cvt_f32_i32_e32 v10, v1
.LBB19_1568:
	s_mov_b32 s4, 0
.LBB19_1569:
	s_andn2_b32 vcc_lo, exec_lo, s4
	s_cbranch_vccnz .LBB19_1571
; %bb.1570:
	global_load_sshort v1, v[8:9], off
	s_waitcnt vmcnt(0)
	v_cvt_f32_i32_e32 v10, v1
.LBB19_1571:
	s_mov_b32 s4, 0
.LBB19_1572:
	s_andn2_b32 vcc_lo, exec_lo, s4
	s_cbranch_vccnz .LBB19_1578
; %bb.1573:
	s_cmp_gt_i32 s0, 0
	s_mov_b32 s0, 0
	s_cbranch_scc0 .LBB19_1575
; %bb.1574:
	global_load_sbyte v1, v[8:9], off
	s_waitcnt vmcnt(0)
	v_cvt_f32_i32_e32 v10, v1
	s_branch .LBB19_1576
.LBB19_1575:
	s_mov_b32 s0, -1
                                        ; implicit-def: $vgpr10
.LBB19_1576:
	s_andn2_b32 vcc_lo, exec_lo, s0
	s_cbranch_vccnz .LBB19_1578
; %bb.1577:
	global_load_ubyte v1, v[8:9], off
	s_waitcnt vmcnt(0)
	v_cvt_f32_ubyte0_e32 v10, v1
.LBB19_1578:
.LBB19_1579:
	v_mov_b32_e32 v1, 0x7f800000
	s_mov_b32 s4, exec_lo
	s_waitcnt vmcnt(0)
	v_cmpx_neq_f32_e32 0, v10
	s_cbranch_execz .LBB19_1587
; %bb.1580:
	v_mov_b32_e32 v1, 0x7fc00000
	s_mov_b32 s5, exec_lo
	v_cmpx_ngt_f32_e32 0, v10
	s_cbranch_execz .LBB19_1586
; %bb.1581:
                                        ; implicit-def: $vgpr1
	s_mov_b32 s0, exec_lo
	v_cmpx_ge_f32_e32 2.0, v10
	s_xor_b32 s6, exec_lo, s0
	s_cbranch_execz .LBB19_1583
; %bb.1582:
	v_fma_f32 v1, v10, 0.5, -2.0
	s_mov_b32 s0, 0x224cf950
	v_fma_f32 v11, v10, v10, -2.0
	v_fmaak_f32 v8, s0, v1, 0xa3c2be86
	s_mov_b32 s0, 0xa3019142
	v_fmaak_f32 v12, s0, v11, 0xa72eea8c
	v_fmaak_f32 v9, v1, v8, 0xa24cf950
	;; [unrolled: 1-line block ×3, first 2 shown]
	v_add_f32_e32 v9, 0x25331f1f, v9
	v_add_f32_e32 v13, 0xab3ba817, v13
	v_fma_f32 v8, v1, v9, -v8
	v_fma_f32 v12, v11, v13, -v12
	v_add_f32_e32 v8, 0xa69f5554, v8
	v_add_f32_e32 v12, 0xaf1b31de, v12
	v_fma_f32 v9, v1, v8, -v9
	v_fma_f32 v13, v11, v12, -v13
	;; [unrolled: 4-line block ×8, first 2 shown]
	v_mul_f32_e32 v12, 0.5, v10
	v_add_f32_e32 v9, 0x2fc751a6, v9
	v_add_f32_e32 v11, 0x3fc33d0a, v11
	v_cmp_gt_f32_e32 vcc_lo, 0x800000, v12
	v_fma_f32 v8, v1, v9, -v8
	v_sub_f32_e32 v11, v11, v13
	v_mul_f32_e32 v13, 0x3fb8aa3b, v10
	v_add_f32_e32 v8, 0xb101b0d9, v8
	v_cndmask_b32_e64 v14, 0, 32, vcc_lo
	v_cndmask_b32_e64 v19, 0, 0x41b17218, vcc_lo
	v_mul_f32_e32 v11, 0.5, v11
	v_rndne_f32_e32 v15, v13
	v_fma_f32 v9, v1, v8, -v9
	v_fma_f32 v17, 0x3fb8aa3b, v10, -v13
	v_ldexp_f32 v12, v12, v14
	v_div_scale_f32 v16, null, v10, v10, v11
	v_add_f32_e32 v9, 0x32212c70, v9
	v_sub_f32_e32 v13, v13, v15
	v_fmamk_f32 v17, v10, 0x32a5705f, v17
	v_rcp_f32_e32 v14, v16
	v_log_f32_e32 v12, v12
	v_fma_f32 v8, v1, v9, -v8
	v_div_scale_f32 v18, s0, v11, v10, v11
	v_add_f32_e32 v13, v13, v17
	v_cmp_ngt_f32_e32 vcc_lo, 0xc2ce8ed0, v10
	v_add_f32_e32 v8, 0xb33ee9f1, v8
	v_exp_f32_e32 v13, v13
	v_fma_f32 v17, -v16, v14, 1.0
	v_fma_f32 v9, v1, v8, -v9
	v_fmac_f32_e32 v14, v17, v14
	v_add_f32_e32 v9, 0x34571a26, v9
	v_mul_f32_e32 v17, 0x3f317217, v12
	v_fma_f32 v8, v1, v9, -v8
	v_fma_f32 v17, 0x3f317217, v12, -v17
	v_add_f32_e32 v8, 0xb56603cc, v8
	v_fmamk_f32 v17, v12, 0x3377d1cf, v17
	v_fma_f32 v9, v1, v8, -v9
	v_fmac_f32_e32 v17, 0x3f317217, v12
	v_add_f32_e32 v9, 0x3668e277, v9
	v_fma_f32 v8, v1, v9, -v8
	v_add_f32_e32 v8, 0xb75eafce, v8
	v_fma_f32 v9, v1, v8, -v9
	;; [unrolled: 2-line block ×12, first 2 shown]
	v_cvt_i32_f32_e32 v8, v15
	v_mul_f32_e32 v15, v18, v14
	v_add_f32_e32 v1, 0x3e81531c, v1
	v_ldexp_f32 v8, v13, v8
	v_fma_f32 v13, -v16, v15, v18
	v_sub_f32_e32 v1, v1, v9
	v_cndmask_b32_e32 v8, 0, v8, vcc_lo
	v_cmp_nlt_f32_e32 vcc_lo, 0x42b17218, v10
	v_fmac_f32_e32 v15, v13, v14
	v_mul_f32_e32 v1, 0.5, v1
	v_cndmask_b32_e32 v8, 0x7f800000, v8, vcc_lo
	v_cmp_gt_f32_e64 vcc_lo, 0x7f800000, |v12|
	v_fma_f32 v9, -v16, v15, v18
	v_mul_f32_e32 v1, v10, v1
	v_cndmask_b32_e32 v12, v12, v17, vcc_lo
	s_mov_b32 vcc_lo, s0
	v_mul_f32_e32 v8, v8, v1
	v_div_fmas_f32 v9, v9, v14, v15
	v_sub_f32_e32 v12, v12, v19
	v_div_fixup_f32 v1, v9, v10, v11
                                        ; implicit-def: $vgpr10
	v_fmac_f32_e32 v1, v12, v8
.LBB19_1583:
	s_andn2_saveexec_b32 s6, s6
	s_cbranch_execz .LBB19_1585
; %bb.1584:
	v_div_scale_f32 v1, null, v10, v10, 0x41000000
	v_div_scale_f32 v11, vcc_lo, 0x41000000, v10, 0x41000000
	s_mov_b32 s0, 0xa2d462ea
	v_rcp_f32_e32 v8, v1
	v_fma_f32 v9, -v1, v8, 1.0
	v_fmac_f32_e32 v8, v9, v8
	v_mul_f32_e32 v9, v11, v8
	v_fma_f32 v12, -v1, v9, v11
	v_fmac_f32_e32 v9, v12, v8
	v_mul_f32_e32 v12, 0xbfb8aa3b, v10
	v_fma_f32 v1, -v1, v9, v11
	v_mul_f32_e32 v11, 0x4f800000, v10
	v_rndne_f32_e32 v13, v12
	v_fma_f32 v14, 0xbfb8aa3b, v10, -v12
	v_div_fmas_f32 v1, v1, v8, v9
	v_cmp_gt_f32_e32 vcc_lo, 0xf800000, v10
	v_sub_f32_e32 v12, v12, v13
	v_fmamk_f32 v14, v10, 0xb2a5705f, v14
	v_cvt_i32_f32_e32 v13, v13
	v_div_fixup_f32 v1, v1, v10, 0x41000000
	v_cndmask_b32_e32 v11, v10, v11, vcc_lo
	v_add_f32_e32 v12, v12, v14
	v_add_f32_e32 v1, -2.0, v1
	v_sqrt_f32_e32 v15, v11
	v_exp_f32_e32 v12, v12
	v_fmaak_f32 v8, s0, v1, 0x23a578d4
	v_fmaak_f32 v9, v1, v8, 0x22d462ea
	v_add_nc_u32_e32 v14, -1, v15
	v_add_nc_u32_e32 v16, 1, v15
	v_add_f32_e32 v9, 0xa48330a9, v9
	v_fma_f32 v17, -v14, v15, v11
	v_fma_f32 v18, -v16, v15, v11
	v_fma_f32 v8, v1, v9, -v8
	v_cmp_ge_f32_e64 s0, 0, v17
	v_add_f32_e32 v8, 0x2553eaf2, v8
	v_cndmask_b32_e64 v14, v15, v14, s0
	v_cmp_lt_f32_e64 s0, 0, v18
	v_fma_f32 v9, v1, v8, -v9
	v_add_f32_e32 v9, 0xa62e951f, v9
	v_fma_f32 v8, v1, v9, -v8
	v_add_f32_e32 v8, 0x2712e76f, v8
	;; [unrolled: 2-line block ×20, first 2 shown]
	v_fma_f32 v1, v1, v8, -v9
	v_ldexp_f32 v8, v12, v13
	v_cndmask_b32_e64 v12, v14, v16, s0
	v_cmp_nlt_f32_e64 s0, 0x42ce8ed0, v10
	v_add_f32_e32 v1, 0x402e1ebd, v1
	v_mul_f32_e32 v13, 0x37800000, v12
	v_cndmask_b32_e64 v8, 0, v8, s0
	v_cmp_ngt_f32_e64 s0, 0xc2b17218, v10
	v_sub_f32_e32 v1, v1, v9
	v_cndmask_b32_e32 v9, v12, v13, vcc_lo
	v_cmp_class_f32_e64 vcc_lo, v11, 0x260
	v_cndmask_b32_e64 v8, 0x7f800000, v8, s0
	v_mul_f32_e32 v1, 0.5, v1
	v_cndmask_b32_e32 v9, v9, v11, vcc_lo
	v_mul_f32_e32 v1, v8, v1
	v_div_scale_f32 v8, null, v9, v9, v1
	v_rcp_f32_e32 v10, v8
	v_fma_f32 v11, -v8, v10, 1.0
	v_fmac_f32_e32 v10, v11, v10
	v_div_scale_f32 v11, vcc_lo, v1, v9, v1
	v_mul_f32_e32 v12, v11, v10
	v_fma_f32 v13, -v8, v12, v11
	v_fmac_f32_e32 v12, v13, v10
	v_fma_f32 v8, -v8, v12, v11
	v_div_fmas_f32 v8, v8, v10, v12
	v_div_fixup_f32 v1, v8, v9, v1
.LBB19_1585:
	s_or_b32 exec_lo, exec_lo, s6
.LBB19_1586:
	s_or_b32 exec_lo, exec_lo, s5
.LBB19_1587:
	s_or_b32 exec_lo, exec_lo, s4
	v_add_co_u32 v7, s0, s10, v7
	v_add_co_ci_u32_e64 v8, null, s11, 0, s0
	s_cmp_lt_i32 s3, 11
	s_cbranch_scc1 .LBB19_1594
; %bb.1588:
	s_and_b32 s0, 0xffff, s3
	s_mov_b32 s5, 0
	s_cmp_gt_i32 s0, 25
	s_cbranch_scc0 .LBB19_1595
; %bb.1589:
	s_cmp_gt_i32 s0, 28
	s_cbranch_scc0 .LBB19_1596
; %bb.1590:
	;; [unrolled: 3-line block ×4, first 2 shown]
	s_cmp_eq_u32 s0, 46
	s_mov_b32 s7, 0
	s_cbranch_scc0 .LBB19_1600
; %bb.1593:
	global_load_dword v9, v[7:8], off
	s_mov_b32 s4, 0
	s_mov_b32 s6, -1
	s_waitcnt vmcnt(0)
	v_lshlrev_b32_e32 v9, 16, v9
	s_branch .LBB19_1602
.LBB19_1594:
	s_mov_b32 s0, -1
	s_mov_b32 s6, 0
                                        ; implicit-def: $vgpr9
	s_branch .LBB19_1668
.LBB19_1595:
	s_mov_b32 s7, -1
	s_mov_b32 s6, 0
	s_mov_b32 s4, 0
                                        ; implicit-def: $vgpr9
	s_branch .LBB19_1631
.LBB19_1596:
	s_mov_b32 s7, -1
	s_mov_b32 s6, 0
	s_mov_b32 s4, 0
                                        ; implicit-def: $vgpr9
	s_branch .LBB19_1612
.LBB19_1597:
	s_mov_b32 s7, -1
	s_mov_b32 s6, 0
	s_mov_b32 s4, 0
                                        ; implicit-def: $vgpr9
	s_branch .LBB19_1607
.LBB19_1598:
	s_or_b32 s1, s1, exec_lo
	s_trap 2
	s_cbranch_execz .LBB19_1529
	s_branch .LBB19_1530
.LBB19_1599:
	s_mov_b32 s7, -1
	s_mov_b32 s6, 0
	s_mov_b32 s4, 0
	s_branch .LBB19_1601
.LBB19_1600:
	s_mov_b32 s4, -1
	s_mov_b32 s6, 0
.LBB19_1601:
                                        ; implicit-def: $vgpr9
.LBB19_1602:
	s_and_b32 vcc_lo, exec_lo, s7
	s_cbranch_vccz .LBB19_1606
; %bb.1603:
	s_cmp_eq_u32 s0, 44
	s_cbranch_scc0 .LBB19_1605
; %bb.1604:
	global_load_ubyte v9, v[7:8], off
	s_mov_b32 s4, 0
	s_mov_b32 s6, -1
	s_waitcnt vmcnt(0)
	v_lshlrev_b32_e32 v10, 23, v9
	v_cmp_ne_u32_e32 vcc_lo, 0xff, v9
	v_cndmask_b32_e32 v10, 0x7f800001, v10, vcc_lo
	v_cmp_ne_u32_e32 vcc_lo, 0, v9
	v_cndmask_b32_e32 v9, 0x400000, v10, vcc_lo
	s_branch .LBB19_1606
.LBB19_1605:
	s_mov_b32 s4, -1
                                        ; implicit-def: $vgpr9
.LBB19_1606:
	s_mov_b32 s7, 0
.LBB19_1607:
	s_and_b32 vcc_lo, exec_lo, s7
	s_cbranch_vccz .LBB19_1611
; %bb.1608:
	s_cmp_eq_u32 s0, 29
	s_cbranch_scc0 .LBB19_1610
; %bb.1609:
	global_load_dwordx2 v[9:10], v[7:8], off
	s_mov_b32 s4, 0
	s_mov_b32 s6, -1
	s_mov_b32 s7, 0
	s_waitcnt vmcnt(0)
	v_ffbh_u32_e32 v11, v10
	v_min_u32_e32 v11, 32, v11
	v_lshlrev_b64 v[9:10], v11, v[9:10]
	v_min_u32_e32 v9, 1, v9
	v_or_b32_e32 v9, v10, v9
	v_sub_nc_u32_e32 v10, 32, v11
	v_cvt_f32_u32_e32 v9, v9
	v_ldexp_f32 v9, v9, v10
	s_branch .LBB19_1612
.LBB19_1610:
	s_mov_b32 s4, -1
                                        ; implicit-def: $vgpr9
.LBB19_1611:
	s_mov_b32 s7, 0
.LBB19_1612:
	s_and_b32 vcc_lo, exec_lo, s7
	s_cbranch_vccz .LBB19_1630
; %bb.1613:
	s_cmp_lt_i32 s0, 27
	s_cbranch_scc1 .LBB19_1616
; %bb.1614:
	s_cmp_gt_i32 s0, 27
	s_cbranch_scc0 .LBB19_1617
; %bb.1615:
	global_load_dword v9, v[7:8], off
	s_mov_b32 s6, 0
	s_waitcnt vmcnt(0)
	v_cvt_f32_u32_e32 v9, v9
	s_branch .LBB19_1618
.LBB19_1616:
	s_mov_b32 s6, -1
                                        ; implicit-def: $vgpr9
	s_branch .LBB19_1621
.LBB19_1617:
	s_mov_b32 s6, -1
                                        ; implicit-def: $vgpr9
.LBB19_1618:
	s_andn2_b32 vcc_lo, exec_lo, s6
	s_cbranch_vccnz .LBB19_1620
; %bb.1619:
	global_load_ushort v9, v[7:8], off
	s_waitcnt vmcnt(0)
	v_cvt_f32_u32_e32 v9, v9
.LBB19_1620:
	s_mov_b32 s6, 0
.LBB19_1621:
	s_andn2_b32 vcc_lo, exec_lo, s6
	s_cbranch_vccnz .LBB19_1629
; %bb.1622:
	global_load_ubyte v10, v[7:8], off
	s_mov_b32 s6, 0
	s_mov_b32 s7, exec_lo
	s_waitcnt vmcnt(0)
	v_cmpx_lt_i16_e32 0x7f, v10
	s_xor_b32 s7, exec_lo, s7
	s_cbranch_execz .LBB19_1643
; %bb.1623:
	s_mov_b32 s6, -1
	s_mov_b32 s10, exec_lo
	v_cmpx_eq_u16_e32 0x80, v10
; %bb.1624:
	s_xor_b32 s6, exec_lo, -1
; %bb.1625:
	s_or_b32 exec_lo, exec_lo, s10
	s_and_b32 s6, s6, exec_lo
	s_or_saveexec_b32 s7, s7
	v_mov_b32_e32 v9, 0x7f800001
	s_xor_b32 exec_lo, exec_lo, s7
	s_cbranch_execnz .LBB19_1644
.LBB19_1626:
	s_or_b32 exec_lo, exec_lo, s7
	s_and_saveexec_b32 s7, s6
	s_cbranch_execz .LBB19_1628
.LBB19_1627:
	v_and_b32_e32 v9, 0xffff, v10
	v_lshlrev_b32_e32 v10, 24, v10
	v_and_b32_e32 v11, 7, v9
	v_bfe_u32 v14, v9, 3, 4
	v_and_b32_e32 v10, 0x80000000, v10
	v_ffbh_u32_e32 v12, v11
	v_cmp_eq_u32_e32 vcc_lo, 0, v14
	v_min_u32_e32 v12, 32, v12
	v_subrev_nc_u32_e32 v13, 28, v12
	v_sub_nc_u32_e32 v12, 29, v12
	v_lshlrev_b32_e32 v9, v13, v9
	v_cndmask_b32_e32 v12, v14, v12, vcc_lo
	v_and_b32_e32 v9, 7, v9
	v_cndmask_b32_e32 v9, v11, v9, vcc_lo
	v_lshl_add_u32 v11, v12, 23, 0x3b800000
	v_lshlrev_b32_e32 v9, 20, v9
	v_or3_b32 v9, v10, v11, v9
.LBB19_1628:
	s_or_b32 exec_lo, exec_lo, s7
.LBB19_1629:
	s_mov_b32 s6, -1
.LBB19_1630:
	s_mov_b32 s7, 0
.LBB19_1631:
	s_and_b32 vcc_lo, exec_lo, s7
	s_cbranch_vccz .LBB19_1664
; %bb.1632:
	s_cmp_gt_i32 s0, 22
	s_cbranch_scc0 .LBB19_1642
; %bb.1633:
	s_cmp_lt_i32 s0, 24
	s_cbranch_scc1 .LBB19_1645
; %bb.1634:
	s_cmp_gt_i32 s0, 24
	s_cbranch_scc0 .LBB19_1646
; %bb.1635:
	global_load_ubyte v10, v[7:8], off
	s_mov_b32 s6, exec_lo
	s_waitcnt vmcnt(0)
	v_cmpx_lt_i16_e32 0x7f, v10
	s_xor_b32 s6, exec_lo, s6
	s_cbranch_execz .LBB19_1658
; %bb.1636:
	s_mov_b32 s5, -1
	s_mov_b32 s7, exec_lo
	v_cmpx_eq_u16_e32 0x80, v10
; %bb.1637:
	s_xor_b32 s5, exec_lo, -1
; %bb.1638:
	s_or_b32 exec_lo, exec_lo, s7
	s_and_b32 s5, s5, exec_lo
	s_or_saveexec_b32 s6, s6
	v_mov_b32_e32 v9, 0x7f800001
	s_xor_b32 exec_lo, exec_lo, s6
	s_cbranch_execnz .LBB19_1659
.LBB19_1639:
	s_or_b32 exec_lo, exec_lo, s6
	s_and_saveexec_b32 s6, s5
	s_cbranch_execz .LBB19_1641
.LBB19_1640:
	v_and_b32_e32 v9, 0xffff, v10
	v_lshlrev_b32_e32 v10, 24, v10
	v_and_b32_e32 v11, 3, v9
	v_bfe_u32 v14, v9, 2, 5
	v_and_b32_e32 v10, 0x80000000, v10
	v_ffbh_u32_e32 v12, v11
	v_cmp_eq_u32_e32 vcc_lo, 0, v14
	v_min_u32_e32 v12, 32, v12
	v_subrev_nc_u32_e32 v13, 29, v12
	v_sub_nc_u32_e32 v12, 30, v12
	v_lshlrev_b32_e32 v9, v13, v9
	v_cndmask_b32_e32 v12, v14, v12, vcc_lo
	v_and_b32_e32 v9, 3, v9
	v_cndmask_b32_e32 v9, v11, v9, vcc_lo
	v_lshl_add_u32 v11, v12, 23, 0x37800000
	v_lshlrev_b32_e32 v9, 21, v9
	v_or3_b32 v9, v10, v11, v9
.LBB19_1641:
	s_or_b32 exec_lo, exec_lo, s6
	s_mov_b32 s5, 0
	s_branch .LBB19_1647
.LBB19_1642:
	s_mov_b32 s5, -1
                                        ; implicit-def: $vgpr9
	s_branch .LBB19_1653
.LBB19_1643:
	s_or_saveexec_b32 s7, s7
	v_mov_b32_e32 v9, 0x7f800001
	s_xor_b32 exec_lo, exec_lo, s7
	s_cbranch_execz .LBB19_1626
.LBB19_1644:
	v_cmp_ne_u16_e32 vcc_lo, 0, v10
	v_mov_b32_e32 v9, 0
	s_andn2_b32 s6, s6, exec_lo
	s_and_b32 s10, vcc_lo, exec_lo
	s_or_b32 s6, s6, s10
	s_or_b32 exec_lo, exec_lo, s7
	s_and_saveexec_b32 s7, s6
	s_cbranch_execnz .LBB19_1627
	s_branch .LBB19_1628
.LBB19_1645:
	s_mov_b32 s5, -1
                                        ; implicit-def: $vgpr9
	s_branch .LBB19_1650
.LBB19_1646:
	s_mov_b32 s5, -1
                                        ; implicit-def: $vgpr9
.LBB19_1647:
	s_and_b32 vcc_lo, exec_lo, s5
	s_cbranch_vccz .LBB19_1649
; %bb.1648:
	global_load_ubyte v9, v[7:8], off
	s_waitcnt vmcnt(0)
	v_lshlrev_b32_e32 v9, 24, v9
	v_and_b32_e32 v10, 0x7f000000, v9
	v_ffbh_u32_e32 v11, v10
	v_add_nc_u32_e32 v13, 0x1000000, v10
	v_cmp_ne_u32_e32 vcc_lo, 0, v10
	v_min_u32_e32 v11, 32, v11
	v_sub_nc_u32_e64 v11, v11, 4 clamp
	v_lshlrev_b32_e32 v12, v11, v10
	v_lshlrev_b32_e32 v11, 23, v11
	v_lshrrev_b32_e32 v12, 4, v12
	v_sub_nc_u32_e32 v11, v12, v11
	v_ashrrev_i32_e32 v12, 8, v13
	v_add_nc_u32_e32 v11, 0x3c000000, v11
	v_and_or_b32 v11, 0x7f800000, v12, v11
	v_cndmask_b32_e32 v10, 0, v11, vcc_lo
	v_and_or_b32 v9, 0x80000000, v9, v10
.LBB19_1649:
	s_mov_b32 s5, 0
.LBB19_1650:
	s_andn2_b32 vcc_lo, exec_lo, s5
	s_cbranch_vccnz .LBB19_1652
; %bb.1651:
	global_load_ubyte v9, v[7:8], off
	s_waitcnt vmcnt(0)
	v_lshlrev_b32_e32 v10, 25, v9
	v_lshlrev_b16 v9, 8, v9
	v_lshrrev_b32_e32 v11, 4, v10
	v_and_or_b32 v12, 0x7f00, v9, 0.5
	v_cmp_gt_u32_e32 vcc_lo, 0x8000000, v10
	v_bfe_i32 v9, v9, 0, 16
	v_or_b32_e32 v11, 0x70000000, v11
	v_add_f32_e32 v12, -0.5, v12
	v_mul_f32_e32 v11, 0x7800000, v11
	v_cndmask_b32_e32 v10, v11, v12, vcc_lo
	v_and_or_b32 v9, 0x80000000, v9, v10
.LBB19_1652:
	s_mov_b32 s5, 0
	s_mov_b32 s6, -1
.LBB19_1653:
	s_andn2_b32 vcc_lo, exec_lo, s5
	s_mov_b32 s5, 0
	s_cbranch_vccnz .LBB19_1664
; %bb.1654:
	s_cmp_gt_i32 s0, 14
	s_cbranch_scc0 .LBB19_1657
; %bb.1655:
	s_cmp_eq_u32 s0, 15
	s_cbranch_scc0 .LBB19_1660
; %bb.1656:
	global_load_ushort v9, v[7:8], off
	s_mov_b32 s4, 0
	s_mov_b32 s6, -1
	s_waitcnt vmcnt(0)
	v_lshlrev_b32_e32 v9, 16, v9
	s_branch .LBB19_1662
.LBB19_1657:
	s_mov_b32 s5, -1
	s_branch .LBB19_1661
.LBB19_1658:
	s_or_saveexec_b32 s6, s6
	v_mov_b32_e32 v9, 0x7f800001
	s_xor_b32 exec_lo, exec_lo, s6
	s_cbranch_execz .LBB19_1639
.LBB19_1659:
	v_cmp_ne_u16_e32 vcc_lo, 0, v10
	v_mov_b32_e32 v9, 0
	s_andn2_b32 s5, s5, exec_lo
	s_and_b32 s7, vcc_lo, exec_lo
	s_or_b32 s5, s5, s7
	s_or_b32 exec_lo, exec_lo, s6
	s_and_saveexec_b32 s6, s5
	s_cbranch_execnz .LBB19_1640
	s_branch .LBB19_1641
.LBB19_1660:
	s_mov_b32 s4, -1
.LBB19_1661:
                                        ; implicit-def: $vgpr9
.LBB19_1662:
	s_and_b32 vcc_lo, exec_lo, s5
	s_mov_b32 s5, 0
	s_cbranch_vccz .LBB19_1664
; %bb.1663:
	s_cmp_lg_u32 s0, 11
	s_mov_b32 s5, -1
	s_cselect_b32 s4, -1, 0
.LBB19_1664:
	s_and_b32 vcc_lo, exec_lo, s4
	s_cbranch_vccnz .LBB19_2206
; %bb.1665:
	s_andn2_b32 vcc_lo, exec_lo, s5
	s_cbranch_vccnz .LBB19_1667
.LBB19_1666:
	global_load_ubyte v9, v[7:8], off
	s_mov_b32 s6, -1
	s_waitcnt vmcnt(0)
	v_cmp_ne_u16_e32 vcc_lo, 0, v9
	v_cndmask_b32_e64 v9, 0, 1.0, vcc_lo
.LBB19_1667:
	s_mov_b32 s0, 0
.LBB19_1668:
	s_and_b32 vcc_lo, exec_lo, s0
	s_cbranch_vccz .LBB19_1717
; %bb.1669:
	s_and_b32 s0, 0xffff, s3
	s_cmp_lt_i32 s0, 5
	s_cbranch_scc1 .LBB19_1674
; %bb.1670:
	s_cmp_lt_i32 s0, 8
	s_cbranch_scc1 .LBB19_1675
; %bb.1671:
	;; [unrolled: 3-line block ×3, first 2 shown]
	s_cmp_gt_i32 s0, 9
	s_cbranch_scc0 .LBB19_1677
; %bb.1673:
	global_load_dwordx2 v[9:10], v[7:8], off
	s_mov_b32 s3, 0
	s_waitcnt vmcnt(0)
	v_cvt_f32_f64_e32 v9, v[9:10]
	s_branch .LBB19_1678
.LBB19_1674:
	s_mov_b32 s3, -1
                                        ; implicit-def: $vgpr9
	s_branch .LBB19_1696
.LBB19_1675:
	s_mov_b32 s3, -1
                                        ; implicit-def: $vgpr9
	s_branch .LBB19_1684
.LBB19_1676:
	s_mov_b32 s3, -1
                                        ; implicit-def: $vgpr9
	s_branch .LBB19_1681
.LBB19_1677:
	s_mov_b32 s3, -1
                                        ; implicit-def: $vgpr9
.LBB19_1678:
	s_andn2_b32 vcc_lo, exec_lo, s3
	s_cbranch_vccnz .LBB19_1680
; %bb.1679:
	global_load_dword v9, v[7:8], off
.LBB19_1680:
	s_mov_b32 s3, 0
.LBB19_1681:
	s_andn2_b32 vcc_lo, exec_lo, s3
	s_cbranch_vccnz .LBB19_1683
; %bb.1682:
	global_load_dword v9, v[7:8], off
	s_waitcnt vmcnt(0)
	v_cvt_f32_f16_e32 v9, v9
.LBB19_1683:
	s_mov_b32 s3, 0
.LBB19_1684:
	s_andn2_b32 vcc_lo, exec_lo, s3
	s_cbranch_vccnz .LBB19_1695
; %bb.1685:
	s_cmp_lt_i32 s0, 6
	s_cbranch_scc1 .LBB19_1688
; %bb.1686:
	s_cmp_gt_i32 s0, 6
	s_cbranch_scc0 .LBB19_1689
; %bb.1687:
	global_load_dwordx2 v[9:10], v[7:8], off
	s_mov_b32 s3, 0
	s_waitcnt vmcnt(0)
	v_cvt_f32_f64_e32 v9, v[9:10]
	s_branch .LBB19_1690
.LBB19_1688:
	s_mov_b32 s3, -1
                                        ; implicit-def: $vgpr9
	s_branch .LBB19_1693
.LBB19_1689:
	s_mov_b32 s3, -1
                                        ; implicit-def: $vgpr9
.LBB19_1690:
	s_andn2_b32 vcc_lo, exec_lo, s3
	s_cbranch_vccnz .LBB19_1692
; %bb.1691:
	global_load_dword v9, v[7:8], off
.LBB19_1692:
	s_mov_b32 s3, 0
.LBB19_1693:
	s_andn2_b32 vcc_lo, exec_lo, s3
	s_cbranch_vccnz .LBB19_1695
; %bb.1694:
	global_load_ushort v9, v[7:8], off
	s_waitcnt vmcnt(0)
	v_cvt_f32_f16_e32 v9, v9
.LBB19_1695:
	s_mov_b32 s3, 0
.LBB19_1696:
	s_andn2_b32 vcc_lo, exec_lo, s3
	s_cbranch_vccnz .LBB19_1716
; %bb.1697:
	s_cmp_lt_i32 s0, 2
	s_cbranch_scc1 .LBB19_1701
; %bb.1698:
	s_cmp_lt_i32 s0, 3
	s_cbranch_scc1 .LBB19_1702
; %bb.1699:
	s_cmp_gt_i32 s0, 3
	s_cbranch_scc0 .LBB19_1703
; %bb.1700:
	global_load_dwordx2 v[9:10], v[7:8], off
	s_mov_b32 s3, 0
	s_waitcnt vmcnt(0)
	v_xor_b32_e32 v11, v9, v10
	v_ffbh_i32_e32 v12, v10
	v_ashrrev_i32_e32 v11, 31, v11
	v_add_nc_u32_e32 v12, -1, v12
	v_add_nc_u32_e32 v11, 32, v11
	v_min_u32_e32 v11, v12, v11
	v_lshlrev_b64 v[9:10], v11, v[9:10]
	v_min_u32_e32 v9, 1, v9
	v_or_b32_e32 v9, v10, v9
	v_sub_nc_u32_e32 v10, 32, v11
	v_cvt_f32_i32_e32 v9, v9
	v_ldexp_f32 v9, v9, v10
	s_branch .LBB19_1704
.LBB19_1701:
	s_mov_b32 s3, -1
                                        ; implicit-def: $vgpr9
	s_branch .LBB19_1710
.LBB19_1702:
	s_mov_b32 s3, -1
                                        ; implicit-def: $vgpr9
	s_branch .LBB19_1707
.LBB19_1703:
	s_mov_b32 s3, -1
                                        ; implicit-def: $vgpr9
.LBB19_1704:
	s_andn2_b32 vcc_lo, exec_lo, s3
	s_cbranch_vccnz .LBB19_1706
; %bb.1705:
	global_load_dword v9, v[7:8], off
	s_waitcnt vmcnt(0)
	v_cvt_f32_i32_e32 v9, v9
.LBB19_1706:
	s_mov_b32 s3, 0
.LBB19_1707:
	s_andn2_b32 vcc_lo, exec_lo, s3
	s_cbranch_vccnz .LBB19_1709
; %bb.1708:
	global_load_sshort v9, v[7:8], off
	s_waitcnt vmcnt(0)
	v_cvt_f32_i32_e32 v9, v9
.LBB19_1709:
	s_mov_b32 s3, 0
.LBB19_1710:
	s_andn2_b32 vcc_lo, exec_lo, s3
	s_cbranch_vccnz .LBB19_1716
; %bb.1711:
	s_cmp_gt_i32 s0, 0
	s_mov_b32 s0, 0
	s_cbranch_scc0 .LBB19_1713
; %bb.1712:
	global_load_sbyte v9, v[7:8], off
	s_waitcnt vmcnt(0)
	v_cvt_f32_i32_e32 v9, v9
	s_branch .LBB19_1714
.LBB19_1713:
	s_mov_b32 s0, -1
                                        ; implicit-def: $vgpr9
.LBB19_1714:
	s_andn2_b32 vcc_lo, exec_lo, s0
	s_cbranch_vccnz .LBB19_1716
; %bb.1715:
	global_load_ubyte v7, v[7:8], off
	s_waitcnt vmcnt(0)
	v_cvt_f32_ubyte0_e32 v9, v7
.LBB19_1716:
	s_mov_b32 s6, -1
.LBB19_1717:
	s_andn2_b32 vcc_lo, exec_lo, s6
	s_cbranch_vccnz .LBB19_1804
; %bb.1718:
	v_mov_b32_e32 v7, 0x7f800000
	s_mov_b32 s3, exec_lo
	s_waitcnt vmcnt(0)
	v_cmpx_neq_f32_e32 0, v9
	s_cbranch_execz .LBB19_1726
; %bb.1719:
	v_mov_b32_e32 v7, 0x7fc00000
	s_mov_b32 s4, exec_lo
	v_cmpx_ngt_f32_e32 0, v9
	s_cbranch_execz .LBB19_1725
; %bb.1720:
                                        ; implicit-def: $vgpr7
	s_mov_b32 s0, exec_lo
	v_cmpx_ge_f32_e32 2.0, v9
	s_xor_b32 s5, exec_lo, s0
	s_cbranch_execz .LBB19_1722
; %bb.1721:
	v_fma_f32 v7, v9, 0.5, -2.0
	s_mov_b32 s0, 0x224cf950
	v_fma_f32 v11, v9, v9, -2.0
	v_fmaak_f32 v8, s0, v7, 0xa3c2be86
	s_mov_b32 s0, 0xa3019142
	v_fmaak_f32 v12, s0, v11, 0xa72eea8c
	v_fmaak_f32 v10, v7, v8, 0xa24cf950
	;; [unrolled: 1-line block ×3, first 2 shown]
	v_add_f32_e32 v10, 0x25331f1f, v10
	v_add_f32_e32 v13, 0xab3ba817, v13
	v_fma_f32 v8, v7, v10, -v8
	v_fma_f32 v12, v11, v13, -v12
	v_add_f32_e32 v8, 0xa69f5554, v8
	v_add_f32_e32 v12, 0xaf1b31de, v12
	v_fma_f32 v10, v7, v8, -v10
	v_fma_f32 v13, v11, v12, -v13
	;; [unrolled: 4-line block ×8, first 2 shown]
	v_mul_f32_e32 v12, 0.5, v9
	v_add_f32_e32 v10, 0x2fc751a6, v10
	v_add_f32_e32 v11, 0x3fc33d0a, v11
	v_cmp_gt_f32_e32 vcc_lo, 0x800000, v12
	v_fma_f32 v8, v7, v10, -v8
	v_sub_f32_e32 v11, v11, v13
	v_mul_f32_e32 v13, 0x3fb8aa3b, v9
	v_add_f32_e32 v8, 0xb101b0d9, v8
	v_cndmask_b32_e64 v14, 0, 32, vcc_lo
	v_cndmask_b32_e64 v19, 0, 0x41b17218, vcc_lo
	v_mul_f32_e32 v11, 0.5, v11
	v_rndne_f32_e32 v15, v13
	v_fma_f32 v10, v7, v8, -v10
	v_fma_f32 v17, 0x3fb8aa3b, v9, -v13
	v_ldexp_f32 v12, v12, v14
	v_div_scale_f32 v16, null, v9, v9, v11
	v_add_f32_e32 v10, 0x32212c70, v10
	v_sub_f32_e32 v13, v13, v15
	v_fmamk_f32 v17, v9, 0x32a5705f, v17
	v_rcp_f32_e32 v14, v16
	v_log_f32_e32 v12, v12
	v_fma_f32 v8, v7, v10, -v8
	v_div_scale_f32 v18, s0, v11, v9, v11
	v_add_f32_e32 v13, v13, v17
	v_cmp_ngt_f32_e32 vcc_lo, 0xc2ce8ed0, v9
	v_add_f32_e32 v8, 0xb33ee9f1, v8
	v_exp_f32_e32 v13, v13
	v_fma_f32 v17, -v16, v14, 1.0
	v_fma_f32 v10, v7, v8, -v10
	v_fmac_f32_e32 v14, v17, v14
	v_add_f32_e32 v10, 0x34571a26, v10
	v_mul_f32_e32 v17, 0x3f317217, v12
	v_fma_f32 v8, v7, v10, -v8
	v_fma_f32 v17, 0x3f317217, v12, -v17
	v_add_f32_e32 v8, 0xb56603cc, v8
	v_fmamk_f32 v17, v12, 0x3377d1cf, v17
	v_fma_f32 v10, v7, v8, -v10
	v_fmac_f32_e32 v17, 0x3f317217, v12
	v_add_f32_e32 v10, 0x3668e277, v10
	v_fma_f32 v8, v7, v10, -v8
	v_add_f32_e32 v8, 0xb75eafce, v8
	v_fma_f32 v10, v7, v8, -v10
	;; [unrolled: 2-line block ×12, first 2 shown]
	v_cvt_i32_f32_e32 v8, v15
	v_mul_f32_e32 v15, v18, v14
	v_add_f32_e32 v7, 0x3e81531c, v7
	v_ldexp_f32 v8, v13, v8
	v_fma_f32 v13, -v16, v15, v18
	v_sub_f32_e32 v7, v7, v10
	v_cndmask_b32_e32 v8, 0, v8, vcc_lo
	v_cmp_nlt_f32_e32 vcc_lo, 0x42b17218, v9
	v_fmac_f32_e32 v15, v13, v14
	v_mul_f32_e32 v7, 0.5, v7
	v_cndmask_b32_e32 v8, 0x7f800000, v8, vcc_lo
	v_cmp_gt_f32_e64 vcc_lo, 0x7f800000, |v12|
	v_fma_f32 v10, -v16, v15, v18
	v_mul_f32_e32 v7, v9, v7
	v_cndmask_b32_e32 v12, v12, v17, vcc_lo
	s_mov_b32 vcc_lo, s0
	v_mul_f32_e32 v8, v8, v7
	v_div_fmas_f32 v10, v10, v14, v15
	v_sub_f32_e32 v12, v12, v19
	v_div_fixup_f32 v7, v10, v9, v11
                                        ; implicit-def: $vgpr9
	v_fmac_f32_e32 v7, v12, v8
.LBB19_1722:
	s_andn2_saveexec_b32 s5, s5
	s_cbranch_execz .LBB19_1724
; %bb.1723:
	v_div_scale_f32 v7, null, v9, v9, 0x41000000
	v_div_scale_f32 v11, vcc_lo, 0x41000000, v9, 0x41000000
	s_mov_b32 s0, 0xa2d462ea
	v_rcp_f32_e32 v8, v7
	v_fma_f32 v10, -v7, v8, 1.0
	v_fmac_f32_e32 v8, v10, v8
	v_mul_f32_e32 v10, v11, v8
	v_fma_f32 v12, -v7, v10, v11
	v_fmac_f32_e32 v10, v12, v8
	v_mul_f32_e32 v12, 0xbfb8aa3b, v9
	v_fma_f32 v7, -v7, v10, v11
	v_mul_f32_e32 v11, 0x4f800000, v9
	v_rndne_f32_e32 v13, v12
	v_fma_f32 v14, 0xbfb8aa3b, v9, -v12
	v_div_fmas_f32 v7, v7, v8, v10
	v_cmp_gt_f32_e32 vcc_lo, 0xf800000, v9
	v_sub_f32_e32 v12, v12, v13
	v_fmamk_f32 v14, v9, 0xb2a5705f, v14
	v_cvt_i32_f32_e32 v13, v13
	v_div_fixup_f32 v7, v7, v9, 0x41000000
	v_cndmask_b32_e32 v11, v9, v11, vcc_lo
	v_add_f32_e32 v12, v12, v14
	v_add_f32_e32 v7, -2.0, v7
	v_sqrt_f32_e32 v15, v11
	v_exp_f32_e32 v12, v12
	v_fmaak_f32 v8, s0, v7, 0x23a578d4
	v_fmaak_f32 v10, v7, v8, 0x22d462ea
	v_add_nc_u32_e32 v14, -1, v15
	v_add_nc_u32_e32 v16, 1, v15
	v_add_f32_e32 v10, 0xa48330a9, v10
	v_fma_f32 v17, -v14, v15, v11
	v_fma_f32 v18, -v16, v15, v11
	v_fma_f32 v8, v7, v10, -v8
	v_cmp_ge_f32_e64 s0, 0, v17
	v_add_f32_e32 v8, 0x2553eaf2, v8
	v_cndmask_b32_e64 v14, v15, v14, s0
	v_cmp_lt_f32_e64 s0, 0, v18
	v_fma_f32 v10, v7, v8, -v10
	v_add_f32_e32 v10, 0xa62e951f, v10
	v_fma_f32 v8, v7, v10, -v8
	v_add_f32_e32 v8, 0x2712e76f, v8
	;; [unrolled: 2-line block ×20, first 2 shown]
	v_fma_f32 v7, v7, v8, -v10
	v_ldexp_f32 v8, v12, v13
	v_cndmask_b32_e64 v12, v14, v16, s0
	v_cmp_nlt_f32_e64 s0, 0x42ce8ed0, v9
	v_add_f32_e32 v7, 0x402e1ebd, v7
	v_mul_f32_e32 v13, 0x37800000, v12
	v_cndmask_b32_e64 v8, 0, v8, s0
	v_cmp_ngt_f32_e64 s0, 0xc2b17218, v9
	v_sub_f32_e32 v7, v7, v10
	v_cndmask_b32_e32 v9, v12, v13, vcc_lo
	v_cmp_class_f32_e64 vcc_lo, v11, 0x260
	v_cndmask_b32_e64 v8, 0x7f800000, v8, s0
	v_mul_f32_e32 v7, 0.5, v7
	v_cndmask_b32_e32 v9, v9, v11, vcc_lo
	v_mul_f32_e32 v7, v8, v7
	v_div_scale_f32 v8, null, v9, v9, v7
	v_rcp_f32_e32 v10, v8
	v_fma_f32 v11, -v8, v10, 1.0
	v_fmac_f32_e32 v10, v11, v10
	v_div_scale_f32 v11, vcc_lo, v7, v9, v7
	v_mul_f32_e32 v12, v11, v10
	v_fma_f32 v13, -v8, v12, v11
	v_fmac_f32_e32 v12, v13, v10
	v_fma_f32 v8, -v8, v12, v11
	v_div_fmas_f32 v8, v8, v10, v12
	v_div_fixup_f32 v7, v8, v9, v7
.LBB19_1724:
	s_or_b32 exec_lo, exec_lo, s5
.LBB19_1725:
	s_or_b32 exec_lo, exec_lo, s4
.LBB19_1726:
	s_or_b32 exec_lo, exec_lo, s3
	v_add_co_u32 v8, s0, s8, v6
	v_add_co_ci_u32_e64 v9, null, s9, 0, s0
	s_bfe_u32 s3, s2, 0x80008
	s_cmp_lt_i32 s3, 11
	s_cbranch_scc1 .LBB19_1849
; %bb.1727:
	s_and_b32 s4, 0xffff, s3
	s_mov_b32 s7, -1
	s_mov_b32 s5, 0
	s_cmp_gt_i32 s4, 25
	s_mov_b32 s6, 0
	s_mov_b32 s0, 0
	s_cbranch_scc0 .LBB19_1760
; %bb.1728:
	s_cmp_gt_i32 s4, 28
	s_cbranch_scc0 .LBB19_1743
; %bb.1729:
	s_cmp_gt_i32 s4, 43
	;; [unrolled: 3-line block ×3, first 2 shown]
	s_cbranch_scc0 .LBB19_1733
; %bb.1731:
	s_mov_b32 s0, -1
	s_mov_b32 s7, 0
	s_cmp_eq_u32 s4, 46
	s_cbranch_scc0 .LBB19_1733
; %bb.1732:
	v_bfe_u32 v6, v5, 16, 1
	v_cmp_o_f32_e32 vcc_lo, v5, v5
	v_mov_b32_e32 v10, 0x7fc0
	s_mov_b32 s0, 0
	s_mov_b32 s6, -1
	v_add3_u32 v6, v5, v6, 0x7fff
	v_cndmask_b32_sdwa v6, v10, v6, vcc_lo dst_sel:DWORD dst_unused:UNUSED_PAD src0_sel:DWORD src1_sel:WORD_1
	global_store_dword v[8:9], v6, off
.LBB19_1733:
	s_and_b32 vcc_lo, exec_lo, s7
	s_cbranch_vccz .LBB19_1738
; %bb.1734:
	s_cmp_eq_u32 s4, 44
	s_mov_b32 s0, -1
	s_cbranch_scc0 .LBB19_1738
; %bb.1735:
	v_bfe_u32 v10, v5, 23, 8
	v_mov_b32_e32 v6, 0xff
	s_mov_b32 s6, exec_lo
	v_cmpx_ne_u32_e32 0xff, v10
	s_cbranch_execz .LBB19_1737
; %bb.1736:
	v_and_b32_e32 v6, 0x400000, v5
	v_and_or_b32 v10, 0x3fffff, v5, v10
	v_cmp_ne_u32_e32 vcc_lo, 0, v6
	v_cmp_ne_u32_e64 s0, 0, v10
	v_lshrrev_b32_e32 v6, 23, v5
	s_and_b32 s0, vcc_lo, s0
	v_cndmask_b32_e64 v10, 0, 1, s0
	v_add_nc_u32_e32 v6, v6, v10
.LBB19_1737:
	s_or_b32 exec_lo, exec_lo, s6
	s_mov_b32 s0, 0
	s_mov_b32 s6, -1
	global_store_byte v[8:9], v6, off
.LBB19_1738:
	s_mov_b32 s7, 0
.LBB19_1739:
	s_and_b32 vcc_lo, exec_lo, s7
	s_cbranch_vccz .LBB19_1742
; %bb.1740:
	s_cmp_eq_u32 s4, 29
	s_mov_b32 s0, -1
	s_cbranch_scc0 .LBB19_1742
; %bb.1741:
	v_trunc_f32_e32 v6, v5
	s_mov_b32 s0, 0
	s_mov_b32 s6, -1
	v_mul_f32_e32 v10, 0x2f800000, v6
	v_floor_f32_e32 v10, v10
	v_fmamk_f32 v6, v10, 0xcf800000, v6
	v_cvt_u32_f32_e32 v11, v10
	v_cvt_u32_f32_e32 v10, v6
	global_store_dwordx2 v[8:9], v[10:11], off
.LBB19_1742:
	s_mov_b32 s7, 0
.LBB19_1743:
	s_and_b32 vcc_lo, exec_lo, s7
	s_cbranch_vccz .LBB19_1759
; %bb.1744:
	s_cmp_lt_i32 s4, 27
	s_mov_b32 s6, -1
	s_cbranch_scc1 .LBB19_1750
; %bb.1745:
	v_cvt_u32_f32_e32 v6, v5
	s_cmp_gt_i32 s4, 27
	s_cbranch_scc0 .LBB19_1747
; %bb.1746:
	s_mov_b32 s6, 0
	global_store_dword v[8:9], v6, off
.LBB19_1747:
	s_andn2_b32 vcc_lo, exec_lo, s6
	s_cbranch_vccnz .LBB19_1749
; %bb.1748:
	global_store_short v[8:9], v6, off
.LBB19_1749:
	s_mov_b32 s6, 0
.LBB19_1750:
	s_andn2_b32 vcc_lo, exec_lo, s6
	s_cbranch_vccnz .LBB19_1758
; %bb.1751:
	v_and_b32_e32 v6, 0x7fffffff, v5
	v_mov_b32_e32 v10, 0x80
	s_mov_b32 s6, exec_lo
	v_cmpx_gt_u32_e32 0x43800000, v6
	s_cbranch_execz .LBB19_1757
; %bb.1752:
	v_cmp_lt_u32_e32 vcc_lo, 0x3bffffff, v6
	s_mov_b32 s7, 0
                                        ; implicit-def: $vgpr6
	s_and_saveexec_b32 s10, vcc_lo
	s_xor_b32 s10, exec_lo, s10
	s_cbranch_execz .LBB19_2207
; %bb.1753:
	v_bfe_u32 v6, v5, 20, 1
	s_mov_b32 s7, exec_lo
	v_add3_u32 v6, v5, v6, 0x487ffff
	v_lshrrev_b32_e32 v6, 20, v6
	s_andn2_saveexec_b32 s10, s10
	s_cbranch_execnz .LBB19_2208
.LBB19_1754:
	s_or_b32 exec_lo, exec_lo, s10
	v_mov_b32_e32 v10, 0
	s_and_saveexec_b32 s10, s7
.LBB19_1755:
	v_lshrrev_b32_e32 v10, 24, v5
	v_and_or_b32 v10, 0x80, v10, v6
.LBB19_1756:
	s_or_b32 exec_lo, exec_lo, s10
.LBB19_1757:
	s_or_b32 exec_lo, exec_lo, s6
	global_store_byte v[8:9], v10, off
.LBB19_1758:
	s_mov_b32 s6, -1
.LBB19_1759:
	s_mov_b32 s7, 0
.LBB19_1760:
	s_and_b32 vcc_lo, exec_lo, s7
	s_cbranch_vccz .LBB19_1800
; %bb.1761:
	s_cmp_gt_i32 s4, 22
	s_mov_b32 s5, -1
	s_cbranch_scc0 .LBB19_1793
; %bb.1762:
	s_cmp_lt_i32 s4, 24
	s_cbranch_scc1 .LBB19_1782
; %bb.1763:
	s_cmp_gt_i32 s4, 24
	s_cbranch_scc0 .LBB19_1771
; %bb.1764:
	v_and_b32_e32 v6, 0x7fffffff, v5
	v_mov_b32_e32 v10, 0x80
	s_mov_b32 s5, exec_lo
	v_cmpx_gt_u32_e32 0x47800000, v6
	s_cbranch_execz .LBB19_1770
; %bb.1765:
	v_cmp_lt_u32_e32 vcc_lo, 0x37ffffff, v6
	s_mov_b32 s6, 0
                                        ; implicit-def: $vgpr6
	s_and_saveexec_b32 s7, vcc_lo
	s_xor_b32 s7, exec_lo, s7
	s_cbranch_execz .LBB19_2210
; %bb.1766:
	v_bfe_u32 v6, v5, 21, 1
	s_mov_b32 s6, exec_lo
	v_add3_u32 v6, v5, v6, 0x88fffff
	v_lshrrev_b32_e32 v6, 21, v6
	s_andn2_saveexec_b32 s7, s7
	s_cbranch_execnz .LBB19_2211
.LBB19_1767:
	s_or_b32 exec_lo, exec_lo, s7
	v_mov_b32_e32 v10, 0
	s_and_saveexec_b32 s7, s6
.LBB19_1768:
	v_lshrrev_b32_e32 v10, 24, v5
	v_and_or_b32 v10, 0x80, v10, v6
.LBB19_1769:
	s_or_b32 exec_lo, exec_lo, s7
.LBB19_1770:
	s_or_b32 exec_lo, exec_lo, s5
	s_mov_b32 s5, 0
	global_store_byte v[8:9], v10, off
.LBB19_1771:
	s_and_b32 vcc_lo, exec_lo, s5
	s_cbranch_vccz .LBB19_1781
; %bb.1772:
	v_and_b32_e32 v10, 0x7fffffff, v5
	s_mov_b32 s5, exec_lo
                                        ; implicit-def: $vgpr6
	v_cmpx_gt_u32_e32 0x43f00000, v10
	s_xor_b32 s5, exec_lo, s5
	s_cbranch_execz .LBB19_1778
; %bb.1773:
	s_mov_b32 s6, exec_lo
                                        ; implicit-def: $vgpr6
	v_cmpx_lt_u32_e32 0x3c7fffff, v10
	s_xor_b32 s6, exec_lo, s6
; %bb.1774:
	v_bfe_u32 v6, v5, 20, 1
	v_add3_u32 v6, v5, v6, 0x407ffff
	v_and_b32_e32 v10, 0xff00000, v6
	v_lshrrev_b32_e32 v6, 20, v6
	v_cmp_ne_u32_e32 vcc_lo, 0x7f00000, v10
	v_cndmask_b32_e32 v6, 0x7e, v6, vcc_lo
; %bb.1775:
	s_andn2_saveexec_b32 s6, s6
; %bb.1776:
	v_add_f32_e64 v6, 0x46800000, |v5|
; %bb.1777:
	s_or_b32 exec_lo, exec_lo, s6
                                        ; implicit-def: $vgpr10
.LBB19_1778:
	s_andn2_saveexec_b32 s5, s5
; %bb.1779:
	v_mov_b32_e32 v6, 0x7f
	v_cmp_lt_u32_e32 vcc_lo, 0x7f800000, v10
	v_cndmask_b32_e32 v6, 0x7e, v6, vcc_lo
; %bb.1780:
	s_or_b32 exec_lo, exec_lo, s5
	v_lshrrev_b32_e32 v10, 24, v5
	v_and_or_b32 v6, 0x80, v10, v6
	global_store_byte v[8:9], v6, off
.LBB19_1781:
	s_mov_b32 s5, 0
.LBB19_1782:
	s_andn2_b32 vcc_lo, exec_lo, s5
	s_cbranch_vccnz .LBB19_1792
; %bb.1783:
	v_and_b32_e32 v10, 0x7fffffff, v5
	s_mov_b32 s5, exec_lo
                                        ; implicit-def: $vgpr6
	v_cmpx_gt_u32_e32 0x47800000, v10
	s_xor_b32 s5, exec_lo, s5
	s_cbranch_execz .LBB19_1789
; %bb.1784:
	s_mov_b32 s6, exec_lo
                                        ; implicit-def: $vgpr6
	v_cmpx_lt_u32_e32 0x387fffff, v10
	s_xor_b32 s6, exec_lo, s6
; %bb.1785:
	v_bfe_u32 v6, v5, 21, 1
	v_add3_u32 v6, v5, v6, 0x80fffff
	v_lshrrev_b32_e32 v6, 21, v6
; %bb.1786:
	s_andn2_saveexec_b32 s6, s6
; %bb.1787:
	v_add_f32_e64 v6, 0x43000000, |v5|
; %bb.1788:
	s_or_b32 exec_lo, exec_lo, s6
                                        ; implicit-def: $vgpr10
.LBB19_1789:
	s_andn2_saveexec_b32 s5, s5
; %bb.1790:
	v_mov_b32_e32 v6, 0x7f
	v_cmp_lt_u32_e32 vcc_lo, 0x7f800000, v10
	v_cndmask_b32_e32 v6, 0x7c, v6, vcc_lo
; %bb.1791:
	s_or_b32 exec_lo, exec_lo, s5
	v_lshrrev_b32_e32 v10, 24, v5
	v_and_or_b32 v6, 0x80, v10, v6
	global_store_byte v[8:9], v6, off
.LBB19_1792:
	s_mov_b32 s5, 0
	s_mov_b32 s6, -1
.LBB19_1793:
	s_andn2_b32 vcc_lo, exec_lo, s5
	s_mov_b32 s5, 0
	s_cbranch_vccnz .LBB19_1800
; %bb.1794:
	s_cmp_gt_i32 s4, 14
	s_mov_b32 s5, -1
	s_cbranch_scc0 .LBB19_1798
; %bb.1795:
	s_cmp_eq_u32 s4, 15
	s_mov_b32 s0, -1
	s_cbranch_scc0 .LBB19_1797
; %bb.1796:
	v_bfe_u32 v6, v5, 16, 1
	v_cmp_o_f32_e32 vcc_lo, v5, v5
	v_mov_b32_e32 v10, 0x7fc0
	s_mov_b32 s0, 0
	s_mov_b32 s6, -1
	v_add3_u32 v6, v5, v6, 0x7fff
	v_cndmask_b32_sdwa v6, v10, v6, vcc_lo dst_sel:DWORD dst_unused:UNUSED_PAD src0_sel:DWORD src1_sel:WORD_1
	global_store_short v[8:9], v6, off
.LBB19_1797:
	s_mov_b32 s5, 0
.LBB19_1798:
	s_and_b32 vcc_lo, exec_lo, s5
	s_mov_b32 s5, 0
	s_cbranch_vccz .LBB19_1800
; %bb.1799:
	s_cmp_lg_u32 s4, 11
	s_mov_b32 s5, -1
	s_cselect_b32 s0, -1, 0
.LBB19_1800:
	s_and_b32 vcc_lo, exec_lo, s0
	s_cbranch_vccnz .LBB19_2209
; %bb.1801:
	s_andn2_b32 vcc_lo, exec_lo, s5
	s_cbranch_vccnz .LBB19_1803
.LBB19_1802:
	v_cmp_neq_f32_e32 vcc_lo, 0, v5
	s_mov_b32 s6, -1
	v_cndmask_b32_e64 v6, 0, 1, vcc_lo
	global_store_byte v[8:9], v6, off
.LBB19_1803:
	s_mov_b32 s0, 0
	s_branch .LBB19_1850
.LBB19_1804:
	s_mov_b32 s0, 0
	s_mov_b32 s3, 0
                                        ; implicit-def: $vgpr0_vgpr1
                                        ; implicit-def: $sgpr6
                                        ; implicit-def: $vgpr7
.LBB19_1805:
	s_andn2_b32 s2, s12, exec_lo
	s_and_b32 s1, s1, exec_lo
	s_and_b32 s0, s0, exec_lo
	;; [unrolled: 1-line block ×3, first 2 shown]
	s_or_b32 s12, s2, s1
.LBB19_1806:
	s_or_b32 exec_lo, exec_lo, s13
	s_and_saveexec_b32 s1, s12
	s_cbranch_execz .LBB19_1809
; %bb.1807:
	; divergent unreachable
	s_or_b32 exec_lo, exec_lo, s1
	s_and_saveexec_b32 s1, s26
	s_xor_b32 s1, exec_lo, s1
	s_cbranch_execnz .LBB19_1810
.LBB19_1808:
	s_or_b32 exec_lo, exec_lo, s1
	s_and_saveexec_b32 s1, s0
	s_cbranch_execnz .LBB19_1811
	s_branch .LBB19_1848
.LBB19_1809:
	s_or_b32 exec_lo, exec_lo, s1
	s_and_saveexec_b32 s1, s26
	s_xor_b32 s1, exec_lo, s1
	s_cbranch_execz .LBB19_1808
.LBB19_1810:
	v_cmp_neq_f32_e32 vcc_lo, 0, v7
	v_cndmask_b32_e64 v2, 0, 1, vcc_lo
	s_waitcnt vmcnt(0)
	global_store_byte v[0:1], v2, off
	s_or_b32 exec_lo, exec_lo, s1
	s_and_saveexec_b32 s1, s0
	s_cbranch_execz .LBB19_1848
.LBB19_1811:
	s_sext_i32_i16 s1, s6
	s_mov_b32 s0, -1
	s_cmp_lt_i32 s1, 5
	s_cbranch_scc1 .LBB19_1832
; %bb.1812:
	s_cmp_lt_i32 s1, 8
	s_cbranch_scc1 .LBB19_1822
; %bb.1813:
	;; [unrolled: 3-line block ×3, first 2 shown]
	s_cmp_gt_i32 s1, 9
	s_cbranch_scc0 .LBB19_1816
; %bb.1815:
	s_waitcnt vmcnt(0)
	v_cvt_f64_f32_e32 v[2:3], v7
	v_mov_b32_e32 v4, 0
	s_mov_b32 s0, 0
	v_mov_b32_e32 v5, v4
	global_store_dwordx4 v[0:1], v[2:5], off
.LBB19_1816:
	s_andn2_b32 vcc_lo, exec_lo, s0
	s_cbranch_vccnz .LBB19_1818
; %bb.1817:
	v_mov_b32_e32 v8, 0
	s_waitcnt vmcnt(0)
	global_store_dwordx2 v[0:1], v[7:8], off
.LBB19_1818:
	s_mov_b32 s0, 0
.LBB19_1819:
	s_andn2_b32 vcc_lo, exec_lo, s0
	s_cbranch_vccnz .LBB19_1821
; %bb.1820:
	v_cvt_f16_f32_e32 v2, v7
	v_and_b32_e32 v2, 0xffff, v2
	s_waitcnt vmcnt(0)
	global_store_dword v[0:1], v2, off
.LBB19_1821:
	s_mov_b32 s0, 0
.LBB19_1822:
	s_andn2_b32 vcc_lo, exec_lo, s0
	s_cbranch_vccnz .LBB19_1831
; %bb.1823:
	s_sext_i32_i16 s1, s6
	s_mov_b32 s0, -1
	s_cmp_lt_i32 s1, 6
	s_cbranch_scc1 .LBB19_1829
; %bb.1824:
	s_cmp_gt_i32 s1, 6
	s_cbranch_scc0 .LBB19_1826
; %bb.1825:
	s_waitcnt vmcnt(0)
	v_cvt_f64_f32_e32 v[2:3], v7
	s_mov_b32 s0, 0
	global_store_dwordx2 v[0:1], v[2:3], off
.LBB19_1826:
	s_andn2_b32 vcc_lo, exec_lo, s0
	s_cbranch_vccnz .LBB19_1828
; %bb.1827:
	s_waitcnt vmcnt(0)
	global_store_dword v[0:1], v7, off
.LBB19_1828:
	s_mov_b32 s0, 0
.LBB19_1829:
	s_andn2_b32 vcc_lo, exec_lo, s0
	s_cbranch_vccnz .LBB19_1831
; %bb.1830:
	v_cvt_f16_f32_e32 v2, v7
	s_waitcnt vmcnt(0)
	global_store_short v[0:1], v2, off
.LBB19_1831:
	s_mov_b32 s0, 0
.LBB19_1832:
	s_andn2_b32 vcc_lo, exec_lo, s0
	s_cbranch_vccnz .LBB19_1848
; %bb.1833:
	s_sext_i32_i16 s1, s6
	s_mov_b32 s0, -1
	s_cmp_lt_i32 s1, 2
	s_cbranch_scc1 .LBB19_1843
; %bb.1834:
	s_cmp_lt_i32 s1, 3
	s_cbranch_scc1 .LBB19_1840
; %bb.1835:
	s_cmp_gt_i32 s1, 3
	s_cbranch_scc0 .LBB19_1837
; %bb.1836:
	v_trunc_f32_e32 v2, v7
	s_mov_b32 s0, 0
	s_waitcnt vmcnt(0)
	v_mul_f32_e64 v3, 0x2f800000, |v2|
	v_ashrrev_i32_e32 v5, 31, v2
	v_floor_f32_e32 v3, v3
	v_fma_f32 v4, 0xcf800000, v3, |v2|
	v_cvt_u32_f32_e32 v3, v3
	v_cvt_u32_f32_e32 v2, v4
	v_xor_b32_e32 v3, v3, v5
	v_xor_b32_e32 v2, v2, v5
	v_sub_co_u32 v2, vcc_lo, v2, v5
	v_sub_co_ci_u32_e64 v3, null, v3, v5, vcc_lo
	global_store_dwordx2 v[0:1], v[2:3], off
.LBB19_1837:
	s_andn2_b32 vcc_lo, exec_lo, s0
	s_cbranch_vccnz .LBB19_1839
; %bb.1838:
	v_cvt_i32_f32_e32 v2, v7
	s_waitcnt vmcnt(0)
	global_store_dword v[0:1], v2, off
.LBB19_1839:
	s_mov_b32 s0, 0
.LBB19_1840:
	s_andn2_b32 vcc_lo, exec_lo, s0
	s_cbranch_vccnz .LBB19_1842
; %bb.1841:
	v_cvt_i32_f32_e32 v2, v7
	s_waitcnt vmcnt(0)
	global_store_short v[0:1], v2, off
.LBB19_1842:
	s_mov_b32 s0, 0
.LBB19_1843:
	s_andn2_b32 vcc_lo, exec_lo, s0
	s_cbranch_vccnz .LBB19_1848
; %bb.1844:
	s_sext_i32_i16 s0, s6
	s_cmp_gt_i32 s0, 0
	s_mov_b32 s0, -1
	s_cbranch_scc0 .LBB19_1846
; %bb.1845:
	v_cvt_i32_f32_e32 v2, v7
	s_mov_b32 s0, 0
	s_waitcnt vmcnt(0)
	global_store_byte v[0:1], v2, off
.LBB19_1846:
	s_andn2_b32 vcc_lo, exec_lo, s0
	s_cbranch_vccnz .LBB19_1848
; %bb.1847:
	v_trunc_f32_e32 v2, v7
	s_waitcnt vmcnt(0)
	v_mul_f32_e64 v3, 0x2f800000, |v2|
	v_floor_f32_e32 v3, v3
	v_fma_f32 v3, 0xcf800000, v3, |v2|
	v_ashrrev_i32_e32 v2, 31, v2
	v_cvt_u32_f32_e32 v3, v3
	v_xor_b32_e32 v3, v3, v2
	v_sub_nc_u32_e32 v2, v3, v2
	global_store_byte v[0:1], v2, off
	s_endpgm
.LBB19_1848:
	s_endpgm
.LBB19_1849:
	s_mov_b32 s0, -1
	s_mov_b32 s6, 0
.LBB19_1850:
	s_and_b32 vcc_lo, exec_lo, s0
	s_cbranch_vccz .LBB19_1889
; %bb.1851:
	s_and_b32 s0, 0xffff, s3
	s_mov_b32 s3, -1
	s_cmp_lt_i32 s0, 5
	s_cbranch_scc1 .LBB19_1872
; %bb.1852:
	s_cmp_lt_i32 s0, 8
	s_cbranch_scc1 .LBB19_1862
; %bb.1853:
	;; [unrolled: 3-line block ×3, first 2 shown]
	s_cmp_gt_i32 s0, 9
	s_cbranch_scc0 .LBB19_1856
; %bb.1855:
	v_cvt_f64_f32_e32 v[10:11], v5
	v_mov_b32_e32 v12, 0
	s_mov_b32 s3, 0
	v_mov_b32_e32 v13, v12
	global_store_dwordx4 v[8:9], v[10:13], off
.LBB19_1856:
	s_andn2_b32 vcc_lo, exec_lo, s3
	s_cbranch_vccnz .LBB19_1858
; %bb.1857:
	v_mov_b32_e32 v6, 0
	global_store_dwordx2 v[8:9], v[5:6], off
.LBB19_1858:
	s_mov_b32 s3, 0
.LBB19_1859:
	s_andn2_b32 vcc_lo, exec_lo, s3
	s_cbranch_vccnz .LBB19_1861
; %bb.1860:
	v_cvt_f16_f32_e32 v6, v5
	v_and_b32_e32 v6, 0xffff, v6
	global_store_dword v[8:9], v6, off
.LBB19_1861:
	s_mov_b32 s3, 0
.LBB19_1862:
	s_andn2_b32 vcc_lo, exec_lo, s3
	s_cbranch_vccnz .LBB19_1871
; %bb.1863:
	s_cmp_lt_i32 s0, 6
	s_mov_b32 s3, -1
	s_cbranch_scc1 .LBB19_1869
; %bb.1864:
	s_cmp_gt_i32 s0, 6
	s_cbranch_scc0 .LBB19_1866
; %bb.1865:
	v_cvt_f64_f32_e32 v[10:11], v5
	s_mov_b32 s3, 0
	global_store_dwordx2 v[8:9], v[10:11], off
.LBB19_1866:
	s_andn2_b32 vcc_lo, exec_lo, s3
	s_cbranch_vccnz .LBB19_1868
; %bb.1867:
	global_store_dword v[8:9], v5, off
.LBB19_1868:
	s_mov_b32 s3, 0
.LBB19_1869:
	s_andn2_b32 vcc_lo, exec_lo, s3
	s_cbranch_vccnz .LBB19_1871
; %bb.1870:
	v_cvt_f16_f32_e32 v6, v5
	global_store_short v[8:9], v6, off
.LBB19_1871:
	s_mov_b32 s3, 0
.LBB19_1872:
	s_andn2_b32 vcc_lo, exec_lo, s3
	s_cbranch_vccnz .LBB19_1888
; %bb.1873:
	s_cmp_lt_i32 s0, 2
	s_mov_b32 s3, -1
	s_cbranch_scc1 .LBB19_1883
; %bb.1874:
	s_cmp_lt_i32 s0, 3
	s_cbranch_scc1 .LBB19_1880
; %bb.1875:
	s_cmp_gt_i32 s0, 3
	s_cbranch_scc0 .LBB19_1877
; %bb.1876:
	v_trunc_f32_e32 v6, v5
	s_mov_b32 s3, 0
	v_mul_f32_e64 v10, 0x2f800000, |v6|
	v_floor_f32_e32 v10, v10
	v_fma_f32 v11, 0xcf800000, v10, |v6|
	v_ashrrev_i32_e32 v6, 31, v6
	v_cvt_u32_f32_e32 v10, v10
	v_cvt_u32_f32_e32 v11, v11
	v_xor_b32_e32 v12, v10, v6
	v_xor_b32_e32 v11, v11, v6
	v_sub_co_u32 v10, vcc_lo, v11, v6
	v_sub_co_ci_u32_e64 v11, null, v12, v6, vcc_lo
	global_store_dwordx2 v[8:9], v[10:11], off
.LBB19_1877:
	s_andn2_b32 vcc_lo, exec_lo, s3
	s_cbranch_vccnz .LBB19_1879
; %bb.1878:
	v_cvt_i32_f32_e32 v6, v5
	global_store_dword v[8:9], v6, off
.LBB19_1879:
	s_mov_b32 s3, 0
.LBB19_1880:
	s_andn2_b32 vcc_lo, exec_lo, s3
	s_cbranch_vccnz .LBB19_1882
; %bb.1881:
	v_cvt_i32_f32_e32 v6, v5
	global_store_short v[8:9], v6, off
.LBB19_1882:
	s_mov_b32 s3, 0
.LBB19_1883:
	s_andn2_b32 vcc_lo, exec_lo, s3
	s_cbranch_vccnz .LBB19_1888
; %bb.1884:
	s_cmp_gt_i32 s0, 0
	s_mov_b32 s0, -1
	s_cbranch_scc0 .LBB19_1886
; %bb.1885:
	v_cvt_i32_f32_e32 v6, v5
	s_mov_b32 s0, 0
	global_store_byte v[8:9], v6, off
.LBB19_1886:
	s_andn2_b32 vcc_lo, exec_lo, s0
	s_cbranch_vccnz .LBB19_1888
; %bb.1887:
	v_trunc_f32_e32 v5, v5
	v_mul_f32_e64 v6, 0x2f800000, |v5|
	v_floor_f32_e32 v6, v6
	v_fma_f32 v6, 0xcf800000, v6, |v5|
	v_ashrrev_i32_e32 v5, 31, v5
	v_cvt_u32_f32_e32 v6, v6
	v_xor_b32_e32 v6, v6, v5
	v_sub_nc_u32_e32 v5, v6, v5
	global_store_byte v[8:9], v5, off
.LBB19_1888:
	s_mov_b32 s6, -1
.LBB19_1889:
	s_andn2_b32 vcc_lo, exec_lo, s6
	s_cbranch_vccnz .LBB19_2204
; %bb.1890:
	s_lshr_b32 s0, s2, 8
	s_and_b32 s6, s0, 0xff
	v_add_co_u32 v5, s0, s8, v4
	v_add_co_ci_u32_e64 v6, null, s9, 0, s0
	s_cmp_lt_i32 s6, 11
	s_cbranch_scc1 .LBB19_1968
; %bb.1891:
	s_and_b32 s2, 0xffff, s6
	s_mov_b32 s5, -1
	s_mov_b32 s3, 0
	s_cmp_gt_i32 s2, 25
	s_mov_b32 s4, 0
	s_mov_b32 s0, 0
	s_cbranch_scc0 .LBB19_1924
; %bb.1892:
	s_cmp_gt_i32 s2, 28
	s_cbranch_scc0 .LBB19_1907
; %bb.1893:
	s_cmp_gt_i32 s2, 43
	;; [unrolled: 3-line block ×3, first 2 shown]
	s_cbranch_scc0 .LBB19_1897
; %bb.1895:
	s_mov_b32 s0, -1
	s_mov_b32 s5, 0
	s_cmp_eq_u32 s2, 46
	s_cbranch_scc0 .LBB19_1897
; %bb.1896:
	v_bfe_u32 v4, v3, 16, 1
	v_cmp_o_f32_e32 vcc_lo, v3, v3
	v_mov_b32_e32 v8, 0x7fc0
	s_mov_b32 s0, 0
	s_mov_b32 s4, -1
	v_add3_u32 v4, v3, v4, 0x7fff
	v_cndmask_b32_sdwa v4, v8, v4, vcc_lo dst_sel:DWORD dst_unused:UNUSED_PAD src0_sel:DWORD src1_sel:WORD_1
	global_store_dword v[5:6], v4, off
.LBB19_1897:
	s_and_b32 vcc_lo, exec_lo, s5
	s_cbranch_vccz .LBB19_1902
; %bb.1898:
	s_cmp_eq_u32 s2, 44
	s_mov_b32 s0, -1
	s_cbranch_scc0 .LBB19_1902
; %bb.1899:
	v_bfe_u32 v8, v3, 23, 8
	v_mov_b32_e32 v4, 0xff
	s_mov_b32 s4, exec_lo
	v_cmpx_ne_u32_e32 0xff, v8
	s_cbranch_execz .LBB19_1901
; %bb.1900:
	v_and_b32_e32 v4, 0x400000, v3
	v_and_or_b32 v8, 0x3fffff, v3, v8
	v_cmp_ne_u32_e32 vcc_lo, 0, v4
	v_cmp_ne_u32_e64 s0, 0, v8
	v_lshrrev_b32_e32 v4, 23, v3
	s_and_b32 s0, vcc_lo, s0
	v_cndmask_b32_e64 v8, 0, 1, s0
	v_add_nc_u32_e32 v4, v4, v8
.LBB19_1901:
	s_or_b32 exec_lo, exec_lo, s4
	s_mov_b32 s0, 0
	s_mov_b32 s4, -1
	global_store_byte v[5:6], v4, off
.LBB19_1902:
	s_mov_b32 s5, 0
.LBB19_1903:
	s_and_b32 vcc_lo, exec_lo, s5
	s_cbranch_vccz .LBB19_1906
; %bb.1904:
	s_cmp_eq_u32 s2, 29
	s_mov_b32 s0, -1
	s_cbranch_scc0 .LBB19_1906
; %bb.1905:
	v_trunc_f32_e32 v4, v3
	s_mov_b32 s0, 0
	s_mov_b32 s4, -1
	v_mul_f32_e32 v8, 0x2f800000, v4
	v_floor_f32_e32 v8, v8
	v_fmamk_f32 v4, v8, 0xcf800000, v4
	v_cvt_u32_f32_e32 v9, v8
	v_cvt_u32_f32_e32 v8, v4
	global_store_dwordx2 v[5:6], v[8:9], off
.LBB19_1906:
	s_mov_b32 s5, 0
.LBB19_1907:
	s_and_b32 vcc_lo, exec_lo, s5
	s_cbranch_vccz .LBB19_1923
; %bb.1908:
	s_cmp_lt_i32 s2, 27
	s_mov_b32 s4, -1
	s_cbranch_scc1 .LBB19_1914
; %bb.1909:
	s_cmp_gt_i32 s2, 27
	s_cbranch_scc0 .LBB19_1911
; %bb.1910:
	v_cvt_u32_f32_e32 v4, v3
	s_mov_b32 s4, 0
	global_store_dword v[5:6], v4, off
.LBB19_1911:
	s_andn2_b32 vcc_lo, exec_lo, s4
	s_cbranch_vccnz .LBB19_1913
; %bb.1912:
	v_cvt_u32_f32_e32 v4, v3
	global_store_short v[5:6], v4, off
.LBB19_1913:
	s_mov_b32 s4, 0
.LBB19_1914:
	s_andn2_b32 vcc_lo, exec_lo, s4
	s_cbranch_vccnz .LBB19_1922
; %bb.1915:
	v_and_b32_e32 v4, 0x7fffffff, v3
	v_mov_b32_e32 v8, 0x80
	s_mov_b32 s4, exec_lo
	v_cmpx_gt_u32_e32 0x43800000, v4
	s_cbranch_execz .LBB19_1921
; %bb.1916:
	v_cmp_lt_u32_e32 vcc_lo, 0x3bffffff, v4
	s_mov_b32 s5, 0
                                        ; implicit-def: $vgpr4
	s_and_saveexec_b32 s7, vcc_lo
	s_xor_b32 s7, exec_lo, s7
	s_cbranch_execz .LBB19_2212
; %bb.1917:
	v_bfe_u32 v4, v3, 20, 1
	s_mov_b32 s5, exec_lo
	v_add3_u32 v4, v3, v4, 0x487ffff
	v_lshrrev_b32_e32 v4, 20, v4
	s_andn2_saveexec_b32 s7, s7
	s_cbranch_execnz .LBB19_2213
.LBB19_1918:
	s_or_b32 exec_lo, exec_lo, s7
	v_mov_b32_e32 v8, 0
	s_and_saveexec_b32 s7, s5
.LBB19_1919:
	v_lshrrev_b32_e32 v8, 24, v3
	v_and_or_b32 v8, 0x80, v8, v4
.LBB19_1920:
	s_or_b32 exec_lo, exec_lo, s7
.LBB19_1921:
	s_or_b32 exec_lo, exec_lo, s4
	global_store_byte v[5:6], v8, off
.LBB19_1922:
	s_mov_b32 s4, -1
.LBB19_1923:
	s_mov_b32 s5, 0
.LBB19_1924:
	s_and_b32 vcc_lo, exec_lo, s5
	s_cbranch_vccz .LBB19_1964
; %bb.1925:
	s_cmp_gt_i32 s2, 22
	s_mov_b32 s3, -1
	s_cbranch_scc0 .LBB19_1957
; %bb.1926:
	s_cmp_lt_i32 s2, 24
	s_cbranch_scc1 .LBB19_1946
; %bb.1927:
	s_cmp_gt_i32 s2, 24
	s_cbranch_scc0 .LBB19_1935
; %bb.1928:
	v_and_b32_e32 v4, 0x7fffffff, v3
	v_mov_b32_e32 v8, 0x80
	s_mov_b32 s3, exec_lo
	v_cmpx_gt_u32_e32 0x47800000, v4
	s_cbranch_execz .LBB19_1934
; %bb.1929:
	v_cmp_lt_u32_e32 vcc_lo, 0x37ffffff, v4
	s_mov_b32 s4, 0
                                        ; implicit-def: $vgpr4
	s_and_saveexec_b32 s5, vcc_lo
	s_xor_b32 s5, exec_lo, s5
	s_cbranch_execz .LBB19_2215
; %bb.1930:
	v_bfe_u32 v4, v3, 21, 1
	s_mov_b32 s4, exec_lo
	v_add3_u32 v4, v3, v4, 0x88fffff
	v_lshrrev_b32_e32 v4, 21, v4
	s_andn2_saveexec_b32 s5, s5
	s_cbranch_execnz .LBB19_2216
.LBB19_1931:
	s_or_b32 exec_lo, exec_lo, s5
	v_mov_b32_e32 v8, 0
	s_and_saveexec_b32 s5, s4
.LBB19_1932:
	v_lshrrev_b32_e32 v8, 24, v3
	v_and_or_b32 v8, 0x80, v8, v4
.LBB19_1933:
	s_or_b32 exec_lo, exec_lo, s5
.LBB19_1934:
	s_or_b32 exec_lo, exec_lo, s3
	s_mov_b32 s3, 0
	global_store_byte v[5:6], v8, off
.LBB19_1935:
	s_and_b32 vcc_lo, exec_lo, s3
	s_cbranch_vccz .LBB19_1945
; %bb.1936:
	v_and_b32_e32 v8, 0x7fffffff, v3
	s_mov_b32 s3, exec_lo
                                        ; implicit-def: $vgpr4
	v_cmpx_gt_u32_e32 0x43f00000, v8
	s_xor_b32 s3, exec_lo, s3
	s_cbranch_execz .LBB19_1942
; %bb.1937:
	s_mov_b32 s4, exec_lo
                                        ; implicit-def: $vgpr4
	v_cmpx_lt_u32_e32 0x3c7fffff, v8
	s_xor_b32 s4, exec_lo, s4
; %bb.1938:
	v_bfe_u32 v4, v3, 20, 1
	v_add3_u32 v4, v3, v4, 0x407ffff
	v_and_b32_e32 v8, 0xff00000, v4
	v_lshrrev_b32_e32 v4, 20, v4
	v_cmp_ne_u32_e32 vcc_lo, 0x7f00000, v8
	v_cndmask_b32_e32 v4, 0x7e, v4, vcc_lo
; %bb.1939:
	s_andn2_saveexec_b32 s4, s4
; %bb.1940:
	v_add_f32_e64 v4, 0x46800000, |v3|
; %bb.1941:
	s_or_b32 exec_lo, exec_lo, s4
                                        ; implicit-def: $vgpr8
.LBB19_1942:
	s_andn2_saveexec_b32 s3, s3
; %bb.1943:
	v_mov_b32_e32 v4, 0x7f
	v_cmp_lt_u32_e32 vcc_lo, 0x7f800000, v8
	v_cndmask_b32_e32 v4, 0x7e, v4, vcc_lo
; %bb.1944:
	s_or_b32 exec_lo, exec_lo, s3
	v_lshrrev_b32_e32 v8, 24, v3
	v_and_or_b32 v4, 0x80, v8, v4
	global_store_byte v[5:6], v4, off
.LBB19_1945:
	s_mov_b32 s3, 0
.LBB19_1946:
	s_andn2_b32 vcc_lo, exec_lo, s3
	s_cbranch_vccnz .LBB19_1956
; %bb.1947:
	v_and_b32_e32 v8, 0x7fffffff, v3
	s_mov_b32 s3, exec_lo
                                        ; implicit-def: $vgpr4
	v_cmpx_gt_u32_e32 0x47800000, v8
	s_xor_b32 s3, exec_lo, s3
	s_cbranch_execz .LBB19_1953
; %bb.1948:
	s_mov_b32 s4, exec_lo
                                        ; implicit-def: $vgpr4
	v_cmpx_lt_u32_e32 0x387fffff, v8
	s_xor_b32 s4, exec_lo, s4
; %bb.1949:
	v_bfe_u32 v4, v3, 21, 1
	v_add3_u32 v4, v3, v4, 0x80fffff
	v_lshrrev_b32_e32 v4, 21, v4
; %bb.1950:
	s_andn2_saveexec_b32 s4, s4
; %bb.1951:
	v_add_f32_e64 v4, 0x43000000, |v3|
; %bb.1952:
	s_or_b32 exec_lo, exec_lo, s4
                                        ; implicit-def: $vgpr8
.LBB19_1953:
	s_andn2_saveexec_b32 s3, s3
; %bb.1954:
	v_mov_b32_e32 v4, 0x7f
	v_cmp_lt_u32_e32 vcc_lo, 0x7f800000, v8
	v_cndmask_b32_e32 v4, 0x7c, v4, vcc_lo
; %bb.1955:
	s_or_b32 exec_lo, exec_lo, s3
	v_lshrrev_b32_e32 v8, 24, v3
	v_and_or_b32 v4, 0x80, v8, v4
	global_store_byte v[5:6], v4, off
.LBB19_1956:
	s_mov_b32 s3, 0
	s_mov_b32 s4, -1
.LBB19_1957:
	s_andn2_b32 vcc_lo, exec_lo, s3
	s_mov_b32 s3, 0
	s_cbranch_vccnz .LBB19_1964
; %bb.1958:
	s_cmp_gt_i32 s2, 14
	s_mov_b32 s3, -1
	s_cbranch_scc0 .LBB19_1962
; %bb.1959:
	s_cmp_eq_u32 s2, 15
	s_mov_b32 s0, -1
	s_cbranch_scc0 .LBB19_1961
; %bb.1960:
	v_bfe_u32 v4, v3, 16, 1
	v_cmp_o_f32_e32 vcc_lo, v3, v3
	v_mov_b32_e32 v8, 0x7fc0
	s_mov_b32 s0, 0
	s_mov_b32 s4, -1
	v_add3_u32 v4, v3, v4, 0x7fff
	v_cndmask_b32_sdwa v4, v8, v4, vcc_lo dst_sel:DWORD dst_unused:UNUSED_PAD src0_sel:DWORD src1_sel:WORD_1
	global_store_short v[5:6], v4, off
.LBB19_1961:
	s_mov_b32 s3, 0
.LBB19_1962:
	s_and_b32 vcc_lo, exec_lo, s3
	s_mov_b32 s3, 0
	s_cbranch_vccz .LBB19_1964
; %bb.1963:
	s_cmp_lg_u32 s2, 11
	s_mov_b32 s3, -1
	s_cselect_b32 s0, -1, 0
.LBB19_1964:
	s_and_b32 vcc_lo, exec_lo, s0
	s_cbranch_vccnz .LBB19_2214
; %bb.1965:
	s_andn2_b32 vcc_lo, exec_lo, s3
	s_cbranch_vccnz .LBB19_1967
.LBB19_1966:
	v_cmp_neq_f32_e32 vcc_lo, 0, v3
	s_mov_b32 s4, -1
	v_cndmask_b32_e64 v4, 0, 1, vcc_lo
	global_store_byte v[5:6], v4, off
.LBB19_1967:
	s_mov_b32 s0, 0
	s_branch .LBB19_1969
.LBB19_1968:
	s_mov_b32 s0, -1
	s_mov_b32 s4, 0
.LBB19_1969:
	s_and_b32 vcc_lo, exec_lo, s0
	s_cbranch_vccz .LBB19_2008
; %bb.1970:
	s_and_b32 s0, 0xffff, s6
	s_mov_b32 s2, -1
	s_cmp_lt_i32 s0, 5
	s_cbranch_scc1 .LBB19_1991
; %bb.1971:
	s_cmp_lt_i32 s0, 8
	s_cbranch_scc1 .LBB19_1981
; %bb.1972:
	;; [unrolled: 3-line block ×3, first 2 shown]
	s_cmp_gt_i32 s0, 9
	s_cbranch_scc0 .LBB19_1975
; %bb.1974:
	v_cvt_f64_f32_e32 v[8:9], v3
	v_mov_b32_e32 v10, 0
	s_mov_b32 s2, 0
	v_mov_b32_e32 v11, v10
	global_store_dwordx4 v[5:6], v[8:11], off
.LBB19_1975:
	s_andn2_b32 vcc_lo, exec_lo, s2
	s_cbranch_vccnz .LBB19_1977
; %bb.1976:
	v_mov_b32_e32 v4, 0
	global_store_dwordx2 v[5:6], v[3:4], off
.LBB19_1977:
	s_mov_b32 s2, 0
.LBB19_1978:
	s_andn2_b32 vcc_lo, exec_lo, s2
	s_cbranch_vccnz .LBB19_1980
; %bb.1979:
	v_cvt_f16_f32_e32 v4, v3
	v_and_b32_e32 v4, 0xffff, v4
	global_store_dword v[5:6], v4, off
.LBB19_1980:
	s_mov_b32 s2, 0
.LBB19_1981:
	s_andn2_b32 vcc_lo, exec_lo, s2
	s_cbranch_vccnz .LBB19_1990
; %bb.1982:
	s_cmp_lt_i32 s0, 6
	s_mov_b32 s2, -1
	s_cbranch_scc1 .LBB19_1988
; %bb.1983:
	s_cmp_gt_i32 s0, 6
	s_cbranch_scc0 .LBB19_1985
; %bb.1984:
	v_cvt_f64_f32_e32 v[8:9], v3
	s_mov_b32 s2, 0
	global_store_dwordx2 v[5:6], v[8:9], off
.LBB19_1985:
	s_andn2_b32 vcc_lo, exec_lo, s2
	s_cbranch_vccnz .LBB19_1987
; %bb.1986:
	global_store_dword v[5:6], v3, off
.LBB19_1987:
	s_mov_b32 s2, 0
.LBB19_1988:
	s_andn2_b32 vcc_lo, exec_lo, s2
	s_cbranch_vccnz .LBB19_1990
; %bb.1989:
	v_cvt_f16_f32_e32 v4, v3
	global_store_short v[5:6], v4, off
.LBB19_1990:
	s_mov_b32 s2, 0
.LBB19_1991:
	s_andn2_b32 vcc_lo, exec_lo, s2
	s_cbranch_vccnz .LBB19_2007
; %bb.1992:
	s_cmp_lt_i32 s0, 2
	s_mov_b32 s2, -1
	s_cbranch_scc1 .LBB19_2002
; %bb.1993:
	s_cmp_lt_i32 s0, 3
	s_cbranch_scc1 .LBB19_1999
; %bb.1994:
	s_cmp_gt_i32 s0, 3
	s_cbranch_scc0 .LBB19_1996
; %bb.1995:
	v_trunc_f32_e32 v4, v3
	s_mov_b32 s2, 0
	v_mul_f32_e64 v8, 0x2f800000, |v4|
	v_floor_f32_e32 v8, v8
	v_fma_f32 v9, 0xcf800000, v8, |v4|
	v_ashrrev_i32_e32 v4, 31, v4
	v_cvt_u32_f32_e32 v8, v8
	v_cvt_u32_f32_e32 v9, v9
	v_xor_b32_e32 v10, v8, v4
	v_xor_b32_e32 v9, v9, v4
	v_sub_co_u32 v8, vcc_lo, v9, v4
	v_sub_co_ci_u32_e64 v9, null, v10, v4, vcc_lo
	global_store_dwordx2 v[5:6], v[8:9], off
.LBB19_1996:
	s_andn2_b32 vcc_lo, exec_lo, s2
	s_cbranch_vccnz .LBB19_1998
; %bb.1997:
	v_cvt_i32_f32_e32 v4, v3
	global_store_dword v[5:6], v4, off
.LBB19_1998:
	s_mov_b32 s2, 0
.LBB19_1999:
	s_andn2_b32 vcc_lo, exec_lo, s2
	s_cbranch_vccnz .LBB19_2001
; %bb.2000:
	v_cvt_i32_f32_e32 v4, v3
	global_store_short v[5:6], v4, off
.LBB19_2001:
	s_mov_b32 s2, 0
.LBB19_2002:
	s_andn2_b32 vcc_lo, exec_lo, s2
	s_cbranch_vccnz .LBB19_2007
; %bb.2003:
	s_cmp_gt_i32 s0, 0
	s_mov_b32 s0, -1
	s_cbranch_scc0 .LBB19_2005
; %bb.2004:
	v_cvt_i32_f32_e32 v4, v3
	s_mov_b32 s0, 0
	global_store_byte v[5:6], v4, off
.LBB19_2005:
	s_andn2_b32 vcc_lo, exec_lo, s0
	s_cbranch_vccnz .LBB19_2007
; %bb.2006:
	v_trunc_f32_e32 v3, v3
	v_mul_f32_e64 v4, 0x2f800000, |v3|
	v_floor_f32_e32 v4, v4
	v_fma_f32 v4, 0xcf800000, v4, |v3|
	v_ashrrev_i32_e32 v3, 31, v3
	v_cvt_u32_f32_e32 v4, v4
	v_xor_b32_e32 v4, v4, v3
	v_sub_nc_u32_e32 v3, v4, v3
	global_store_byte v[5:6], v3, off
.LBB19_2007:
	s_mov_b32 s4, -1
.LBB19_2008:
	s_andn2_b32 vcc_lo, exec_lo, s4
	s_cbranch_vccnz .LBB19_2204
; %bb.2009:
	v_add_co_u32 v3, s0, s8, v2
	v_add_co_ci_u32_e64 v4, null, s9, 0, s0
	s_cmp_lt_i32 s6, 11
	s_cbranch_scc1 .LBB19_2087
; %bb.2010:
	s_and_b32 s2, 0xffff, s6
	s_mov_b32 s5, -1
	s_mov_b32 s3, 0
	s_cmp_gt_i32 s2, 25
	s_mov_b32 s4, 0
	s_mov_b32 s0, 0
	s_cbranch_scc0 .LBB19_2043
; %bb.2011:
	s_cmp_gt_i32 s2, 28
	s_cbranch_scc0 .LBB19_2026
; %bb.2012:
	s_cmp_gt_i32 s2, 43
	;; [unrolled: 3-line block ×3, first 2 shown]
	s_cbranch_scc0 .LBB19_2016
; %bb.2014:
	s_mov_b32 s0, -1
	s_mov_b32 s5, 0
	s_cmp_eq_u32 s2, 46
	s_cbranch_scc0 .LBB19_2016
; %bb.2015:
	v_bfe_u32 v2, v1, 16, 1
	v_cmp_o_f32_e32 vcc_lo, v1, v1
	v_mov_b32_e32 v5, 0x7fc0
	s_mov_b32 s0, 0
	s_mov_b32 s4, -1
	v_add3_u32 v2, v1, v2, 0x7fff
	v_cndmask_b32_sdwa v2, v5, v2, vcc_lo dst_sel:DWORD dst_unused:UNUSED_PAD src0_sel:DWORD src1_sel:WORD_1
	global_store_dword v[3:4], v2, off
.LBB19_2016:
	s_and_b32 vcc_lo, exec_lo, s5
	s_cbranch_vccz .LBB19_2021
; %bb.2017:
	s_cmp_eq_u32 s2, 44
	s_mov_b32 s0, -1
	s_cbranch_scc0 .LBB19_2021
; %bb.2018:
	v_bfe_u32 v5, v1, 23, 8
	v_mov_b32_e32 v2, 0xff
	s_mov_b32 s4, exec_lo
	v_cmpx_ne_u32_e32 0xff, v5
	s_cbranch_execz .LBB19_2020
; %bb.2019:
	v_and_b32_e32 v2, 0x400000, v1
	v_and_or_b32 v5, 0x3fffff, v1, v5
	v_cmp_ne_u32_e32 vcc_lo, 0, v2
	v_cmp_ne_u32_e64 s0, 0, v5
	v_lshrrev_b32_e32 v2, 23, v1
	s_and_b32 s0, vcc_lo, s0
	v_cndmask_b32_e64 v5, 0, 1, s0
	v_add_nc_u32_e32 v2, v2, v5
.LBB19_2020:
	s_or_b32 exec_lo, exec_lo, s4
	s_mov_b32 s0, 0
	s_mov_b32 s4, -1
	global_store_byte v[3:4], v2, off
.LBB19_2021:
	s_mov_b32 s5, 0
.LBB19_2022:
	s_and_b32 vcc_lo, exec_lo, s5
	s_cbranch_vccz .LBB19_2025
; %bb.2023:
	s_cmp_eq_u32 s2, 29
	s_mov_b32 s0, -1
	s_cbranch_scc0 .LBB19_2025
; %bb.2024:
	v_trunc_f32_e32 v2, v1
	s_mov_b32 s0, 0
	s_mov_b32 s4, -1
	v_mul_f32_e32 v5, 0x2f800000, v2
	v_floor_f32_e32 v5, v5
	v_fmamk_f32 v2, v5, 0xcf800000, v2
	v_cvt_u32_f32_e32 v6, v5
	v_cvt_u32_f32_e32 v5, v2
	global_store_dwordx2 v[3:4], v[5:6], off
.LBB19_2025:
	s_mov_b32 s5, 0
.LBB19_2026:
	s_and_b32 vcc_lo, exec_lo, s5
	s_cbranch_vccz .LBB19_2042
; %bb.2027:
	s_cmp_lt_i32 s2, 27
	s_mov_b32 s4, -1
	s_cbranch_scc1 .LBB19_2033
; %bb.2028:
	v_cvt_u32_f32_e32 v2, v1
	s_cmp_gt_i32 s2, 27
	s_cbranch_scc0 .LBB19_2030
; %bb.2029:
	s_mov_b32 s4, 0
	global_store_dword v[3:4], v2, off
.LBB19_2030:
	s_andn2_b32 vcc_lo, exec_lo, s4
	s_cbranch_vccnz .LBB19_2032
; %bb.2031:
	global_store_short v[3:4], v2, off
.LBB19_2032:
	s_mov_b32 s4, 0
.LBB19_2033:
	s_andn2_b32 vcc_lo, exec_lo, s4
	s_cbranch_vccnz .LBB19_2041
; %bb.2034:
	v_and_b32_e32 v2, 0x7fffffff, v1
	v_mov_b32_e32 v5, 0x80
	s_mov_b32 s4, exec_lo
	v_cmpx_gt_u32_e32 0x43800000, v2
	s_cbranch_execz .LBB19_2040
; %bb.2035:
	v_cmp_lt_u32_e32 vcc_lo, 0x3bffffff, v2
	s_mov_b32 s5, 0
                                        ; implicit-def: $vgpr2
	s_and_saveexec_b32 s7, vcc_lo
	s_xor_b32 s7, exec_lo, s7
	s_cbranch_execz .LBB19_2217
; %bb.2036:
	v_bfe_u32 v2, v1, 20, 1
	s_mov_b32 s5, exec_lo
	v_add3_u32 v2, v1, v2, 0x487ffff
	v_lshrrev_b32_e32 v2, 20, v2
	s_andn2_saveexec_b32 s7, s7
	s_cbranch_execnz .LBB19_2218
.LBB19_2037:
	s_or_b32 exec_lo, exec_lo, s7
	v_mov_b32_e32 v5, 0
	s_and_saveexec_b32 s7, s5
.LBB19_2038:
	v_lshrrev_b32_e32 v5, 24, v1
	v_and_or_b32 v5, 0x80, v5, v2
.LBB19_2039:
	s_or_b32 exec_lo, exec_lo, s7
.LBB19_2040:
	s_or_b32 exec_lo, exec_lo, s4
	global_store_byte v[3:4], v5, off
.LBB19_2041:
	s_mov_b32 s4, -1
.LBB19_2042:
	s_mov_b32 s5, 0
.LBB19_2043:
	s_and_b32 vcc_lo, exec_lo, s5
	s_cbranch_vccz .LBB19_2083
; %bb.2044:
	s_cmp_gt_i32 s2, 22
	s_mov_b32 s3, -1
	s_cbranch_scc0 .LBB19_2076
; %bb.2045:
	s_cmp_lt_i32 s2, 24
	s_cbranch_scc1 .LBB19_2065
; %bb.2046:
	s_cmp_gt_i32 s2, 24
	s_cbranch_scc0 .LBB19_2054
; %bb.2047:
	v_and_b32_e32 v2, 0x7fffffff, v1
	v_mov_b32_e32 v5, 0x80
	s_mov_b32 s3, exec_lo
	v_cmpx_gt_u32_e32 0x47800000, v2
	s_cbranch_execz .LBB19_2053
; %bb.2048:
	v_cmp_lt_u32_e32 vcc_lo, 0x37ffffff, v2
	s_mov_b32 s4, 0
                                        ; implicit-def: $vgpr2
	s_and_saveexec_b32 s5, vcc_lo
	s_xor_b32 s5, exec_lo, s5
	s_cbranch_execz .LBB19_2220
; %bb.2049:
	v_bfe_u32 v2, v1, 21, 1
	s_mov_b32 s4, exec_lo
	v_add3_u32 v2, v1, v2, 0x88fffff
	v_lshrrev_b32_e32 v2, 21, v2
	s_andn2_saveexec_b32 s5, s5
	s_cbranch_execnz .LBB19_2221
.LBB19_2050:
	s_or_b32 exec_lo, exec_lo, s5
	v_mov_b32_e32 v5, 0
	s_and_saveexec_b32 s5, s4
.LBB19_2051:
	v_lshrrev_b32_e32 v5, 24, v1
	v_and_or_b32 v5, 0x80, v5, v2
.LBB19_2052:
	s_or_b32 exec_lo, exec_lo, s5
.LBB19_2053:
	s_or_b32 exec_lo, exec_lo, s3
	s_mov_b32 s3, 0
	global_store_byte v[3:4], v5, off
.LBB19_2054:
	s_and_b32 vcc_lo, exec_lo, s3
	s_cbranch_vccz .LBB19_2064
; %bb.2055:
	v_and_b32_e32 v5, 0x7fffffff, v1
	s_mov_b32 s3, exec_lo
                                        ; implicit-def: $vgpr2
	v_cmpx_gt_u32_e32 0x43f00000, v5
	s_xor_b32 s3, exec_lo, s3
	s_cbranch_execz .LBB19_2061
; %bb.2056:
	s_mov_b32 s4, exec_lo
                                        ; implicit-def: $vgpr2
	v_cmpx_lt_u32_e32 0x3c7fffff, v5
	s_xor_b32 s4, exec_lo, s4
; %bb.2057:
	v_bfe_u32 v2, v1, 20, 1
	v_add3_u32 v2, v1, v2, 0x407ffff
	v_and_b32_e32 v5, 0xff00000, v2
	v_lshrrev_b32_e32 v2, 20, v2
	v_cmp_ne_u32_e32 vcc_lo, 0x7f00000, v5
	v_cndmask_b32_e32 v2, 0x7e, v2, vcc_lo
; %bb.2058:
	s_andn2_saveexec_b32 s4, s4
; %bb.2059:
	v_add_f32_e64 v2, 0x46800000, |v1|
; %bb.2060:
	s_or_b32 exec_lo, exec_lo, s4
                                        ; implicit-def: $vgpr5
.LBB19_2061:
	s_andn2_saveexec_b32 s3, s3
; %bb.2062:
	v_mov_b32_e32 v2, 0x7f
	v_cmp_lt_u32_e32 vcc_lo, 0x7f800000, v5
	v_cndmask_b32_e32 v2, 0x7e, v2, vcc_lo
; %bb.2063:
	s_or_b32 exec_lo, exec_lo, s3
	v_lshrrev_b32_e32 v5, 24, v1
	v_and_or_b32 v2, 0x80, v5, v2
	global_store_byte v[3:4], v2, off
.LBB19_2064:
	s_mov_b32 s3, 0
.LBB19_2065:
	s_andn2_b32 vcc_lo, exec_lo, s3
	s_cbranch_vccnz .LBB19_2075
; %bb.2066:
	v_and_b32_e32 v5, 0x7fffffff, v1
	s_mov_b32 s3, exec_lo
                                        ; implicit-def: $vgpr2
	v_cmpx_gt_u32_e32 0x47800000, v5
	s_xor_b32 s3, exec_lo, s3
	s_cbranch_execz .LBB19_2072
; %bb.2067:
	s_mov_b32 s4, exec_lo
                                        ; implicit-def: $vgpr2
	v_cmpx_lt_u32_e32 0x387fffff, v5
	s_xor_b32 s4, exec_lo, s4
; %bb.2068:
	v_bfe_u32 v2, v1, 21, 1
	v_add3_u32 v2, v1, v2, 0x80fffff
	v_lshrrev_b32_e32 v2, 21, v2
; %bb.2069:
	s_andn2_saveexec_b32 s4, s4
; %bb.2070:
	v_add_f32_e64 v2, 0x43000000, |v1|
; %bb.2071:
	s_or_b32 exec_lo, exec_lo, s4
                                        ; implicit-def: $vgpr5
.LBB19_2072:
	s_andn2_saveexec_b32 s3, s3
; %bb.2073:
	v_mov_b32_e32 v2, 0x7f
	v_cmp_lt_u32_e32 vcc_lo, 0x7f800000, v5
	v_cndmask_b32_e32 v2, 0x7c, v2, vcc_lo
; %bb.2074:
	s_or_b32 exec_lo, exec_lo, s3
	v_lshrrev_b32_e32 v5, 24, v1
	v_and_or_b32 v2, 0x80, v5, v2
	global_store_byte v[3:4], v2, off
.LBB19_2075:
	s_mov_b32 s3, 0
	s_mov_b32 s4, -1
.LBB19_2076:
	s_andn2_b32 vcc_lo, exec_lo, s3
	s_mov_b32 s3, 0
	s_cbranch_vccnz .LBB19_2083
; %bb.2077:
	s_cmp_gt_i32 s2, 14
	s_mov_b32 s3, -1
	s_cbranch_scc0 .LBB19_2081
; %bb.2078:
	s_cmp_eq_u32 s2, 15
	s_mov_b32 s0, -1
	s_cbranch_scc0 .LBB19_2080
; %bb.2079:
	v_bfe_u32 v2, v1, 16, 1
	v_cmp_o_f32_e32 vcc_lo, v1, v1
	v_mov_b32_e32 v5, 0x7fc0
	s_mov_b32 s0, 0
	s_mov_b32 s4, -1
	v_add3_u32 v2, v1, v2, 0x7fff
	v_cndmask_b32_sdwa v2, v5, v2, vcc_lo dst_sel:DWORD dst_unused:UNUSED_PAD src0_sel:DWORD src1_sel:WORD_1
	global_store_short v[3:4], v2, off
.LBB19_2080:
	s_mov_b32 s3, 0
.LBB19_2081:
	s_and_b32 vcc_lo, exec_lo, s3
	s_mov_b32 s3, 0
	s_cbranch_vccz .LBB19_2083
; %bb.2082:
	s_cmp_lg_u32 s2, 11
	s_mov_b32 s3, -1
	s_cselect_b32 s0, -1, 0
.LBB19_2083:
	s_and_b32 vcc_lo, exec_lo, s0
	s_cbranch_vccnz .LBB19_2219
; %bb.2084:
	s_andn2_b32 vcc_lo, exec_lo, s3
	s_cbranch_vccnz .LBB19_2086
.LBB19_2085:
	v_cmp_neq_f32_e32 vcc_lo, 0, v1
	s_mov_b32 s4, -1
	v_cndmask_b32_e64 v2, 0, 1, vcc_lo
	global_store_byte v[3:4], v2, off
.LBB19_2086:
	s_mov_b32 s0, 0
	s_branch .LBB19_2088
.LBB19_2087:
	s_mov_b32 s0, -1
	s_mov_b32 s4, 0
.LBB19_2088:
	s_and_b32 vcc_lo, exec_lo, s0
	s_cbranch_vccz .LBB19_2127
; %bb.2089:
	s_and_b32 s0, 0xffff, s6
	s_mov_b32 s2, -1
	s_cmp_lt_i32 s0, 5
	s_cbranch_scc1 .LBB19_2110
; %bb.2090:
	s_cmp_lt_i32 s0, 8
	s_cbranch_scc1 .LBB19_2100
; %bb.2091:
	;; [unrolled: 3-line block ×3, first 2 shown]
	s_cmp_gt_i32 s0, 9
	s_cbranch_scc0 .LBB19_2094
; %bb.2093:
	v_cvt_f64_f32_e32 v[8:9], v1
	v_mov_b32_e32 v10, 0
	s_mov_b32 s2, 0
	v_mov_b32_e32 v11, v10
	global_store_dwordx4 v[3:4], v[8:11], off
.LBB19_2094:
	s_andn2_b32 vcc_lo, exec_lo, s2
	s_cbranch_vccnz .LBB19_2096
; %bb.2095:
	v_mov_b32_e32 v2, 0
	global_store_dwordx2 v[3:4], v[1:2], off
.LBB19_2096:
	s_mov_b32 s2, 0
.LBB19_2097:
	s_andn2_b32 vcc_lo, exec_lo, s2
	s_cbranch_vccnz .LBB19_2099
; %bb.2098:
	v_cvt_f16_f32_e32 v2, v1
	v_and_b32_e32 v2, 0xffff, v2
	global_store_dword v[3:4], v2, off
.LBB19_2099:
	s_mov_b32 s2, 0
.LBB19_2100:
	s_andn2_b32 vcc_lo, exec_lo, s2
	s_cbranch_vccnz .LBB19_2109
; %bb.2101:
	s_cmp_lt_i32 s0, 6
	s_mov_b32 s2, -1
	s_cbranch_scc1 .LBB19_2107
; %bb.2102:
	s_cmp_gt_i32 s0, 6
	s_cbranch_scc0 .LBB19_2104
; %bb.2103:
	v_cvt_f64_f32_e32 v[5:6], v1
	s_mov_b32 s2, 0
	global_store_dwordx2 v[3:4], v[5:6], off
.LBB19_2104:
	s_andn2_b32 vcc_lo, exec_lo, s2
	s_cbranch_vccnz .LBB19_2106
; %bb.2105:
	global_store_dword v[3:4], v1, off
.LBB19_2106:
	s_mov_b32 s2, 0
.LBB19_2107:
	s_andn2_b32 vcc_lo, exec_lo, s2
	s_cbranch_vccnz .LBB19_2109
; %bb.2108:
	v_cvt_f16_f32_e32 v2, v1
	global_store_short v[3:4], v2, off
.LBB19_2109:
	s_mov_b32 s2, 0
.LBB19_2110:
	s_andn2_b32 vcc_lo, exec_lo, s2
	s_cbranch_vccnz .LBB19_2126
; %bb.2111:
	s_cmp_lt_i32 s0, 2
	s_mov_b32 s2, -1
	s_cbranch_scc1 .LBB19_2121
; %bb.2112:
	s_cmp_lt_i32 s0, 3
	s_cbranch_scc1 .LBB19_2118
; %bb.2113:
	s_cmp_gt_i32 s0, 3
	s_cbranch_scc0 .LBB19_2115
; %bb.2114:
	v_trunc_f32_e32 v2, v1
	s_mov_b32 s2, 0
	v_mul_f32_e64 v5, 0x2f800000, |v2|
	v_floor_f32_e32 v5, v5
	v_fma_f32 v6, 0xcf800000, v5, |v2|
	v_ashrrev_i32_e32 v2, 31, v2
	v_cvt_u32_f32_e32 v5, v5
	v_cvt_u32_f32_e32 v6, v6
	v_xor_b32_e32 v8, v5, v2
	v_xor_b32_e32 v6, v6, v2
	v_sub_co_u32 v5, vcc_lo, v6, v2
	v_sub_co_ci_u32_e64 v6, null, v8, v2, vcc_lo
	global_store_dwordx2 v[3:4], v[5:6], off
.LBB19_2115:
	s_andn2_b32 vcc_lo, exec_lo, s2
	s_cbranch_vccnz .LBB19_2117
; %bb.2116:
	v_cvt_i32_f32_e32 v2, v1
	global_store_dword v[3:4], v2, off
.LBB19_2117:
	s_mov_b32 s2, 0
.LBB19_2118:
	s_andn2_b32 vcc_lo, exec_lo, s2
	s_cbranch_vccnz .LBB19_2120
; %bb.2119:
	v_cvt_i32_f32_e32 v2, v1
	global_store_short v[3:4], v2, off
.LBB19_2120:
	s_mov_b32 s2, 0
.LBB19_2121:
	s_andn2_b32 vcc_lo, exec_lo, s2
	s_cbranch_vccnz .LBB19_2126
; %bb.2122:
	s_cmp_gt_i32 s0, 0
	s_mov_b32 s0, -1
	s_cbranch_scc0 .LBB19_2124
; %bb.2123:
	v_cvt_i32_f32_e32 v2, v1
	s_mov_b32 s0, 0
	global_store_byte v[3:4], v2, off
.LBB19_2124:
	s_andn2_b32 vcc_lo, exec_lo, s0
	s_cbranch_vccnz .LBB19_2126
; %bb.2125:
	v_trunc_f32_e32 v1, v1
	v_mul_f32_e64 v2, 0x2f800000, |v1|
	v_floor_f32_e32 v2, v2
	v_fma_f32 v2, 0xcf800000, v2, |v1|
	v_ashrrev_i32_e32 v1, 31, v1
	v_cvt_u32_f32_e32 v2, v2
	v_xor_b32_e32 v2, v2, v1
	v_sub_nc_u32_e32 v1, v2, v1
	global_store_byte v[3:4], v1, off
.LBB19_2126:
	s_mov_b32 s4, -1
.LBB19_2127:
	s_andn2_b32 vcc_lo, exec_lo, s4
	s_cbranch_vccnz .LBB19_2204
; %bb.2128:
	v_add_co_u32 v0, s0, s8, v0
	v_add_co_ci_u32_e64 v1, null, s9, 0, s0
	s_cmp_lt_i32 s6, 11
	s_cbranch_scc1 .LBB19_2205
; %bb.2129:
	s_and_b32 s2, 0xffff, s6
	s_mov_b32 s4, -1
	s_mov_b32 s3, 0
	s_cmp_gt_i32 s2, 25
	s_mov_b32 s0, 0
	s_cbranch_scc0 .LBB19_2162
; %bb.2130:
	s_cmp_gt_i32 s2, 28
	s_cbranch_scc0 .LBB19_2146
; %bb.2131:
	s_cmp_gt_i32 s2, 43
	;; [unrolled: 3-line block ×3, first 2 shown]
	s_cbranch_scc0 .LBB19_2136
; %bb.2133:
	s_cmp_eq_u32 s2, 46
	s_mov_b32 s0, -1
	s_cbranch_scc0 .LBB19_2135
; %bb.2134:
	v_bfe_u32 v2, v7, 16, 1
	v_cmp_o_f32_e32 vcc_lo, v7, v7
	v_mov_b32_e32 v3, 0x7fc0
	s_mov_b32 s0, 0
	v_add3_u32 v2, v7, v2, 0x7fff
	v_cndmask_b32_sdwa v2, v3, v2, vcc_lo dst_sel:DWORD dst_unused:UNUSED_PAD src0_sel:DWORD src1_sel:WORD_1
	global_store_dword v[0:1], v2, off
.LBB19_2135:
	s_mov_b32 s4, 0
.LBB19_2136:
	s_and_b32 vcc_lo, exec_lo, s4
	s_cbranch_vccz .LBB19_2141
; %bb.2137:
	s_cmp_eq_u32 s2, 44
	s_mov_b32 s0, -1
	s_cbranch_scc0 .LBB19_2141
; %bb.2138:
	v_bfe_u32 v3, v7, 23, 8
	v_mov_b32_e32 v2, 0xff
	s_mov_b32 s4, exec_lo
	v_cmpx_ne_u32_e32 0xff, v3
	s_cbranch_execz .LBB19_2140
; %bb.2139:
	v_and_b32_e32 v2, 0x400000, v7
	v_and_or_b32 v3, 0x3fffff, v7, v3
	v_cmp_ne_u32_e32 vcc_lo, 0, v2
	v_cmp_ne_u32_e64 s0, 0, v3
	v_lshrrev_b32_e32 v2, 23, v7
	s_and_b32 s0, vcc_lo, s0
	v_cndmask_b32_e64 v3, 0, 1, s0
	v_add_nc_u32_e32 v2, v2, v3
.LBB19_2140:
	s_or_b32 exec_lo, exec_lo, s4
	s_mov_b32 s0, 0
	global_store_byte v[0:1], v2, off
.LBB19_2141:
	s_mov_b32 s4, 0
.LBB19_2142:
	s_and_b32 vcc_lo, exec_lo, s4
	s_cbranch_vccz .LBB19_2145
; %bb.2143:
	s_cmp_eq_u32 s2, 29
	s_mov_b32 s0, -1
	s_cbranch_scc0 .LBB19_2145
; %bb.2144:
	v_trunc_f32_e32 v2, v7
	s_mov_b32 s0, 0
	v_mul_f32_e32 v3, 0x2f800000, v2
	v_floor_f32_e32 v3, v3
	v_fmamk_f32 v2, v3, 0xcf800000, v2
	v_cvt_u32_f32_e32 v3, v3
	v_cvt_u32_f32_e32 v2, v2
	global_store_dwordx2 v[0:1], v[2:3], off
.LBB19_2145:
	s_mov_b32 s4, 0
.LBB19_2146:
	s_and_b32 vcc_lo, exec_lo, s4
	s_cbranch_vccz .LBB19_2161
; %bb.2147:
	s_cmp_lt_i32 s2, 27
	s_mov_b32 s4, -1
	s_cbranch_scc1 .LBB19_2153
; %bb.2148:
	s_cmp_gt_i32 s2, 27
	s_cbranch_scc0 .LBB19_2150
; %bb.2149:
	v_cvt_u32_f32_e32 v2, v7
	s_mov_b32 s4, 0
	global_store_dword v[0:1], v2, off
.LBB19_2150:
	s_andn2_b32 vcc_lo, exec_lo, s4
	s_cbranch_vccnz .LBB19_2152
; %bb.2151:
	v_cvt_u32_f32_e32 v2, v7
	global_store_short v[0:1], v2, off
.LBB19_2152:
	s_mov_b32 s4, 0
.LBB19_2153:
	s_andn2_b32 vcc_lo, exec_lo, s4
	s_cbranch_vccnz .LBB19_2161
; %bb.2154:
	v_and_b32_e32 v2, 0x7fffffff, v7
	v_mov_b32_e32 v3, 0x80
	s_mov_b32 s4, exec_lo
	v_cmpx_gt_u32_e32 0x43800000, v2
	s_cbranch_execz .LBB19_2160
; %bb.2155:
	v_cmp_lt_u32_e32 vcc_lo, 0x3bffffff, v2
	s_mov_b32 s5, 0
                                        ; implicit-def: $vgpr2
	s_and_saveexec_b32 s7, vcc_lo
	s_xor_b32 s7, exec_lo, s7
	s_cbranch_execz .LBB19_2222
; %bb.2156:
	v_bfe_u32 v2, v7, 20, 1
	s_mov_b32 s5, exec_lo
	v_add3_u32 v2, v7, v2, 0x487ffff
	v_lshrrev_b32_e32 v2, 20, v2
	s_andn2_saveexec_b32 s7, s7
	s_cbranch_execnz .LBB19_2223
.LBB19_2157:
	s_or_b32 exec_lo, exec_lo, s7
	v_mov_b32_e32 v3, 0
	s_and_saveexec_b32 s7, s5
.LBB19_2158:
	v_lshrrev_b32_e32 v3, 24, v7
	v_and_or_b32 v3, 0x80, v3, v2
.LBB19_2159:
	s_or_b32 exec_lo, exec_lo, s7
.LBB19_2160:
	s_or_b32 exec_lo, exec_lo, s4
	global_store_byte v[0:1], v3, off
.LBB19_2161:
	s_mov_b32 s4, 0
.LBB19_2162:
	s_and_b32 vcc_lo, exec_lo, s4
	s_cbranch_vccz .LBB19_2202
; %bb.2163:
	s_cmp_gt_i32 s2, 22
	s_mov_b32 s3, -1
	s_cbranch_scc0 .LBB19_2195
; %bb.2164:
	s_cmp_lt_i32 s2, 24
	s_cbranch_scc1 .LBB19_2184
; %bb.2165:
	s_cmp_gt_i32 s2, 24
	s_cbranch_scc0 .LBB19_2173
; %bb.2166:
	v_and_b32_e32 v2, 0x7fffffff, v7
	v_mov_b32_e32 v3, 0x80
	s_mov_b32 s3, exec_lo
	v_cmpx_gt_u32_e32 0x47800000, v2
	s_cbranch_execz .LBB19_2172
; %bb.2167:
	v_cmp_lt_u32_e32 vcc_lo, 0x37ffffff, v2
	s_mov_b32 s4, 0
                                        ; implicit-def: $vgpr2
	s_and_saveexec_b32 s5, vcc_lo
	s_xor_b32 s5, exec_lo, s5
	s_cbranch_execz .LBB19_2225
; %bb.2168:
	v_bfe_u32 v2, v7, 21, 1
	s_mov_b32 s4, exec_lo
	v_add3_u32 v2, v7, v2, 0x88fffff
	v_lshrrev_b32_e32 v2, 21, v2
	s_andn2_saveexec_b32 s5, s5
	s_cbranch_execnz .LBB19_2226
.LBB19_2169:
	s_or_b32 exec_lo, exec_lo, s5
	v_mov_b32_e32 v3, 0
	s_and_saveexec_b32 s5, s4
.LBB19_2170:
	v_lshrrev_b32_e32 v3, 24, v7
	v_and_or_b32 v3, 0x80, v3, v2
.LBB19_2171:
	s_or_b32 exec_lo, exec_lo, s5
.LBB19_2172:
	s_or_b32 exec_lo, exec_lo, s3
	s_mov_b32 s3, 0
	global_store_byte v[0:1], v3, off
.LBB19_2173:
	s_and_b32 vcc_lo, exec_lo, s3
	s_cbranch_vccz .LBB19_2183
; %bb.2174:
	v_and_b32_e32 v3, 0x7fffffff, v7
	s_mov_b32 s3, exec_lo
                                        ; implicit-def: $vgpr2
	v_cmpx_gt_u32_e32 0x43f00000, v3
	s_xor_b32 s3, exec_lo, s3
	s_cbranch_execz .LBB19_2180
; %bb.2175:
	s_mov_b32 s4, exec_lo
                                        ; implicit-def: $vgpr2
	v_cmpx_lt_u32_e32 0x3c7fffff, v3
	s_xor_b32 s4, exec_lo, s4
; %bb.2176:
	v_bfe_u32 v2, v7, 20, 1
	v_add3_u32 v2, v7, v2, 0x407ffff
	v_and_b32_e32 v3, 0xff00000, v2
	v_lshrrev_b32_e32 v2, 20, v2
	v_cmp_ne_u32_e32 vcc_lo, 0x7f00000, v3
	v_cndmask_b32_e32 v2, 0x7e, v2, vcc_lo
; %bb.2177:
	s_andn2_saveexec_b32 s4, s4
; %bb.2178:
	v_add_f32_e64 v2, 0x46800000, |v7|
; %bb.2179:
	s_or_b32 exec_lo, exec_lo, s4
                                        ; implicit-def: $vgpr3
.LBB19_2180:
	s_andn2_saveexec_b32 s3, s3
; %bb.2181:
	v_mov_b32_e32 v2, 0x7f
	v_cmp_lt_u32_e32 vcc_lo, 0x7f800000, v3
	v_cndmask_b32_e32 v2, 0x7e, v2, vcc_lo
; %bb.2182:
	s_or_b32 exec_lo, exec_lo, s3
	v_lshrrev_b32_e32 v3, 24, v7
	v_and_or_b32 v2, 0x80, v3, v2
	global_store_byte v[0:1], v2, off
.LBB19_2183:
	s_mov_b32 s3, 0
.LBB19_2184:
	s_andn2_b32 vcc_lo, exec_lo, s3
	s_cbranch_vccnz .LBB19_2194
; %bb.2185:
	v_and_b32_e32 v3, 0x7fffffff, v7
	s_mov_b32 s3, exec_lo
                                        ; implicit-def: $vgpr2
	v_cmpx_gt_u32_e32 0x47800000, v3
	s_xor_b32 s3, exec_lo, s3
	s_cbranch_execz .LBB19_2191
; %bb.2186:
	s_mov_b32 s4, exec_lo
                                        ; implicit-def: $vgpr2
	v_cmpx_lt_u32_e32 0x387fffff, v3
	s_xor_b32 s4, exec_lo, s4
; %bb.2187:
	v_bfe_u32 v2, v7, 21, 1
	v_add3_u32 v2, v7, v2, 0x80fffff
	v_lshrrev_b32_e32 v2, 21, v2
; %bb.2188:
	s_andn2_saveexec_b32 s4, s4
; %bb.2189:
	v_add_f32_e64 v2, 0x43000000, |v7|
; %bb.2190:
	s_or_b32 exec_lo, exec_lo, s4
                                        ; implicit-def: $vgpr3
.LBB19_2191:
	s_andn2_saveexec_b32 s3, s3
; %bb.2192:
	v_mov_b32_e32 v2, 0x7f
	v_cmp_lt_u32_e32 vcc_lo, 0x7f800000, v3
	v_cndmask_b32_e32 v2, 0x7c, v2, vcc_lo
; %bb.2193:
	s_or_b32 exec_lo, exec_lo, s3
	v_lshrrev_b32_e32 v3, 24, v7
	v_and_or_b32 v2, 0x80, v3, v2
	global_store_byte v[0:1], v2, off
.LBB19_2194:
	s_mov_b32 s3, 0
.LBB19_2195:
	s_andn2_b32 vcc_lo, exec_lo, s3
	s_mov_b32 s3, 0
	s_cbranch_vccnz .LBB19_2202
; %bb.2196:
	s_cmp_gt_i32 s2, 14
	s_mov_b32 s3, -1
	s_cbranch_scc0 .LBB19_2200
; %bb.2197:
	s_cmp_eq_u32 s2, 15
	s_mov_b32 s0, -1
	s_cbranch_scc0 .LBB19_2199
; %bb.2198:
	v_bfe_u32 v2, v7, 16, 1
	v_cmp_o_f32_e32 vcc_lo, v7, v7
	v_mov_b32_e32 v3, 0x7fc0
	s_mov_b32 s0, 0
	v_add3_u32 v2, v7, v2, 0x7fff
	v_cndmask_b32_sdwa v2, v3, v2, vcc_lo dst_sel:DWORD dst_unused:UNUSED_PAD src0_sel:DWORD src1_sel:WORD_1
	global_store_short v[0:1], v2, off
.LBB19_2199:
	s_mov_b32 s3, 0
.LBB19_2200:
	s_and_b32 vcc_lo, exec_lo, s3
	s_mov_b32 s3, 0
	s_cbranch_vccz .LBB19_2202
; %bb.2201:
	s_cmp_lg_u32 s2, 11
	s_mov_b32 s3, -1
	s_cselect_b32 s0, -1, 0
.LBB19_2202:
	s_and_b32 vcc_lo, exec_lo, s0
	s_cbranch_vccnz .LBB19_2224
.LBB19_2203:
	s_mov_b32 s0, 0
	s_branch .LBB19_1805
.LBB19_2204:
	s_mov_b32 s0, 0
	s_mov_b32 s3, 0
                                        ; implicit-def: $vgpr0_vgpr1
                                        ; implicit-def: $sgpr6
	s_branch .LBB19_1805
.LBB19_2205:
	s_mov_b32 s3, 0
	s_mov_b32 s0, -1
	s_branch .LBB19_1805
.LBB19_2206:
	s_or_b32 s1, s1, exec_lo
	s_trap 2
	s_cbranch_execz .LBB19_1666
	s_branch .LBB19_1667
.LBB19_2207:
	s_andn2_saveexec_b32 s10, s10
	s_cbranch_execz .LBB19_1754
.LBB19_2208:
	v_add_f32_e64 v6, 0x46000000, |v5|
	s_andn2_b32 s7, s7, exec_lo
	v_and_b32_e32 v6, 0xff, v6
	v_cmp_ne_u32_e32 vcc_lo, 0, v6
	s_and_b32 s11, vcc_lo, exec_lo
	s_or_b32 s7, s7, s11
	s_or_b32 exec_lo, exec_lo, s10
	v_mov_b32_e32 v10, 0
	s_and_saveexec_b32 s10, s7
	s_cbranch_execnz .LBB19_1755
	s_branch .LBB19_1756
.LBB19_2209:
	s_or_b32 s1, s1, exec_lo
	s_trap 2
	s_cbranch_execz .LBB19_1802
	s_branch .LBB19_1803
.LBB19_2210:
	s_andn2_saveexec_b32 s7, s7
	s_cbranch_execz .LBB19_1767
.LBB19_2211:
	v_add_f32_e64 v6, 0x42800000, |v5|
	s_andn2_b32 s6, s6, exec_lo
	v_and_b32_e32 v6, 0xff, v6
	v_cmp_ne_u32_e32 vcc_lo, 0, v6
	s_and_b32 s10, vcc_lo, exec_lo
	s_or_b32 s6, s6, s10
	s_or_b32 exec_lo, exec_lo, s7
	v_mov_b32_e32 v10, 0
	s_and_saveexec_b32 s7, s6
	s_cbranch_execnz .LBB19_1768
	s_branch .LBB19_1769
.LBB19_2212:
	s_andn2_saveexec_b32 s7, s7
	s_cbranch_execz .LBB19_1918
.LBB19_2213:
	v_add_f32_e64 v4, 0x46000000, |v3|
	s_andn2_b32 s5, s5, exec_lo
	v_and_b32_e32 v4, 0xff, v4
	v_cmp_ne_u32_e32 vcc_lo, 0, v4
	s_and_b32 s10, vcc_lo, exec_lo
	s_or_b32 s5, s5, s10
	s_or_b32 exec_lo, exec_lo, s7
	v_mov_b32_e32 v8, 0
	s_and_saveexec_b32 s7, s5
	s_cbranch_execnz .LBB19_1919
	s_branch .LBB19_1920
.LBB19_2214:
	s_or_b32 s1, s1, exec_lo
	s_trap 2
	s_cbranch_execz .LBB19_1966
	s_branch .LBB19_1967
.LBB19_2215:
	s_andn2_saveexec_b32 s5, s5
	s_cbranch_execz .LBB19_1931
.LBB19_2216:
	v_add_f32_e64 v4, 0x42800000, |v3|
	s_andn2_b32 s4, s4, exec_lo
	v_and_b32_e32 v4, 0xff, v4
	v_cmp_ne_u32_e32 vcc_lo, 0, v4
	s_and_b32 s7, vcc_lo, exec_lo
	s_or_b32 s4, s4, s7
	s_or_b32 exec_lo, exec_lo, s5
	v_mov_b32_e32 v8, 0
	s_and_saveexec_b32 s5, s4
	s_cbranch_execnz .LBB19_1932
	s_branch .LBB19_1933
.LBB19_2217:
	s_andn2_saveexec_b32 s7, s7
	s_cbranch_execz .LBB19_2037
.LBB19_2218:
	v_add_f32_e64 v2, 0x46000000, |v1|
	s_andn2_b32 s5, s5, exec_lo
	v_and_b32_e32 v2, 0xff, v2
	v_cmp_ne_u32_e32 vcc_lo, 0, v2
	s_and_b32 s10, vcc_lo, exec_lo
	s_or_b32 s5, s5, s10
	s_or_b32 exec_lo, exec_lo, s7
	v_mov_b32_e32 v5, 0
	s_and_saveexec_b32 s7, s5
	s_cbranch_execnz .LBB19_2038
	s_branch .LBB19_2039
.LBB19_2219:
	s_or_b32 s1, s1, exec_lo
	s_trap 2
	s_cbranch_execz .LBB19_2085
	s_branch .LBB19_2086
.LBB19_2220:
	s_andn2_saveexec_b32 s5, s5
	s_cbranch_execz .LBB19_2050
.LBB19_2221:
	v_add_f32_e64 v2, 0x42800000, |v1|
	s_andn2_b32 s4, s4, exec_lo
	v_and_b32_e32 v2, 0xff, v2
	v_cmp_ne_u32_e32 vcc_lo, 0, v2
	s_and_b32 s7, vcc_lo, exec_lo
	s_or_b32 s4, s4, s7
	s_or_b32 exec_lo, exec_lo, s5
	v_mov_b32_e32 v5, 0
	s_and_saveexec_b32 s5, s4
	s_cbranch_execnz .LBB19_2051
	s_branch .LBB19_2052
.LBB19_2222:
	s_andn2_saveexec_b32 s7, s7
	s_cbranch_execz .LBB19_2157
.LBB19_2223:
	v_add_f32_e64 v2, 0x46000000, |v7|
	s_andn2_b32 s5, s5, exec_lo
	v_and_b32_e32 v2, 0xff, v2
	v_cmp_ne_u32_e32 vcc_lo, 0, v2
	s_and_b32 s8, vcc_lo, exec_lo
	s_or_b32 s5, s5, s8
	s_or_b32 exec_lo, exec_lo, s7
	v_mov_b32_e32 v3, 0
	s_and_saveexec_b32 s7, s5
	s_cbranch_execnz .LBB19_2158
	s_branch .LBB19_2159
.LBB19_2224:
	s_mov_b32 s3, 0
	s_or_b32 s1, s1, exec_lo
	s_trap 2
	s_branch .LBB19_2203
.LBB19_2225:
	s_andn2_saveexec_b32 s5, s5
	s_cbranch_execz .LBB19_2169
.LBB19_2226:
	v_add_f32_e64 v2, 0x42800000, |v7|
	s_andn2_b32 s4, s4, exec_lo
	v_and_b32_e32 v2, 0xff, v2
	v_cmp_ne_u32_e32 vcc_lo, 0, v2
	s_and_b32 s7, vcc_lo, exec_lo
	s_or_b32 s4, s4, s7
	s_or_b32 exec_lo, exec_lo, s5
	v_mov_b32_e32 v3, 0
	s_and_saveexec_b32 s5, s4
	s_cbranch_execnz .LBB19_2170
	s_branch .LBB19_2171
	.section	.rodata,"a",@progbits
	.p2align	6, 0x0
	.amdhsa_kernel _ZN2at6native32elementwise_kernel_manual_unrollILi128ELi4EZNS0_15gpu_kernel_implIZZZNS0_12_GLOBAL__N_130modified_bessel_k1_kernel_cudaERNS_18TensorIteratorBaseEENKUlvE_clEvENKUlvE0_clEvEUlfE_EEvS5_RKT_EUlibE0_EEviT1_
		.amdhsa_group_segment_fixed_size 0
		.amdhsa_private_segment_fixed_size 0
		.amdhsa_kernarg_size 360
		.amdhsa_user_sgpr_count 6
		.amdhsa_user_sgpr_private_segment_buffer 1
		.amdhsa_user_sgpr_dispatch_ptr 0
		.amdhsa_user_sgpr_queue_ptr 0
		.amdhsa_user_sgpr_kernarg_segment_ptr 1
		.amdhsa_user_sgpr_dispatch_id 0
		.amdhsa_user_sgpr_flat_scratch_init 0
		.amdhsa_user_sgpr_private_segment_size 0
		.amdhsa_wavefront_size32 1
		.amdhsa_uses_dynamic_stack 0
		.amdhsa_system_sgpr_private_segment_wavefront_offset 0
		.amdhsa_system_sgpr_workgroup_id_x 1
		.amdhsa_system_sgpr_workgroup_id_y 0
		.amdhsa_system_sgpr_workgroup_id_z 0
		.amdhsa_system_sgpr_workgroup_info 0
		.amdhsa_system_vgpr_workitem_id 0
		.amdhsa_next_free_vgpr 20
		.amdhsa_next_free_sgpr 68
		.amdhsa_reserve_vcc 1
		.amdhsa_reserve_flat_scratch 0
		.amdhsa_float_round_mode_32 0
		.amdhsa_float_round_mode_16_64 0
		.amdhsa_float_denorm_mode_32 3
		.amdhsa_float_denorm_mode_16_64 3
		.amdhsa_dx10_clamp 1
		.amdhsa_ieee_mode 1
		.amdhsa_fp16_overflow 0
		.amdhsa_workgroup_processor_mode 1
		.amdhsa_memory_ordered 1
		.amdhsa_forward_progress 1
		.amdhsa_shared_vgpr_count 0
		.amdhsa_exception_fp_ieee_invalid_op 0
		.amdhsa_exception_fp_denorm_src 0
		.amdhsa_exception_fp_ieee_div_zero 0
		.amdhsa_exception_fp_ieee_overflow 0
		.amdhsa_exception_fp_ieee_underflow 0
		.amdhsa_exception_fp_ieee_inexact 0
		.amdhsa_exception_int_div_zero 0
	.end_amdhsa_kernel
	.section	.text._ZN2at6native32elementwise_kernel_manual_unrollILi128ELi4EZNS0_15gpu_kernel_implIZZZNS0_12_GLOBAL__N_130modified_bessel_k1_kernel_cudaERNS_18TensorIteratorBaseEENKUlvE_clEvENKUlvE0_clEvEUlfE_EEvS5_RKT_EUlibE0_EEviT1_,"axG",@progbits,_ZN2at6native32elementwise_kernel_manual_unrollILi128ELi4EZNS0_15gpu_kernel_implIZZZNS0_12_GLOBAL__N_130modified_bessel_k1_kernel_cudaERNS_18TensorIteratorBaseEENKUlvE_clEvENKUlvE0_clEvEUlfE_EEvS5_RKT_EUlibE0_EEviT1_,comdat
.Lfunc_end19:
	.size	_ZN2at6native32elementwise_kernel_manual_unrollILi128ELi4EZNS0_15gpu_kernel_implIZZZNS0_12_GLOBAL__N_130modified_bessel_k1_kernel_cudaERNS_18TensorIteratorBaseEENKUlvE_clEvENKUlvE0_clEvEUlfE_EEvS5_RKT_EUlibE0_EEviT1_, .Lfunc_end19-_ZN2at6native32elementwise_kernel_manual_unrollILi128ELi4EZNS0_15gpu_kernel_implIZZZNS0_12_GLOBAL__N_130modified_bessel_k1_kernel_cudaERNS_18TensorIteratorBaseEENKUlvE_clEvENKUlvE0_clEvEUlfE_EEvS5_RKT_EUlibE0_EEviT1_
                                        ; -- End function
	.set _ZN2at6native32elementwise_kernel_manual_unrollILi128ELi4EZNS0_15gpu_kernel_implIZZZNS0_12_GLOBAL__N_130modified_bessel_k1_kernel_cudaERNS_18TensorIteratorBaseEENKUlvE_clEvENKUlvE0_clEvEUlfE_EEvS5_RKT_EUlibE0_EEviT1_.num_vgpr, 20
	.set _ZN2at6native32elementwise_kernel_manual_unrollILi128ELi4EZNS0_15gpu_kernel_implIZZZNS0_12_GLOBAL__N_130modified_bessel_k1_kernel_cudaERNS_18TensorIteratorBaseEENKUlvE_clEvENKUlvE0_clEvEUlfE_EEvS5_RKT_EUlibE0_EEviT1_.num_agpr, 0
	.set _ZN2at6native32elementwise_kernel_manual_unrollILi128ELi4EZNS0_15gpu_kernel_implIZZZNS0_12_GLOBAL__N_130modified_bessel_k1_kernel_cudaERNS_18TensorIteratorBaseEENKUlvE_clEvENKUlvE0_clEvEUlfE_EEvS5_RKT_EUlibE0_EEviT1_.numbered_sgpr, 68
	.set _ZN2at6native32elementwise_kernel_manual_unrollILi128ELi4EZNS0_15gpu_kernel_implIZZZNS0_12_GLOBAL__N_130modified_bessel_k1_kernel_cudaERNS_18TensorIteratorBaseEENKUlvE_clEvENKUlvE0_clEvEUlfE_EEvS5_RKT_EUlibE0_EEviT1_.num_named_barrier, 0
	.set _ZN2at6native32elementwise_kernel_manual_unrollILi128ELi4EZNS0_15gpu_kernel_implIZZZNS0_12_GLOBAL__N_130modified_bessel_k1_kernel_cudaERNS_18TensorIteratorBaseEENKUlvE_clEvENKUlvE0_clEvEUlfE_EEvS5_RKT_EUlibE0_EEviT1_.private_seg_size, 0
	.set _ZN2at6native32elementwise_kernel_manual_unrollILi128ELi4EZNS0_15gpu_kernel_implIZZZNS0_12_GLOBAL__N_130modified_bessel_k1_kernel_cudaERNS_18TensorIteratorBaseEENKUlvE_clEvENKUlvE0_clEvEUlfE_EEvS5_RKT_EUlibE0_EEviT1_.uses_vcc, 1
	.set _ZN2at6native32elementwise_kernel_manual_unrollILi128ELi4EZNS0_15gpu_kernel_implIZZZNS0_12_GLOBAL__N_130modified_bessel_k1_kernel_cudaERNS_18TensorIteratorBaseEENKUlvE_clEvENKUlvE0_clEvEUlfE_EEvS5_RKT_EUlibE0_EEviT1_.uses_flat_scratch, 0
	.set _ZN2at6native32elementwise_kernel_manual_unrollILi128ELi4EZNS0_15gpu_kernel_implIZZZNS0_12_GLOBAL__N_130modified_bessel_k1_kernel_cudaERNS_18TensorIteratorBaseEENKUlvE_clEvENKUlvE0_clEvEUlfE_EEvS5_RKT_EUlibE0_EEviT1_.has_dyn_sized_stack, 0
	.set _ZN2at6native32elementwise_kernel_manual_unrollILi128ELi4EZNS0_15gpu_kernel_implIZZZNS0_12_GLOBAL__N_130modified_bessel_k1_kernel_cudaERNS_18TensorIteratorBaseEENKUlvE_clEvENKUlvE0_clEvEUlfE_EEvS5_RKT_EUlibE0_EEviT1_.has_recursion, 0
	.set _ZN2at6native32elementwise_kernel_manual_unrollILi128ELi4EZNS0_15gpu_kernel_implIZZZNS0_12_GLOBAL__N_130modified_bessel_k1_kernel_cudaERNS_18TensorIteratorBaseEENKUlvE_clEvENKUlvE0_clEvEUlfE_EEvS5_RKT_EUlibE0_EEviT1_.has_indirect_call, 0
	.section	.AMDGPU.csdata,"",@progbits
; Kernel info:
; codeLenInByte = 51148
; TotalNumSgprs: 70
; NumVgprs: 20
; ScratchSize: 0
; MemoryBound: 1
; FloatMode: 240
; IeeeMode: 1
; LDSByteSize: 0 bytes/workgroup (compile time only)
; SGPRBlocks: 0
; VGPRBlocks: 2
; NumSGPRsForWavesPerEU: 70
; NumVGPRsForWavesPerEU: 20
; Occupancy: 16
; WaveLimiterHint : 1
; COMPUTE_PGM_RSRC2:SCRATCH_EN: 0
; COMPUTE_PGM_RSRC2:USER_SGPR: 6
; COMPUTE_PGM_RSRC2:TRAP_HANDLER: 0
; COMPUTE_PGM_RSRC2:TGID_X_EN: 1
; COMPUTE_PGM_RSRC2:TGID_Y_EN: 0
; COMPUTE_PGM_RSRC2:TGID_Z_EN: 0
; COMPUTE_PGM_RSRC2:TIDIG_COMP_CNT: 0
	.text
	.p2alignl 6, 3214868480
	.fill 48, 4, 3214868480
	.section	.AMDGPU.gpr_maximums,"",@progbits
	.set amdgpu.max_num_vgpr, 70
	.set amdgpu.max_num_agpr, 0
	.set amdgpu.max_num_sgpr, 32
	.text
	.type	__hip_cuid_d83327fdef73755b,@object ; @__hip_cuid_d83327fdef73755b
	.section	.bss,"aw",@nobits
	.globl	__hip_cuid_d83327fdef73755b
__hip_cuid_d83327fdef73755b:
	.byte	0                               ; 0x0
	.size	__hip_cuid_d83327fdef73755b, 1

	.ident	"AMD clang version 22.0.0git (https://github.com/RadeonOpenCompute/llvm-project roc-7.2.4 26084 f58b06dce1f9c15707c5f808fd002e18c2accf7e)"
	.section	".note.GNU-stack","",@progbits
	.addrsig
	.addrsig_sym __hip_cuid_d83327fdef73755b
	.amdgpu_metadata
---
amdhsa.kernels:
  - .args:
      - .offset:         0
        .size:           4
        .value_kind:     by_value
      - .offset:         4
        .size:           1
        .value_kind:     by_value
      - .offset:         8
        .size:           16
        .value_kind:     by_value
    .group_segment_fixed_size: 0
    .kernarg_segment_align: 8
    .kernarg_segment_size: 24
    .language:       OpenCL C
    .language_version:
      - 2
      - 0
    .max_flat_workgroup_size: 256
    .name:           _ZN2at6native29vectorized_elementwise_kernelILi16EZZZNS0_12_GLOBAL__N_130modified_bessel_k1_kernel_cudaERNS_18TensorIteratorBaseEENKUlvE_clEvENKUlvE_clEvEUldE_St5arrayIPcLm2EEEEviT0_T1_
    .private_segment_fixed_size: 0
    .sgpr_count:     35
    .sgpr_spill_count: 0
    .symbol:         _ZN2at6native29vectorized_elementwise_kernelILi16EZZZNS0_12_GLOBAL__N_130modified_bessel_k1_kernel_cudaERNS_18TensorIteratorBaseEENKUlvE_clEvENKUlvE_clEvEUldE_St5arrayIPcLm2EEEEviT0_T1_.kd
    .uniform_work_group_size: 1
    .uses_dynamic_stack: false
    .vgpr_count:     70
    .vgpr_spill_count: 0
    .wavefront_size: 32
    .workgroup_processor_mode: 1
  - .args:
      - .offset:         0
        .size:           4
        .value_kind:     by_value
      - .offset:         4
        .size:           1
        .value_kind:     by_value
      - .offset:         8
        .size:           16
        .value_kind:     by_value
    .group_segment_fixed_size: 0
    .kernarg_segment_align: 8
    .kernarg_segment_size: 24
    .language:       OpenCL C
    .language_version:
      - 2
      - 0
    .max_flat_workgroup_size: 256
    .name:           _ZN2at6native29vectorized_elementwise_kernelILi8EZZZNS0_12_GLOBAL__N_130modified_bessel_k1_kernel_cudaERNS_18TensorIteratorBaseEENKUlvE_clEvENKUlvE_clEvEUldE_St5arrayIPcLm2EEEEviT0_T1_
    .private_segment_fixed_size: 0
    .sgpr_count:     35
    .sgpr_spill_count: 0
    .symbol:         _ZN2at6native29vectorized_elementwise_kernelILi8EZZZNS0_12_GLOBAL__N_130modified_bessel_k1_kernel_cudaERNS_18TensorIteratorBaseEENKUlvE_clEvENKUlvE_clEvEUldE_St5arrayIPcLm2EEEEviT0_T1_.kd
    .uniform_work_group_size: 1
    .uses_dynamic_stack: false
    .vgpr_count:     70
    .vgpr_spill_count: 0
    .wavefront_size: 32
    .workgroup_processor_mode: 1
  - .args:
      - .offset:         0
        .size:           4
        .value_kind:     by_value
      - .offset:         4
        .size:           1
        .value_kind:     by_value
      - .offset:         8
        .size:           16
        .value_kind:     by_value
    .group_segment_fixed_size: 0
    .kernarg_segment_align: 8
    .kernarg_segment_size: 24
    .language:       OpenCL C
    .language_version:
      - 2
      - 0
    .max_flat_workgroup_size: 256
    .name:           _ZN2at6native29vectorized_elementwise_kernelILi4EZZZNS0_12_GLOBAL__N_130modified_bessel_k1_kernel_cudaERNS_18TensorIteratorBaseEENKUlvE_clEvENKUlvE_clEvEUldE_St5arrayIPcLm2EEEEviT0_T1_
    .private_segment_fixed_size: 0
    .sgpr_count:     35
    .sgpr_spill_count: 0
    .symbol:         _ZN2at6native29vectorized_elementwise_kernelILi4EZZZNS0_12_GLOBAL__N_130modified_bessel_k1_kernel_cudaERNS_18TensorIteratorBaseEENKUlvE_clEvENKUlvE_clEvEUldE_St5arrayIPcLm2EEEEviT0_T1_.kd
    .uniform_work_group_size: 1
    .uses_dynamic_stack: false
    .vgpr_count:     70
    .vgpr_spill_count: 0
    .wavefront_size: 32
    .workgroup_processor_mode: 1
  - .args:
      - .offset:         0
        .size:           4
        .value_kind:     by_value
      - .offset:         4
        .size:           1
        .value_kind:     by_value
      - .offset:         8
        .size:           16
        .value_kind:     by_value
    .group_segment_fixed_size: 0
    .kernarg_segment_align: 8
    .kernarg_segment_size: 24
    .language:       OpenCL C
    .language_version:
      - 2
      - 0
    .max_flat_workgroup_size: 256
    .name:           _ZN2at6native29vectorized_elementwise_kernelILi2EZZZNS0_12_GLOBAL__N_130modified_bessel_k1_kernel_cudaERNS_18TensorIteratorBaseEENKUlvE_clEvENKUlvE_clEvEUldE_St5arrayIPcLm2EEEEviT0_T1_
    .private_segment_fixed_size: 0
    .sgpr_count:     35
    .sgpr_spill_count: 0
    .symbol:         _ZN2at6native29vectorized_elementwise_kernelILi2EZZZNS0_12_GLOBAL__N_130modified_bessel_k1_kernel_cudaERNS_18TensorIteratorBaseEENKUlvE_clEvENKUlvE_clEvEUldE_St5arrayIPcLm2EEEEviT0_T1_.kd
    .uniform_work_group_size: 1
    .uses_dynamic_stack: false
    .vgpr_count:     70
    .vgpr_spill_count: 0
    .wavefront_size: 32
    .workgroup_processor_mode: 1
  - .args:
      - .offset:         0
        .size:           4
        .value_kind:     by_value
      - .offset:         4
        .size:           1
        .value_kind:     by_value
      - .offset:         8
        .size:           16
        .value_kind:     by_value
      - .offset:         24
        .size:           1
        .value_kind:     by_value
      - .offset:         25
        .size:           1
        .value_kind:     by_value
      - .offset:         26
        .size:           1
        .value_kind:     by_value
      - .offset:         27
        .size:           1
        .value_kind:     by_value
    .group_segment_fixed_size: 0
    .kernarg_segment_align: 8
    .kernarg_segment_size: 28
    .language:       OpenCL C
    .language_version:
      - 2
      - 0
    .max_flat_workgroup_size: 256
    .name:           _ZN2at6native27unrolled_elementwise_kernelIZZZNS0_12_GLOBAL__N_130modified_bessel_k1_kernel_cudaERNS_18TensorIteratorBaseEENKUlvE_clEvENKUlvE_clEvEUldE_St5arrayIPcLm2EELi4E23TrivialOffsetCalculatorILi1EjESC_NS0_6memory15LoadWithoutCastENSD_16StoreWithoutCastEEEviT_T0_T2_T3_T4_T5_
    .private_segment_fixed_size: 0
    .sgpr_count:     35
    .sgpr_spill_count: 0
    .symbol:         _ZN2at6native27unrolled_elementwise_kernelIZZZNS0_12_GLOBAL__N_130modified_bessel_k1_kernel_cudaERNS_18TensorIteratorBaseEENKUlvE_clEvENKUlvE_clEvEUldE_St5arrayIPcLm2EELi4E23TrivialOffsetCalculatorILi1EjESC_NS0_6memory15LoadWithoutCastENSD_16StoreWithoutCastEEEviT_T0_T2_T3_T4_T5_.kd
    .uniform_work_group_size: 1
    .uses_dynamic_stack: false
    .vgpr_count:     70
    .vgpr_spill_count: 0
    .wavefront_size: 32
    .workgroup_processor_mode: 1
  - .args:
      - .offset:         0
        .size:           4
        .value_kind:     by_value
      - .offset:         8
        .size:           352
        .value_kind:     by_value
    .group_segment_fixed_size: 0
    .kernarg_segment_align: 8
    .kernarg_segment_size: 360
    .language:       OpenCL C
    .language_version:
      - 2
      - 0
    .max_flat_workgroup_size: 128
    .name:           _ZN2at6native32elementwise_kernel_manual_unrollILi128ELi4EZNS0_22gpu_kernel_impl_nocastIZZZNS0_12_GLOBAL__N_130modified_bessel_k1_kernel_cudaERNS_18TensorIteratorBaseEENKUlvE_clEvENKUlvE_clEvEUldE_EEvS5_RKT_EUlibE_EEviT1_
    .private_segment_fixed_size: 0
    .sgpr_count:     58
    .sgpr_spill_count: 0
    .symbol:         _ZN2at6native32elementwise_kernel_manual_unrollILi128ELi4EZNS0_22gpu_kernel_impl_nocastIZZZNS0_12_GLOBAL__N_130modified_bessel_k1_kernel_cudaERNS_18TensorIteratorBaseEENKUlvE_clEvENKUlvE_clEvEUldE_EEvS5_RKT_EUlibE_EEviT1_.kd
    .uniform_work_group_size: 1
    .uses_dynamic_stack: false
    .vgpr_count:     50
    .vgpr_spill_count: 0
    .wavefront_size: 32
    .workgroup_processor_mode: 1
  - .args:
      - .offset:         0
        .size:           4
        .value_kind:     by_value
      - .offset:         8
        .size:           32
        .value_kind:     by_value
    .group_segment_fixed_size: 0
    .kernarg_segment_align: 8
    .kernarg_segment_size: 40
    .language:       OpenCL C
    .language_version:
      - 2
      - 0
    .max_flat_workgroup_size: 128
    .name:           _ZN2at6native32elementwise_kernel_manual_unrollILi128ELi4EZNS0_15gpu_kernel_implIZZZNS0_12_GLOBAL__N_130modified_bessel_k1_kernel_cudaERNS_18TensorIteratorBaseEENKUlvE_clEvENKUlvE_clEvEUldE_EEvS5_RKT_EUlibE_EEviT1_
    .private_segment_fixed_size: 0
    .sgpr_count:     32
    .sgpr_spill_count: 0
    .symbol:         _ZN2at6native32elementwise_kernel_manual_unrollILi128ELi4EZNS0_15gpu_kernel_implIZZZNS0_12_GLOBAL__N_130modified_bessel_k1_kernel_cudaERNS_18TensorIteratorBaseEENKUlvE_clEvENKUlvE_clEvEUldE_EEvS5_RKT_EUlibE_EEviT1_.kd
    .uniform_work_group_size: 1
    .uses_dynamic_stack: false
    .vgpr_count:     45
    .vgpr_spill_count: 0
    .wavefront_size: 32
    .workgroup_processor_mode: 1
  - .args:
      - .offset:         0
        .size:           4
        .value_kind:     by_value
      - .offset:         8
        .size:           352
        .value_kind:     by_value
    .group_segment_fixed_size: 0
    .kernarg_segment_align: 8
    .kernarg_segment_size: 360
    .language:       OpenCL C
    .language_version:
      - 2
      - 0
    .max_flat_workgroup_size: 128
    .name:           _ZN2at6native32elementwise_kernel_manual_unrollILi128ELi4EZNS0_15gpu_kernel_implIZZZNS0_12_GLOBAL__N_130modified_bessel_k1_kernel_cudaERNS_18TensorIteratorBaseEENKUlvE_clEvENKUlvE_clEvEUldE_EEvS5_RKT_EUlibE0_EEviT1_
    .private_segment_fixed_size: 0
    .sgpr_count:     70
    .sgpr_spill_count: 0
    .symbol:         _ZN2at6native32elementwise_kernel_manual_unrollILi128ELi4EZNS0_15gpu_kernel_implIZZZNS0_12_GLOBAL__N_130modified_bessel_k1_kernel_cudaERNS_18TensorIteratorBaseEENKUlvE_clEvENKUlvE_clEvEUldE_EEvS5_RKT_EUlibE0_EEviT1_.kd
    .uniform_work_group_size: 1
    .uses_dynamic_stack: false
    .vgpr_count:     51
    .vgpr_spill_count: 0
    .wavefront_size: 32
    .workgroup_processor_mode: 1
  - .args:
      - .offset:         0
        .size:           4
        .value_kind:     by_value
      - .offset:         4
        .size:           1
        .value_kind:     by_value
      - .offset:         8
        .size:           16
        .value_kind:     by_value
    .group_segment_fixed_size: 0
    .kernarg_segment_align: 8
    .kernarg_segment_size: 24
    .language:       OpenCL C
    .language_version:
      - 2
      - 0
    .max_flat_workgroup_size: 256
    .name:           _ZN2at6native29vectorized_elementwise_kernelILi16EZZZNS0_12_GLOBAL__N_130modified_bessel_k1_kernel_cudaERNS_18TensorIteratorBaseEENKUlvE_clEvENKUlvE0_clEvEUlfE_St5arrayIPcLm2EEEEviT0_T1_
    .private_segment_fixed_size: 0
    .sgpr_count:     35
    .sgpr_spill_count: 0
    .symbol:         _ZN2at6native29vectorized_elementwise_kernelILi16EZZZNS0_12_GLOBAL__N_130modified_bessel_k1_kernel_cudaERNS_18TensorIteratorBaseEENKUlvE_clEvENKUlvE0_clEvEUlfE_St5arrayIPcLm2EEEEviT0_T1_.kd
    .uniform_work_group_size: 1
    .uses_dynamic_stack: false
    .vgpr_count:     32
    .vgpr_spill_count: 0
    .wavefront_size: 32
    .workgroup_processor_mode: 1
  - .args:
      - .offset:         0
        .size:           4
        .value_kind:     by_value
      - .offset:         4
        .size:           1
        .value_kind:     by_value
      - .offset:         8
        .size:           16
        .value_kind:     by_value
    .group_segment_fixed_size: 0
    .kernarg_segment_align: 8
    .kernarg_segment_size: 24
    .language:       OpenCL C
    .language_version:
      - 2
      - 0
    .max_flat_workgroup_size: 256
    .name:           _ZN2at6native29vectorized_elementwise_kernelILi8EZZZNS0_12_GLOBAL__N_130modified_bessel_k1_kernel_cudaERNS_18TensorIteratorBaseEENKUlvE_clEvENKUlvE0_clEvEUlfE_St5arrayIPcLm2EEEEviT0_T1_
    .private_segment_fixed_size: 0
    .sgpr_count:     35
    .sgpr_spill_count: 0
    .symbol:         _ZN2at6native29vectorized_elementwise_kernelILi8EZZZNS0_12_GLOBAL__N_130modified_bessel_k1_kernel_cudaERNS_18TensorIteratorBaseEENKUlvE_clEvENKUlvE0_clEvEUlfE_St5arrayIPcLm2EEEEviT0_T1_.kd
    .uniform_work_group_size: 1
    .uses_dynamic_stack: false
    .vgpr_count:     32
    .vgpr_spill_count: 0
    .wavefront_size: 32
    .workgroup_processor_mode: 1
  - .args:
      - .offset:         0
        .size:           4
        .value_kind:     by_value
      - .offset:         4
        .size:           1
        .value_kind:     by_value
      - .offset:         8
        .size:           16
        .value_kind:     by_value
    .group_segment_fixed_size: 0
    .kernarg_segment_align: 8
    .kernarg_segment_size: 24
    .language:       OpenCL C
    .language_version:
      - 2
      - 0
    .max_flat_workgroup_size: 256
    .name:           _ZN2at6native29vectorized_elementwise_kernelILi4EZZZNS0_12_GLOBAL__N_130modified_bessel_k1_kernel_cudaERNS_18TensorIteratorBaseEENKUlvE_clEvENKUlvE0_clEvEUlfE_St5arrayIPcLm2EEEEviT0_T1_
    .private_segment_fixed_size: 0
    .sgpr_count:     35
    .sgpr_spill_count: 0
    .symbol:         _ZN2at6native29vectorized_elementwise_kernelILi4EZZZNS0_12_GLOBAL__N_130modified_bessel_k1_kernel_cudaERNS_18TensorIteratorBaseEENKUlvE_clEvENKUlvE0_clEvEUlfE_St5arrayIPcLm2EEEEviT0_T1_.kd
    .uniform_work_group_size: 1
    .uses_dynamic_stack: false
    .vgpr_count:     32
    .vgpr_spill_count: 0
    .wavefront_size: 32
    .workgroup_processor_mode: 1
  - .args:
      - .offset:         0
        .size:           4
        .value_kind:     by_value
      - .offset:         4
        .size:           1
        .value_kind:     by_value
      - .offset:         8
        .size:           16
        .value_kind:     by_value
    .group_segment_fixed_size: 0
    .kernarg_segment_align: 8
    .kernarg_segment_size: 24
    .language:       OpenCL C
    .language_version:
      - 2
      - 0
    .max_flat_workgroup_size: 256
    .name:           _ZN2at6native29vectorized_elementwise_kernelILi2EZZZNS0_12_GLOBAL__N_130modified_bessel_k1_kernel_cudaERNS_18TensorIteratorBaseEENKUlvE_clEvENKUlvE0_clEvEUlfE_St5arrayIPcLm2EEEEviT0_T1_
    .private_segment_fixed_size: 0
    .sgpr_count:     35
    .sgpr_spill_count: 0
    .symbol:         _ZN2at6native29vectorized_elementwise_kernelILi2EZZZNS0_12_GLOBAL__N_130modified_bessel_k1_kernel_cudaERNS_18TensorIteratorBaseEENKUlvE_clEvENKUlvE0_clEvEUlfE_St5arrayIPcLm2EEEEviT0_T1_.kd
    .uniform_work_group_size: 1
    .uses_dynamic_stack: false
    .vgpr_count:     32
    .vgpr_spill_count: 0
    .wavefront_size: 32
    .workgroup_processor_mode: 1
  - .args:
      - .offset:         0
        .size:           4
        .value_kind:     by_value
      - .offset:         4
        .size:           1
        .value_kind:     by_value
      - .offset:         8
        .size:           16
        .value_kind:     by_value
      - .offset:         24
        .size:           1
        .value_kind:     by_value
      - .offset:         25
        .size:           1
        .value_kind:     by_value
      - .offset:         26
        .size:           1
        .value_kind:     by_value
      - .offset:         27
        .size:           1
        .value_kind:     by_value
    .group_segment_fixed_size: 0
    .kernarg_segment_align: 8
    .kernarg_segment_size: 28
    .language:       OpenCL C
    .language_version:
      - 2
      - 0
    .max_flat_workgroup_size: 256
    .name:           _ZN2at6native27unrolled_elementwise_kernelIZZZNS0_12_GLOBAL__N_130modified_bessel_k1_kernel_cudaERNS_18TensorIteratorBaseEENKUlvE_clEvENKUlvE0_clEvEUlfE_St5arrayIPcLm2EELi4E23TrivialOffsetCalculatorILi1EjESC_NS0_6memory15LoadWithoutCastENSD_16StoreWithoutCastEEEviT_T0_T2_T3_T4_T5_
    .private_segment_fixed_size: 0
    .sgpr_count:     35
    .sgpr_spill_count: 0
    .symbol:         _ZN2at6native27unrolled_elementwise_kernelIZZZNS0_12_GLOBAL__N_130modified_bessel_k1_kernel_cudaERNS_18TensorIteratorBaseEENKUlvE_clEvENKUlvE0_clEvEUlfE_St5arrayIPcLm2EELi4E23TrivialOffsetCalculatorILi1EjESC_NS0_6memory15LoadWithoutCastENSD_16StoreWithoutCastEEEviT_T0_T2_T3_T4_T5_.kd
    .uniform_work_group_size: 1
    .uses_dynamic_stack: false
    .vgpr_count:     32
    .vgpr_spill_count: 0
    .wavefront_size: 32
    .workgroup_processor_mode: 1
  - .args:
      - .offset:         0
        .size:           4
        .value_kind:     by_value
      - .offset:         8
        .size:           352
        .value_kind:     by_value
    .group_segment_fixed_size: 0
    .kernarg_segment_align: 8
    .kernarg_segment_size: 360
    .language:       OpenCL C
    .language_version:
      - 2
      - 0
    .max_flat_workgroup_size: 128
    .name:           _ZN2at6native32elementwise_kernel_manual_unrollILi128ELi4EZNS0_22gpu_kernel_impl_nocastIZZZNS0_12_GLOBAL__N_130modified_bessel_k1_kernel_cudaERNS_18TensorIteratorBaseEENKUlvE_clEvENKUlvE0_clEvEUlfE_EEvS5_RKT_EUlibE_EEviT1_
    .private_segment_fixed_size: 0
    .sgpr_count:     58
    .sgpr_spill_count: 0
    .symbol:         _ZN2at6native32elementwise_kernel_manual_unrollILi128ELi4EZNS0_22gpu_kernel_impl_nocastIZZZNS0_12_GLOBAL__N_130modified_bessel_k1_kernel_cudaERNS_18TensorIteratorBaseEENKUlvE_clEvENKUlvE0_clEvEUlfE_EEvS5_RKT_EUlibE_EEviT1_.kd
    .uniform_work_group_size: 1
    .uses_dynamic_stack: false
    .vgpr_count:     21
    .vgpr_spill_count: 0
    .wavefront_size: 32
    .workgroup_processor_mode: 1
  - .args:
      - .offset:         0
        .size:           4
        .value_kind:     by_value
      - .offset:         8
        .size:           32
        .value_kind:     by_value
    .group_segment_fixed_size: 0
    .kernarg_segment_align: 8
    .kernarg_segment_size: 40
    .language:       OpenCL C
    .language_version:
      - 2
      - 0
    .max_flat_workgroup_size: 128
    .name:           _ZN2at6native32elementwise_kernel_manual_unrollILi128ELi4EZNS0_15gpu_kernel_implIZZZNS0_12_GLOBAL__N_130modified_bessel_k1_kernel_cudaERNS_18TensorIteratorBaseEENKUlvE_clEvENKUlvE0_clEvEUlfE_EEvS5_RKT_EUlibE_EEviT1_
    .private_segment_fixed_size: 0
    .sgpr_count:     28
    .sgpr_spill_count: 0
    .symbol:         _ZN2at6native32elementwise_kernel_manual_unrollILi128ELi4EZNS0_15gpu_kernel_implIZZZNS0_12_GLOBAL__N_130modified_bessel_k1_kernel_cudaERNS_18TensorIteratorBaseEENKUlvE_clEvENKUlvE0_clEvEUlfE_EEvS5_RKT_EUlibE_EEviT1_.kd
    .uniform_work_group_size: 1
    .uses_dynamic_stack: false
    .vgpr_count:     17
    .vgpr_spill_count: 0
    .wavefront_size: 32
    .workgroup_processor_mode: 1
  - .args:
      - .offset:         0
        .size:           4
        .value_kind:     by_value
      - .offset:         8
        .size:           352
        .value_kind:     by_value
    .group_segment_fixed_size: 0
    .kernarg_segment_align: 8
    .kernarg_segment_size: 360
    .language:       OpenCL C
    .language_version:
      - 2
      - 0
    .max_flat_workgroup_size: 128
    .name:           _ZN2at6native32elementwise_kernel_manual_unrollILi128ELi4EZNS0_15gpu_kernel_implIZZZNS0_12_GLOBAL__N_130modified_bessel_k1_kernel_cudaERNS_18TensorIteratorBaseEENKUlvE_clEvENKUlvE0_clEvEUlfE_EEvS5_RKT_EUlibE0_EEviT1_
    .private_segment_fixed_size: 0
    .sgpr_count:     70
    .sgpr_spill_count: 0
    .symbol:         _ZN2at6native32elementwise_kernel_manual_unrollILi128ELi4EZNS0_15gpu_kernel_implIZZZNS0_12_GLOBAL__N_130modified_bessel_k1_kernel_cudaERNS_18TensorIteratorBaseEENKUlvE_clEvENKUlvE0_clEvEUlfE_EEvS5_RKT_EUlibE0_EEviT1_.kd
    .uniform_work_group_size: 1
    .uses_dynamic_stack: false
    .vgpr_count:     20
    .vgpr_spill_count: 0
    .wavefront_size: 32
    .workgroup_processor_mode: 1
amdhsa.target:   amdgcn-amd-amdhsa--gfx1030
amdhsa.version:
  - 1
  - 2
...

	.end_amdgpu_metadata
